;; amdgpu-corpus repo=ROCm/rccl kind=compiled arch=gfx1250 opt=O3
	.amdgcn_target "amdgcn-amd-amdhsa--gfx1250"
	.amdhsa_code_object_version 6
	.text
	.p2align	2                               ; -- Begin function __ockl_fprintf_append_string_n
	.type	__ockl_fprintf_append_string_n,@function
__ockl_fprintf_append_string_n:         ; @__ockl_fprintf_append_string_n
; %bb.0:
	s_wait_loadcnt_dscnt 0x0
	s_wait_kmcnt 0x0
	v_or_b32_e32 v2, 2, v0
	v_cmp_eq_u32_e32 vcc_lo, 0, v6
	v_mbcnt_lo_u32_b32 v30, -1, 0
	s_get_pc_i64 s[0:1]
	s_add_nc_u64 s[0:1], s[0:1], .str.3@rel64+4
	s_mov_b32 s6, 0
	s_cmp_lg_u64 s[0:1], 0
	v_cndmask_b32_e32 v3, v2, v0, vcc_lo
	s_cbranch_scc0 .LBB0_113
; %bb.1:
	s_load_b64 s[2:3], s[8:9], 0x50
	s_delay_alu instid0(VALU_DEP_1) | instskip(SKIP_3) | instid1(VALU_DEP_4)
	v_dual_mov_b32 v7, 0 :: v_dual_bitop2_b32 v0, -3, v3 bitop3:0x40
	v_mov_b64_e32 v[8:9], 0x100000002
	v_mov_b64_e32 v[32:33], s[0:1]
	v_and_b32_e32 v2, 2, v3
	v_mov_b64_e32 v[10:11], v[0:1]
	s_mov_b32 s7, 0
	s_branch .LBB0_3
.LBB0_2:                                ;   in Loop: Header=BB0_3 Depth=1
	s_or_b32 exec_lo, exec_lo, s10
	v_sub_nc_u64_e32 v[4:5], v[4:5], v[34:35]
	v_add_nc_u64_e32 v[32:33], v[32:33], v[34:35]
	s_delay_alu instid0(VALU_DEP_2) | instskip(SKIP_1) | instid1(SALU_CYCLE_1)
	v_cmp_eq_u64_e32 vcc_lo, 0, v[4:5]
	s_or_b32 s7, vcc_lo, s7
	s_and_not1_b32 exec_lo, exec_lo, s7
	s_cbranch_execz .LBB0_85
.LBB0_3:                                ; =>This Loop Header: Depth=1
                                        ;     Child Loop BB0_6 Depth 2
                                        ;     Child Loop BB0_14 Depth 2
	;; [unrolled: 1-line block ×11, first 2 shown]
	v_min_u64 v[34:35], v[4:5], 56
	s_delay_alu instid0(VALU_DEP_3)
	v_add_nc_u64_e32 v[16:17], 8, v[32:33]
	s_mov_b32 s0, exec_lo
	v_cmpx_gt_u64_e32 8, v[4:5]
	s_xor_b32 s4, exec_lo, s0
	s_cbranch_execz .LBB0_9
; %bb.4:                                ;   in Loop: Header=BB0_3 Depth=1
	s_wait_loadcnt 0x0
	v_mov_b64_e32 v[12:13], 0
	s_mov_b32 s5, exec_lo
	v_cmpx_ne_u64_e32 0, v[4:5]
	s_cbranch_execz .LBB0_8
; %bb.5:                                ;   in Loop: Header=BB0_3 Depth=1
	v_mov_b64_e32 v[12:13], 0
	v_mov_b64_e32 v[14:15], v[32:33]
	v_lshlrev_b32_e32 v0, 3, v34
	s_mov_b64 s[0:1], 0
	s_mov_b32 s10, 0
.LBB0_6:                                ;   Parent Loop BB0_3 Depth=1
                                        ; =>  This Inner Loop Header: Depth=2
	global_load_u8 v6, v[14:15], off
	v_mov_b32_e32 v17, s6
	s_wait_xcnt 0x0
	v_add_nc_u64_e32 v[14:15], 1, v[14:15]
	s_wait_loadcnt 0x0
	v_and_b32_e32 v16, 0xffff, v6
	s_delay_alu instid0(VALU_DEP_1) | instskip(SKIP_1) | instid1(SALU_CYCLE_1)
	v_lshlrev_b64_e32 v[16:17], s0, v[16:17]
	s_add_nc_u64 s[0:1], s[0:1], 8
	v_cmp_eq_u32_e32 vcc_lo, s0, v0
	s_delay_alu instid0(VALU_DEP_2) | instskip(NEXT) | instid1(VALU_DEP_3)
	v_or_b32_e32 v13, v17, v13
	v_or_b32_e32 v12, v16, v12
	s_or_b32 s10, vcc_lo, s10
	s_delay_alu instid0(SALU_CYCLE_1)
	s_and_not1_b32 exec_lo, exec_lo, s10
	s_cbranch_execnz .LBB0_6
; %bb.7:                                ;   in Loop: Header=BB0_3 Depth=1
	s_or_b32 exec_lo, exec_lo, s10
.LBB0_8:                                ;   in Loop: Header=BB0_3 Depth=1
	s_delay_alu instid0(SALU_CYCLE_1)
	s_or_b32 exec_lo, exec_lo, s5
	v_mov_b64_e32 v[16:17], v[32:33]
.LBB0_9:                                ;   in Loop: Header=BB0_3 Depth=1
	s_or_saveexec_b32 s0, s4
	v_mov_b32_e32 v0, 0
	s_xor_b32 exec_lo, exec_lo, s0
	s_cbranch_execz .LBB0_11
; %bb.10:                               ;   in Loop: Header=BB0_3 Depth=1
	s_wait_loadcnt 0x0
	global_load_b64 v[12:13], v[32:33], off
	v_add_nc_u32_e32 v0, -8, v34
.LBB0_11:                               ;   in Loop: Header=BB0_3 Depth=1
	s_wait_xcnt 0x0
	s_or_b32 exec_lo, exec_lo, s0
	v_add_nc_u64_e32 v[18:19], 8, v[16:17]
                                        ; implicit-def: $vgpr14_vgpr15
	s_mov_b32 s0, exec_lo
	v_cmpx_gt_u32_e32 8, v0
	s_xor_b32 s10, exec_lo, s0
	s_cbranch_execz .LBB0_17
; %bb.12:                               ;   in Loop: Header=BB0_3 Depth=1
	v_mov_b64_e32 v[14:15], 0
	s_mov_b32 s11, exec_lo
	v_cmpx_ne_u32_e32 0, v0
	s_cbranch_execz .LBB0_16
; %bb.13:                               ;   in Loop: Header=BB0_3 Depth=1
	v_mov_b64_e32 v[14:15], 0
	s_mov_b64 s[0:1], 0
	s_mov_b32 s12, 0
	s_mov_b64 s[4:5], 0
.LBB0_14:                               ;   Parent Loop BB0_3 Depth=1
                                        ; =>  This Inner Loop Header: Depth=2
	s_delay_alu instid0(SALU_CYCLE_1) | instskip(SKIP_1) | instid1(SALU_CYCLE_1)
	v_add_nc_u64_e32 v[18:19], s[4:5], v[16:17]
	s_add_nc_u64 s[4:5], s[4:5], 1
	v_cmp_eq_u32_e32 vcc_lo, s4, v0
	global_load_u8 v6, v[18:19], off
	s_wait_xcnt 0x0
	v_mov_b32_e32 v19, s6
	s_or_b32 s12, vcc_lo, s12
	s_wait_loadcnt 0x0
	v_and_b32_e32 v18, 0xffff, v6
	s_delay_alu instid0(VALU_DEP_1) | instskip(SKIP_1) | instid1(VALU_DEP_1)
	v_lshlrev_b64_e32 v[18:19], s0, v[18:19]
	s_add_nc_u64 s[0:1], s[0:1], 8
	v_or_b32_e32 v15, v19, v15
	s_delay_alu instid0(VALU_DEP_2)
	v_or_b32_e32 v14, v18, v14
	s_and_not1_b32 exec_lo, exec_lo, s12
	s_cbranch_execnz .LBB0_14
; %bb.15:                               ;   in Loop: Header=BB0_3 Depth=1
	s_or_b32 exec_lo, exec_lo, s12
.LBB0_16:                               ;   in Loop: Header=BB0_3 Depth=1
	s_delay_alu instid0(SALU_CYCLE_1)
	s_or_b32 exec_lo, exec_lo, s11
	v_mov_b64_e32 v[18:19], v[16:17]
                                        ; implicit-def: $vgpr0
.LBB0_17:                               ;   in Loop: Header=BB0_3 Depth=1
	s_or_saveexec_b32 s0, s10
	v_mov_b32_e32 v6, 0
	s_xor_b32 exec_lo, exec_lo, s0
	s_cbranch_execz .LBB0_19
; %bb.18:                               ;   in Loop: Header=BB0_3 Depth=1
	global_load_b64 v[14:15], v[16:17], off
	v_add_nc_u32_e32 v6, -8, v0
.LBB0_19:                               ;   in Loop: Header=BB0_3 Depth=1
	s_wait_xcnt 0x0
	s_or_b32 exec_lo, exec_lo, s0
	v_add_nc_u64_e32 v[20:21], 8, v[18:19]
	s_mov_b32 s0, exec_lo
	v_cmpx_gt_u32_e32 8, v6
	s_xor_b32 s10, exec_lo, s0
	s_cbranch_execz .LBB0_25
; %bb.20:                               ;   in Loop: Header=BB0_3 Depth=1
	v_mov_b64_e32 v[16:17], 0
	s_mov_b32 s11, exec_lo
	v_cmpx_ne_u32_e32 0, v6
	s_cbranch_execz .LBB0_24
; %bb.21:                               ;   in Loop: Header=BB0_3 Depth=1
	v_mov_b64_e32 v[16:17], 0
	s_mov_b64 s[0:1], 0
	s_mov_b32 s12, 0
	s_mov_b64 s[4:5], 0
.LBB0_22:                               ;   Parent Loop BB0_3 Depth=1
                                        ; =>  This Inner Loop Header: Depth=2
	s_delay_alu instid0(SALU_CYCLE_1) | instskip(SKIP_1) | instid1(SALU_CYCLE_1)
	v_add_nc_u64_e32 v[20:21], s[4:5], v[18:19]
	s_add_nc_u64 s[4:5], s[4:5], 1
	v_cmp_eq_u32_e32 vcc_lo, s4, v6
	global_load_u8 v0, v[20:21], off
	s_wait_xcnt 0x0
	v_mov_b32_e32 v21, s6
	s_or_b32 s12, vcc_lo, s12
	s_wait_loadcnt 0x0
	v_and_b32_e32 v20, 0xffff, v0
	s_delay_alu instid0(VALU_DEP_1) | instskip(SKIP_1) | instid1(VALU_DEP_1)
	v_lshlrev_b64_e32 v[20:21], s0, v[20:21]
	s_add_nc_u64 s[0:1], s[0:1], 8
	v_or_b32_e32 v17, v21, v17
	s_delay_alu instid0(VALU_DEP_2)
	v_or_b32_e32 v16, v20, v16
	s_and_not1_b32 exec_lo, exec_lo, s12
	s_cbranch_execnz .LBB0_22
; %bb.23:                               ;   in Loop: Header=BB0_3 Depth=1
	s_or_b32 exec_lo, exec_lo, s12
.LBB0_24:                               ;   in Loop: Header=BB0_3 Depth=1
	s_delay_alu instid0(SALU_CYCLE_1)
	s_or_b32 exec_lo, exec_lo, s11
	v_mov_b64_e32 v[20:21], v[18:19]
                                        ; implicit-def: $vgpr6
.LBB0_25:                               ;   in Loop: Header=BB0_3 Depth=1
	s_or_saveexec_b32 s0, s10
	v_mov_b32_e32 v0, 0
	s_xor_b32 exec_lo, exec_lo, s0
	s_cbranch_execz .LBB0_27
; %bb.26:                               ;   in Loop: Header=BB0_3 Depth=1
	global_load_b64 v[16:17], v[18:19], off
	v_add_nc_u32_e32 v0, -8, v6
.LBB0_27:                               ;   in Loop: Header=BB0_3 Depth=1
	s_wait_xcnt 0x0
	s_or_b32 exec_lo, exec_lo, s0
	v_add_nc_u64_e32 v[22:23], 8, v[20:21]
                                        ; implicit-def: $vgpr18_vgpr19
	s_mov_b32 s0, exec_lo
	v_cmpx_gt_u32_e32 8, v0
	s_xor_b32 s10, exec_lo, s0
	s_cbranch_execz .LBB0_33
; %bb.28:                               ;   in Loop: Header=BB0_3 Depth=1
	v_mov_b64_e32 v[18:19], 0
	s_mov_b32 s11, exec_lo
	v_cmpx_ne_u32_e32 0, v0
	s_cbranch_execz .LBB0_32
; %bb.29:                               ;   in Loop: Header=BB0_3 Depth=1
	v_mov_b64_e32 v[18:19], 0
	s_mov_b64 s[0:1], 0
	s_mov_b32 s12, 0
	s_mov_b64 s[4:5], 0
.LBB0_30:                               ;   Parent Loop BB0_3 Depth=1
                                        ; =>  This Inner Loop Header: Depth=2
	s_delay_alu instid0(SALU_CYCLE_1) | instskip(SKIP_1) | instid1(SALU_CYCLE_1)
	v_add_nc_u64_e32 v[22:23], s[4:5], v[20:21]
	s_add_nc_u64 s[4:5], s[4:5], 1
	v_cmp_eq_u32_e32 vcc_lo, s4, v0
	global_load_u8 v6, v[22:23], off
	s_wait_xcnt 0x0
	v_mov_b32_e32 v23, s6
	s_or_b32 s12, vcc_lo, s12
	s_wait_loadcnt 0x0
	v_and_b32_e32 v22, 0xffff, v6
	s_delay_alu instid0(VALU_DEP_1) | instskip(SKIP_1) | instid1(VALU_DEP_1)
	v_lshlrev_b64_e32 v[22:23], s0, v[22:23]
	s_add_nc_u64 s[0:1], s[0:1], 8
	v_or_b32_e32 v19, v23, v19
	s_delay_alu instid0(VALU_DEP_2)
	v_or_b32_e32 v18, v22, v18
	s_and_not1_b32 exec_lo, exec_lo, s12
	s_cbranch_execnz .LBB0_30
; %bb.31:                               ;   in Loop: Header=BB0_3 Depth=1
	s_or_b32 exec_lo, exec_lo, s12
.LBB0_32:                               ;   in Loop: Header=BB0_3 Depth=1
	s_delay_alu instid0(SALU_CYCLE_1)
	s_or_b32 exec_lo, exec_lo, s11
	v_mov_b64_e32 v[22:23], v[20:21]
                                        ; implicit-def: $vgpr0
.LBB0_33:                               ;   in Loop: Header=BB0_3 Depth=1
	s_or_saveexec_b32 s0, s10
	v_mov_b32_e32 v6, 0
	s_xor_b32 exec_lo, exec_lo, s0
	s_cbranch_execz .LBB0_35
; %bb.34:                               ;   in Loop: Header=BB0_3 Depth=1
	global_load_b64 v[18:19], v[20:21], off
	v_add_nc_u32_e32 v6, -8, v0
.LBB0_35:                               ;   in Loop: Header=BB0_3 Depth=1
	s_wait_xcnt 0x0
	s_or_b32 exec_lo, exec_lo, s0
	v_add_nc_u64_e32 v[24:25], 8, v[22:23]
	s_mov_b32 s0, exec_lo
	v_cmpx_gt_u32_e32 8, v6
	s_xor_b32 s10, exec_lo, s0
	s_cbranch_execz .LBB0_41
; %bb.36:                               ;   in Loop: Header=BB0_3 Depth=1
	v_mov_b64_e32 v[20:21], 0
	s_mov_b32 s11, exec_lo
	v_cmpx_ne_u32_e32 0, v6
	s_cbranch_execz .LBB0_40
; %bb.37:                               ;   in Loop: Header=BB0_3 Depth=1
	v_mov_b64_e32 v[20:21], 0
	s_mov_b64 s[0:1], 0
	s_mov_b32 s12, 0
	s_mov_b64 s[4:5], 0
.LBB0_38:                               ;   Parent Loop BB0_3 Depth=1
                                        ; =>  This Inner Loop Header: Depth=2
	s_delay_alu instid0(SALU_CYCLE_1) | instskip(SKIP_1) | instid1(SALU_CYCLE_1)
	v_add_nc_u64_e32 v[24:25], s[4:5], v[22:23]
	s_add_nc_u64 s[4:5], s[4:5], 1
	v_cmp_eq_u32_e32 vcc_lo, s4, v6
	global_load_u8 v0, v[24:25], off
	s_wait_xcnt 0x0
	v_mov_b32_e32 v25, s6
	s_or_b32 s12, vcc_lo, s12
	s_wait_loadcnt 0x0
	v_and_b32_e32 v24, 0xffff, v0
	s_delay_alu instid0(VALU_DEP_1) | instskip(SKIP_1) | instid1(VALU_DEP_1)
	v_lshlrev_b64_e32 v[24:25], s0, v[24:25]
	s_add_nc_u64 s[0:1], s[0:1], 8
	v_or_b32_e32 v21, v25, v21
	s_delay_alu instid0(VALU_DEP_2)
	v_or_b32_e32 v20, v24, v20
	s_and_not1_b32 exec_lo, exec_lo, s12
	s_cbranch_execnz .LBB0_38
; %bb.39:                               ;   in Loop: Header=BB0_3 Depth=1
	s_or_b32 exec_lo, exec_lo, s12
.LBB0_40:                               ;   in Loop: Header=BB0_3 Depth=1
	s_delay_alu instid0(SALU_CYCLE_1)
	s_or_b32 exec_lo, exec_lo, s11
	v_mov_b64_e32 v[24:25], v[22:23]
                                        ; implicit-def: $vgpr6
.LBB0_41:                               ;   in Loop: Header=BB0_3 Depth=1
	s_or_saveexec_b32 s0, s10
	v_mov_b32_e32 v0, 0
	s_xor_b32 exec_lo, exec_lo, s0
	s_cbranch_execz .LBB0_43
; %bb.42:                               ;   in Loop: Header=BB0_3 Depth=1
	global_load_b64 v[20:21], v[22:23], off
	v_add_nc_u32_e32 v0, -8, v6
.LBB0_43:                               ;   in Loop: Header=BB0_3 Depth=1
	s_wait_xcnt 0x0
	s_or_b32 exec_lo, exec_lo, s0
	v_add_nc_u64_e32 v[26:27], 8, v[24:25]
                                        ; implicit-def: $vgpr22_vgpr23
	s_mov_b32 s0, exec_lo
	v_cmpx_gt_u32_e32 8, v0
	s_xor_b32 s10, exec_lo, s0
	s_cbranch_execz .LBB0_49
; %bb.44:                               ;   in Loop: Header=BB0_3 Depth=1
	v_mov_b64_e32 v[22:23], 0
	s_mov_b32 s11, exec_lo
	v_cmpx_ne_u32_e32 0, v0
	s_cbranch_execz .LBB0_48
; %bb.45:                               ;   in Loop: Header=BB0_3 Depth=1
	v_mov_b64_e32 v[22:23], 0
	s_mov_b64 s[0:1], 0
	s_mov_b32 s12, 0
	s_mov_b64 s[4:5], 0
.LBB0_46:                               ;   Parent Loop BB0_3 Depth=1
                                        ; =>  This Inner Loop Header: Depth=2
	s_delay_alu instid0(SALU_CYCLE_1) | instskip(SKIP_1) | instid1(SALU_CYCLE_1)
	v_add_nc_u64_e32 v[26:27], s[4:5], v[24:25]
	s_add_nc_u64 s[4:5], s[4:5], 1
	v_cmp_eq_u32_e32 vcc_lo, s4, v0
	global_load_u8 v6, v[26:27], off
	s_wait_xcnt 0x0
	v_mov_b32_e32 v27, s6
	s_or_b32 s12, vcc_lo, s12
	s_wait_loadcnt 0x0
	v_and_b32_e32 v26, 0xffff, v6
	s_delay_alu instid0(VALU_DEP_1) | instskip(SKIP_1) | instid1(VALU_DEP_1)
	v_lshlrev_b64_e32 v[26:27], s0, v[26:27]
	s_add_nc_u64 s[0:1], s[0:1], 8
	v_or_b32_e32 v23, v27, v23
	s_delay_alu instid0(VALU_DEP_2)
	v_or_b32_e32 v22, v26, v22
	s_and_not1_b32 exec_lo, exec_lo, s12
	s_cbranch_execnz .LBB0_46
; %bb.47:                               ;   in Loop: Header=BB0_3 Depth=1
	s_or_b32 exec_lo, exec_lo, s12
.LBB0_48:                               ;   in Loop: Header=BB0_3 Depth=1
	s_delay_alu instid0(SALU_CYCLE_1)
	s_or_b32 exec_lo, exec_lo, s11
	v_mov_b64_e32 v[26:27], v[24:25]
                                        ; implicit-def: $vgpr0
.LBB0_49:                               ;   in Loop: Header=BB0_3 Depth=1
	s_or_saveexec_b32 s0, s10
	v_mov_b32_e32 v6, 0
	s_xor_b32 exec_lo, exec_lo, s0
	s_cbranch_execz .LBB0_51
; %bb.50:                               ;   in Loop: Header=BB0_3 Depth=1
	global_load_b64 v[22:23], v[24:25], off
	v_add_nc_u32_e32 v6, -8, v0
.LBB0_51:                               ;   in Loop: Header=BB0_3 Depth=1
	s_wait_xcnt 0x0
	s_or_b32 exec_lo, exec_lo, s0
	s_delay_alu instid0(SALU_CYCLE_1) | instskip(NEXT) | instid1(VALU_DEP_1)
	s_mov_b32 s0, exec_lo
	v_cmpx_gt_u32_e32 8, v6
	s_xor_b32 s4, exec_lo, s0
	s_cbranch_execz .LBB0_57
; %bb.52:                               ;   in Loop: Header=BB0_3 Depth=1
	v_mov_b64_e32 v[24:25], 0
	s_mov_b32 s5, exec_lo
	v_cmpx_ne_u32_e32 0, v6
	s_cbranch_execz .LBB0_56
; %bb.53:                               ;   in Loop: Header=BB0_3 Depth=1
	v_mov_b64_e32 v[24:25], 0
	s_mov_b64 s[0:1], 0
	s_mov_b32 s10, 0
.LBB0_54:                               ;   Parent Loop BB0_3 Depth=1
                                        ; =>  This Inner Loop Header: Depth=2
	global_load_u8 v0, v[26:27], off
	v_dual_mov_b32 v29, s6 :: v_dual_add_nc_u32 v6, -1, v6
	s_wait_xcnt 0x0
	v_add_nc_u64_e32 v[26:27], 1, v[26:27]
	s_delay_alu instid0(VALU_DEP_2) | instskip(SKIP_3) | instid1(VALU_DEP_1)
	v_cmp_eq_u32_e32 vcc_lo, 0, v6
	s_or_b32 s10, vcc_lo, s10
	s_wait_loadcnt 0x0
	v_and_b32_e32 v28, 0xffff, v0
	v_lshlrev_b64_e32 v[28:29], s0, v[28:29]
	s_add_nc_u64 s[0:1], s[0:1], 8
	s_delay_alu instid0(VALU_DEP_1) | instskip(NEXT) | instid1(VALU_DEP_2)
	v_or_b32_e32 v25, v29, v25
	v_or_b32_e32 v24, v28, v24
	s_and_not1_b32 exec_lo, exec_lo, s10
	s_cbranch_execnz .LBB0_54
; %bb.55:                               ;   in Loop: Header=BB0_3 Depth=1
	s_or_b32 exec_lo, exec_lo, s10
.LBB0_56:                               ;   in Loop: Header=BB0_3 Depth=1
	s_delay_alu instid0(SALU_CYCLE_1)
	s_or_b32 exec_lo, exec_lo, s5
                                        ; implicit-def: $vgpr26_vgpr27
.LBB0_57:                               ;   in Loop: Header=BB0_3 Depth=1
	s_and_not1_saveexec_b32 s0, s4
	s_cbranch_execz .LBB0_59
; %bb.58:                               ;   in Loop: Header=BB0_3 Depth=1
	global_load_b64 v[24:25], v[26:27], off
.LBB0_59:                               ;   in Loop: Header=BB0_3 Depth=1
	s_wait_xcnt 0x0
	s_or_b32 exec_lo, exec_lo, s0
	v_readfirstlane_b32 s0, v30
	v_mov_b64_e32 v[36:37], 0
	s_delay_alu instid0(VALU_DEP_2)
	v_cmp_eq_u32_e64 s0, s0, v30
	s_and_saveexec_b32 s1, s0
	s_cbranch_execz .LBB0_65
; %bb.60:                               ;   in Loop: Header=BB0_3 Depth=1
	s_wait_kmcnt 0x0
	global_load_b64 v[28:29], v7, s[2:3] offset:24 scope:SCOPE_SYS
	s_wait_loadcnt 0x0
	global_inv scope:SCOPE_SYS
	s_clause 0x1
	global_load_b64 v[26:27], v7, s[2:3] offset:40
	global_load_b64 v[36:37], v7, s[2:3]
	s_mov_b32 s4, exec_lo
	s_wait_loadcnt 0x1
	v_and_b32_e32 v26, v26, v28
	v_and_b32_e32 v27, v27, v29
	s_delay_alu instid0(VALU_DEP_1) | instskip(SKIP_1) | instid1(VALU_DEP_1)
	v_mul_u64_e32 v[26:27], 24, v[26:27]
	s_wait_loadcnt 0x0
	v_add_nc_u64_e32 v[26:27], v[36:37], v[26:27]
	global_load_b64 v[26:27], v[26:27], off scope:SCOPE_SYS
	s_wait_xcnt 0x0
	s_wait_loadcnt 0x0
	global_atomic_cmpswap_b64 v[36:37], v7, v[26:29], s[2:3] offset:24 th:TH_ATOMIC_RETURN scope:SCOPE_SYS
	s_wait_loadcnt 0x0
	global_inv scope:SCOPE_SYS
	s_wait_xcnt 0x0
	v_cmpx_ne_u64_e64 v[36:37], v[28:29]
	s_cbranch_execz .LBB0_64
; %bb.61:                               ;   in Loop: Header=BB0_3 Depth=1
	s_mov_b32 s5, 0
.LBB0_62:                               ;   Parent Loop BB0_3 Depth=1
                                        ; =>  This Inner Loop Header: Depth=2
	s_sleep 1
	s_clause 0x1
	global_load_b64 v[26:27], v7, s[2:3] offset:40
	global_load_b64 v[38:39], v7, s[2:3]
	v_mov_b64_e32 v[28:29], v[36:37]
	s_wait_loadcnt 0x1
	s_delay_alu instid0(VALU_DEP_1) | instskip(SKIP_1) | instid1(VALU_DEP_1)
	v_and_b32_e32 v0, v26, v28
	s_wait_loadcnt 0x0
	v_mad_nc_u64_u32 v[36:37], v0, 24, v[38:39]
	s_delay_alu instid0(VALU_DEP_3) | instskip(NEXT) | instid1(VALU_DEP_1)
	v_and_b32_e32 v0, v27, v29
	v_mad_u32 v37, v0, 24, v37
	global_load_b64 v[26:27], v[36:37], off scope:SCOPE_SYS
	s_wait_xcnt 0x0
	s_wait_loadcnt 0x0
	global_atomic_cmpswap_b64 v[36:37], v7, v[26:29], s[2:3] offset:24 th:TH_ATOMIC_RETURN scope:SCOPE_SYS
	s_wait_loadcnt 0x0
	global_inv scope:SCOPE_SYS
	v_cmp_eq_u64_e32 vcc_lo, v[36:37], v[28:29]
	s_or_b32 s5, vcc_lo, s5
	s_wait_xcnt 0x0
	s_and_not1_b32 exec_lo, exec_lo, s5
	s_cbranch_execnz .LBB0_62
; %bb.63:                               ;   in Loop: Header=BB0_3 Depth=1
	s_or_b32 exec_lo, exec_lo, s5
.LBB0_64:                               ;   in Loop: Header=BB0_3 Depth=1
	s_delay_alu instid0(SALU_CYCLE_1)
	s_or_b32 exec_lo, exec_lo, s4
.LBB0_65:                               ;   in Loop: Header=BB0_3 Depth=1
	s_delay_alu instid0(SALU_CYCLE_1)
	s_or_b32 exec_lo, exec_lo, s1
	s_wait_kmcnt 0x0
	s_clause 0x1
	global_load_b64 v[38:39], v7, s[2:3] offset:40
	global_load_b128 v[26:29], v7, s[2:3]
	v_readfirstlane_b32 s4, v36
	v_readfirstlane_b32 s5, v37
	s_mov_b32 s1, exec_lo
	s_wait_loadcnt 0x1
	v_and_b32_e32 v38, s4, v38
	v_and_b32_e32 v39, s5, v39
	s_delay_alu instid0(VALU_DEP_1) | instskip(SKIP_1) | instid1(VALU_DEP_1)
	v_mul_u64_e32 v[36:37], 24, v[38:39]
	s_wait_loadcnt 0x0
	v_add_nc_u64_e32 v[36:37], v[26:27], v[36:37]
	s_wait_xcnt 0x0
	s_and_saveexec_b32 s10, s0
	s_cbranch_execz .LBB0_67
; %bb.66:                               ;   in Loop: Header=BB0_3 Depth=1
	v_mov_b32_e32 v6, s1
	global_store_b128 v[36:37], v[6:9], off offset:8
.LBB0_67:                               ;   in Loop: Header=BB0_3 Depth=1
	s_wait_xcnt 0x0
	s_or_b32 exec_lo, exec_lo, s10
	v_cmp_gt_u64_e32 vcc_lo, 57, v[4:5]
	v_lshlrev_b64_e32 v[38:39], 12, v[38:39]
	v_and_b32_e32 v6, 0xffffff1f, v10
	v_lshl_add_u32 v10, v34, 2, 28
	v_cndmask_b32_e32 v0, 0, v2, vcc_lo
	s_delay_alu instid0(VALU_DEP_4) | instskip(NEXT) | instid1(VALU_DEP_2)
	v_add_nc_u64_e32 v[28:29], v[28:29], v[38:39]
	v_dual_lshlrev_b32 v6, 6, v30 :: v_dual_bitop2_b32 v0, v6, v0 bitop3:0x54
	s_delay_alu instid0(VALU_DEP_2) | instskip(NEXT) | instid1(VALU_DEP_3)
	v_readfirstlane_b32 s10, v28
	v_readfirstlane_b32 s11, v29
	s_delay_alu instid0(VALU_DEP_3)
	v_and_or_b32 v10, 0x1e0, v10, v0
	s_clause 0x3
	global_store_b128 v6, v[10:13], s[10:11]
	global_store_b128 v6, v[14:17], s[10:11] offset:16
	global_store_b128 v6, v[18:21], s[10:11] offset:32
	;; [unrolled: 1-line block ×3, first 2 shown]
	s_wait_xcnt 0x0
	s_and_saveexec_b32 s1, s0
	s_cbranch_execz .LBB0_75
; %bb.68:                               ;   in Loop: Header=BB0_3 Depth=1
	s_clause 0x1
	global_load_b64 v[18:19], v7, s[2:3] offset:32 scope:SCOPE_SYS
	global_load_b64 v[10:11], v7, s[2:3] offset:40
	s_mov_b32 s10, exec_lo
	v_dual_mov_b32 v16, s4 :: v_dual_mov_b32 v17, s5
	s_wait_loadcnt 0x0
	v_and_b32_e32 v11, s5, v11
	v_and_b32_e32 v10, s4, v10
	s_delay_alu instid0(VALU_DEP_1) | instskip(NEXT) | instid1(VALU_DEP_1)
	v_mul_u64_e32 v[10:11], 24, v[10:11]
	v_add_nc_u64_e32 v[14:15], v[26:27], v[10:11]
	global_store_b64 v[14:15], v[18:19], off
	global_wb scope:SCOPE_SYS
	s_wait_storecnt 0x0
	s_wait_xcnt 0x0
	global_atomic_cmpswap_b64 v[12:13], v7, v[16:19], s[2:3] offset:32 th:TH_ATOMIC_RETURN scope:SCOPE_SYS
	s_wait_loadcnt 0x0
	v_cmpx_ne_u64_e64 v[12:13], v[18:19]
	s_cbranch_execz .LBB0_71
; %bb.69:                               ;   in Loop: Header=BB0_3 Depth=1
	s_mov_b32 s11, 0
.LBB0_70:                               ;   Parent Loop BB0_3 Depth=1
                                        ; =>  This Inner Loop Header: Depth=2
	v_dual_mov_b32 v10, s4 :: v_dual_mov_b32 v11, s5
	s_sleep 1
	global_store_b64 v[14:15], v[12:13], off
	global_wb scope:SCOPE_SYS
	s_wait_storecnt 0x0
	s_wait_xcnt 0x0
	global_atomic_cmpswap_b64 v[10:11], v7, v[10:13], s[2:3] offset:32 th:TH_ATOMIC_RETURN scope:SCOPE_SYS
	s_wait_loadcnt 0x0
	v_cmp_eq_u64_e32 vcc_lo, v[10:11], v[12:13]
	v_mov_b64_e32 v[12:13], v[10:11]
	s_or_b32 s11, vcc_lo, s11
	s_delay_alu instid0(SALU_CYCLE_1)
	s_and_not1_b32 exec_lo, exec_lo, s11
	s_cbranch_execnz .LBB0_70
.LBB0_71:                               ;   in Loop: Header=BB0_3 Depth=1
	s_or_b32 exec_lo, exec_lo, s10
	global_load_b64 v[10:11], v7, s[2:3] offset:16
	s_mov_b32 s11, exec_lo
	s_mov_b32 s10, exec_lo
	v_mbcnt_lo_u32_b32 v0, s11, 0
	s_wait_xcnt 0x0
	s_delay_alu instid0(VALU_DEP_1)
	v_cmpx_eq_u32_e32 0, v0
	s_cbranch_execz .LBB0_73
; %bb.72:                               ;   in Loop: Header=BB0_3 Depth=1
	s_bcnt1_i32_b32 s11, s11
	s_delay_alu instid0(SALU_CYCLE_1)
	v_dual_mov_b32 v13, v7 :: v_dual_mov_b32 v12, s11
	global_wb scope:SCOPE_SYS
	s_wait_loadcnt 0x0
	s_wait_storecnt 0x0
	global_atomic_add_u64 v[10:11], v[12:13], off offset:8 scope:SCOPE_SYS
.LBB0_73:                               ;   in Loop: Header=BB0_3 Depth=1
	s_wait_xcnt 0x0
	s_or_b32 exec_lo, exec_lo, s10
	s_wait_loadcnt 0x0
	global_load_b64 v[12:13], v[10:11], off offset:16
	s_wait_loadcnt 0x0
	v_cmp_eq_u64_e32 vcc_lo, 0, v[12:13]
	s_cbranch_vccnz .LBB0_75
; %bb.74:                               ;   in Loop: Header=BB0_3 Depth=1
	global_load_b32 v10, v[10:11], off offset:24
	s_wait_xcnt 0x0
	v_mov_b32_e32 v11, v7
	s_wait_loadcnt 0x0
	v_readfirstlane_b32 s10, v10
	global_wb scope:SCOPE_SYS
	s_wait_storecnt 0x0
	global_store_b64 v[12:13], v[10:11], off scope:SCOPE_SYS
	s_and_b32 m0, s10, 0xffffff
	s_sendmsg sendmsg(MSG_INTERRUPT)
.LBB0_75:                               ;   in Loop: Header=BB0_3 Depth=1
	s_wait_xcnt 0x0
	s_or_b32 exec_lo, exec_lo, s1
	v_add_nc_u64_e32 v[10:11], v[28:29], v[6:7]
	s_branch .LBB0_79
.LBB0_76:                               ;   in Loop: Header=BB0_79 Depth=2
	s_wait_xcnt 0x0
	s_or_b32 exec_lo, exec_lo, s1
	s_delay_alu instid0(VALU_DEP_1)
	v_readfirstlane_b32 s1, v0
	s_cmp_eq_u32 s1, 0
	s_cbranch_scc1 .LBB0_78
; %bb.77:                               ;   in Loop: Header=BB0_79 Depth=2
	s_sleep 1
	s_cbranch_execnz .LBB0_79
	s_branch .LBB0_81
.LBB0_78:                               ;   in Loop: Header=BB0_3 Depth=1
	s_branch .LBB0_81
.LBB0_79:                               ;   Parent Loop BB0_3 Depth=1
                                        ; =>  This Inner Loop Header: Depth=2
	v_mov_b32_e32 v0, 1
	s_and_saveexec_b32 s1, s0
	s_cbranch_execz .LBB0_76
; %bb.80:                               ;   in Loop: Header=BB0_79 Depth=2
	global_load_b32 v0, v[36:37], off offset:20 scope:SCOPE_SYS
	s_wait_loadcnt 0x0
	global_inv scope:SCOPE_SYS
	v_and_b32_e32 v0, 1, v0
	s_branch .LBB0_76
.LBB0_81:                               ;   in Loop: Header=BB0_3 Depth=1
	global_load_b128 v[10:13], v[10:11], off
	s_wait_xcnt 0x0
	s_and_saveexec_b32 s10, s0
	s_cbranch_execz .LBB0_2
; %bb.82:                               ;   in Loop: Header=BB0_3 Depth=1
	s_wait_loadcnt 0x0
	s_clause 0x2
	global_load_b64 v[12:13], v7, s[2:3] offset:40
	global_load_b64 v[20:21], v7, s[2:3] offset:24 scope:SCOPE_SYS
	global_load_b64 v[14:15], v7, s[2:3]
	s_wait_loadcnt 0x2
	v_readfirstlane_b32 s12, v12
	v_readfirstlane_b32 s13, v13
	s_add_nc_u64 s[0:1], s[12:13], 1
	s_delay_alu instid0(SALU_CYCLE_1) | instskip(NEXT) | instid1(SALU_CYCLE_1)
	s_add_nc_u64 s[4:5], s[0:1], s[4:5]
	s_cmp_eq_u64 s[4:5], 0
	s_cselect_b32 s1, s1, s5
	s_cselect_b32 s0, s0, s4
	s_delay_alu instid0(SALU_CYCLE_1) | instskip(SKIP_1) | instid1(SALU_CYCLE_1)
	v_dual_mov_b32 v19, s1 :: v_dual_mov_b32 v18, s0
	s_and_b64 s[4:5], s[0:1], s[12:13]
	s_mul_u64 s[4:5], s[4:5], 24
	s_wait_loadcnt 0x0
	v_add_nc_u64_e32 v[16:17], s[4:5], v[14:15]
	global_store_b64 v[16:17], v[20:21], off
	global_wb scope:SCOPE_SYS
	s_wait_storecnt 0x0
	s_wait_xcnt 0x0
	global_atomic_cmpswap_b64 v[14:15], v7, v[18:21], s[2:3] offset:24 th:TH_ATOMIC_RETURN scope:SCOPE_SYS
	s_wait_loadcnt 0x0
	v_cmp_ne_u64_e32 vcc_lo, v[14:15], v[20:21]
	s_and_b32 exec_lo, exec_lo, vcc_lo
	s_cbranch_execz .LBB0_2
; %bb.83:                               ;   in Loop: Header=BB0_3 Depth=1
	s_mov_b32 s4, 0
.LBB0_84:                               ;   Parent Loop BB0_3 Depth=1
                                        ; =>  This Inner Loop Header: Depth=2
	v_dual_mov_b32 v12, s0 :: v_dual_mov_b32 v13, s1
	s_sleep 1
	global_store_b64 v[16:17], v[14:15], off
	global_wb scope:SCOPE_SYS
	s_wait_storecnt 0x0
	s_wait_xcnt 0x0
	global_atomic_cmpswap_b64 v[12:13], v7, v[12:15], s[2:3] offset:24 th:TH_ATOMIC_RETURN scope:SCOPE_SYS
	s_wait_loadcnt 0x0
	v_cmp_eq_u64_e32 vcc_lo, v[12:13], v[14:15]
	v_mov_b64_e32 v[14:15], v[12:13]
	s_or_b32 s4, vcc_lo, s4
	s_delay_alu instid0(SALU_CYCLE_1)
	s_and_not1_b32 exec_lo, exec_lo, s4
	s_cbranch_execnz .LBB0_84
	s_branch .LBB0_2
.LBB0_85:
	s_or_b32 exec_lo, exec_lo, s7
	s_branch .LBB0_114
.LBB0_86:
	s_load_b64 s[2:3], s[8:9], 0x50
	v_readfirstlane_b32 s0, v30
	v_mov_b64_e32 v[8:9], 0
	s_delay_alu instid0(VALU_DEP_2)
	v_cmp_eq_u32_e64 s0, s0, v30
	s_and_saveexec_b32 s1, s0
	s_cbranch_execz .LBB0_92
; %bb.87:
	v_mov_b32_e32 v0, 0
	s_mov_b32 s4, exec_lo
	s_wait_kmcnt 0x0
	global_load_b64 v[6:7], v0, s[2:3] offset:24 scope:SCOPE_SYS
	s_wait_loadcnt 0x0
	global_inv scope:SCOPE_SYS
	s_clause 0x1
	global_load_b64 v[4:5], v0, s[2:3] offset:40
	global_load_b64 v[8:9], v0, s[2:3]
	s_wait_loadcnt 0x1
	v_and_b32_e32 v4, v4, v6
	v_and_b32_e32 v5, v5, v7
	s_delay_alu instid0(VALU_DEP_1) | instskip(SKIP_1) | instid1(VALU_DEP_1)
	v_mul_u64_e32 v[4:5], 24, v[4:5]
	s_wait_loadcnt 0x0
	v_add_nc_u64_e32 v[4:5], v[8:9], v[4:5]
	global_load_b64 v[4:5], v[4:5], off scope:SCOPE_SYS
	s_wait_xcnt 0x0
	s_wait_loadcnt 0x0
	global_atomic_cmpswap_b64 v[8:9], v0, v[4:7], s[2:3] offset:24 th:TH_ATOMIC_RETURN scope:SCOPE_SYS
	s_wait_loadcnt 0x0
	global_inv scope:SCOPE_SYS
	s_wait_xcnt 0x0
	v_cmpx_ne_u64_e64 v[8:9], v[6:7]
	s_cbranch_execz .LBB0_91
; %bb.88:
	s_mov_b32 s5, 0
.LBB0_89:                               ; =>This Inner Loop Header: Depth=1
	s_sleep 1
	s_clause 0x1
	global_load_b64 v[4:5], v0, s[2:3] offset:40
	global_load_b64 v[10:11], v0, s[2:3]
	v_mov_b64_e32 v[6:7], v[8:9]
	s_wait_loadcnt 0x1
	s_delay_alu instid0(VALU_DEP_1) | instskip(SKIP_1) | instid1(VALU_DEP_1)
	v_and_b32_e32 v2, v4, v6
	s_wait_loadcnt 0x0
	v_mad_nc_u64_u32 v[8:9], v2, 24, v[10:11]
	s_delay_alu instid0(VALU_DEP_3) | instskip(NEXT) | instid1(VALU_DEP_1)
	v_and_b32_e32 v2, v5, v7
	v_mad_u32 v9, v2, 24, v9
	global_load_b64 v[4:5], v[8:9], off scope:SCOPE_SYS
	s_wait_xcnt 0x0
	s_wait_loadcnt 0x0
	global_atomic_cmpswap_b64 v[8:9], v0, v[4:7], s[2:3] offset:24 th:TH_ATOMIC_RETURN scope:SCOPE_SYS
	s_wait_loadcnt 0x0
	global_inv scope:SCOPE_SYS
	v_cmp_eq_u64_e32 vcc_lo, v[8:9], v[6:7]
	s_or_b32 s5, vcc_lo, s5
	s_wait_xcnt 0x0
	s_and_not1_b32 exec_lo, exec_lo, s5
	s_cbranch_execnz .LBB0_89
; %bb.90:
	s_or_b32 exec_lo, exec_lo, s5
.LBB0_91:
	s_delay_alu instid0(SALU_CYCLE_1)
	s_or_b32 exec_lo, exec_lo, s4
.LBB0_92:
	s_delay_alu instid0(SALU_CYCLE_1)
	s_or_b32 exec_lo, exec_lo, s1
	v_readfirstlane_b32 s4, v8
	v_mov_b32_e32 v2, 0
	v_readfirstlane_b32 s5, v9
	s_mov_b32 s1, exec_lo
	s_wait_loadcnt 0x0
	s_wait_kmcnt 0x0
	s_clause 0x1
	global_load_b64 v[10:11], v2, s[2:3] offset:40
	global_load_b128 v[4:7], v2, s[2:3]
	s_wait_loadcnt 0x1
	v_and_b32_e32 v10, s4, v10
	v_and_b32_e32 v11, s5, v11
	s_delay_alu instid0(VALU_DEP_1) | instskip(SKIP_1) | instid1(VALU_DEP_1)
	v_mul_u64_e32 v[8:9], 24, v[10:11]
	s_wait_loadcnt 0x0
	v_add_nc_u64_e32 v[8:9], v[4:5], v[8:9]
	s_wait_xcnt 0x0
	s_and_saveexec_b32 s6, s0
	s_cbranch_execz .LBB0_94
; %bb.93:
	v_mov_b64_e32 v[14:15], 0x100000002
	v_dual_mov_b32 v12, s1 :: v_dual_mov_b32 v13, v2
	global_store_b128 v[8:9], v[12:15], off offset:8
.LBB0_94:
	s_wait_xcnt 0x0
	s_or_b32 exec_lo, exec_lo, s6
	v_lshlrev_b64_e32 v[10:11], 12, v[10:11]
	s_mov_b32 s8, 0
	v_and_or_b32 v0, 0xffffff1f, v3, 32
	s_mov_b32 s10, s8
	s_mov_b32 s11, s8
	;; [unrolled: 1-line block ×3, first 2 shown]
	v_dual_mov_b32 v3, v2 :: v_dual_lshlrev_b32 v14, 6, v30
	v_add_nc_u64_e32 v[6:7], v[6:7], v[10:11]
	v_mov_b64_e32 v[12:13], s[10:11]
	v_mov_b64_e32 v[10:11], s[8:9]
	s_delay_alu instid0(VALU_DEP_3) | instskip(NEXT) | instid1(VALU_DEP_4)
	v_readfirstlane_b32 s6, v6
	v_readfirstlane_b32 s7, v7
	s_clause 0x3
	global_store_b128 v14, v[0:3], s[6:7]
	global_store_b128 v14, v[10:13], s[6:7] offset:16
	global_store_b128 v14, v[10:13], s[6:7] offset:32
	;; [unrolled: 1-line block ×3, first 2 shown]
	s_wait_xcnt 0x0
	s_and_saveexec_b32 s1, s0
	s_cbranch_execz .LBB0_102
; %bb.95:
	v_dual_mov_b32 v6, 0 :: v_dual_mov_b32 v11, s5
	s_mov_b32 s6, exec_lo
	s_clause 0x1
	global_load_b64 v[12:13], v6, s[2:3] offset:32 scope:SCOPE_SYS
	global_load_b64 v[0:1], v6, s[2:3] offset:40
	s_wait_loadcnt 0x0
	v_dual_mov_b32 v10, s4 :: v_dual_bitop2_b32 v1, s5, v1 bitop3:0x40
	v_and_b32_e32 v0, s4, v0
	s_delay_alu instid0(VALU_DEP_1) | instskip(NEXT) | instid1(VALU_DEP_1)
	v_mul_u64_e32 v[0:1], 24, v[0:1]
	v_add_nc_u64_e32 v[4:5], v[4:5], v[0:1]
	global_store_b64 v[4:5], v[12:13], off
	global_wb scope:SCOPE_SYS
	s_wait_storecnt 0x0
	s_wait_xcnt 0x0
	global_atomic_cmpswap_b64 v[2:3], v6, v[10:13], s[2:3] offset:32 th:TH_ATOMIC_RETURN scope:SCOPE_SYS
	s_wait_loadcnt 0x0
	v_cmpx_ne_u64_e64 v[2:3], v[12:13]
	s_cbranch_execz .LBB0_98
; %bb.96:
	s_mov_b32 s7, 0
.LBB0_97:                               ; =>This Inner Loop Header: Depth=1
	v_dual_mov_b32 v0, s4 :: v_dual_mov_b32 v1, s5
	s_sleep 1
	global_store_b64 v[4:5], v[2:3], off
	global_wb scope:SCOPE_SYS
	s_wait_storecnt 0x0
	s_wait_xcnt 0x0
	global_atomic_cmpswap_b64 v[0:1], v6, v[0:3], s[2:3] offset:32 th:TH_ATOMIC_RETURN scope:SCOPE_SYS
	s_wait_loadcnt 0x0
	v_cmp_eq_u64_e32 vcc_lo, v[0:1], v[2:3]
	v_mov_b64_e32 v[2:3], v[0:1]
	s_or_b32 s7, vcc_lo, s7
	s_delay_alu instid0(SALU_CYCLE_1)
	s_and_not1_b32 exec_lo, exec_lo, s7
	s_cbranch_execnz .LBB0_97
.LBB0_98:
	s_or_b32 exec_lo, exec_lo, s6
	v_mov_b32_e32 v3, 0
	s_mov_b32 s7, exec_lo
	s_mov_b32 s6, exec_lo
	v_mbcnt_lo_u32_b32 v2, s7, 0
	global_load_b64 v[0:1], v3, s[2:3] offset:16
	s_wait_xcnt 0x0
	v_cmpx_eq_u32_e32 0, v2
	s_cbranch_execz .LBB0_100
; %bb.99:
	s_bcnt1_i32_b32 s7, s7
	s_delay_alu instid0(SALU_CYCLE_1)
	v_mov_b32_e32 v2, s7
	global_wb scope:SCOPE_SYS
	s_wait_loadcnt 0x0
	s_wait_storecnt 0x0
	global_atomic_add_u64 v[0:1], v[2:3], off offset:8 scope:SCOPE_SYS
.LBB0_100:
	s_wait_xcnt 0x0
	s_or_b32 exec_lo, exec_lo, s6
	s_wait_loadcnt 0x0
	global_load_b64 v[2:3], v[0:1], off offset:16
	s_wait_loadcnt 0x0
	v_cmp_eq_u64_e32 vcc_lo, 0, v[2:3]
	s_cbranch_vccnz .LBB0_102
; %bb.101:
	global_load_b32 v0, v[0:1], off offset:24
	s_wait_xcnt 0x0
	v_mov_b32_e32 v1, 0
	s_wait_loadcnt 0x0
	v_readfirstlane_b32 s6, v0
	global_wb scope:SCOPE_SYS
	s_wait_storecnt 0x0
	global_store_b64 v[2:3], v[0:1], off scope:SCOPE_SYS
	s_and_b32 m0, s6, 0xffffff
	s_sendmsg sendmsg(MSG_INTERRUPT)
.LBB0_102:
	s_wait_xcnt 0x0
	s_or_b32 exec_lo, exec_lo, s1
	s_branch .LBB0_106
.LBB0_103:                              ;   in Loop: Header=BB0_106 Depth=1
	s_wait_xcnt 0x0
	s_or_b32 exec_lo, exec_lo, s1
	s_delay_alu instid0(VALU_DEP_1)
	v_readfirstlane_b32 s1, v0
	s_cmp_eq_u32 s1, 0
	s_cbranch_scc1 .LBB0_105
; %bb.104:                              ;   in Loop: Header=BB0_106 Depth=1
	s_sleep 1
	s_cbranch_execnz .LBB0_106
	s_branch .LBB0_108
.LBB0_105:
	s_branch .LBB0_108
.LBB0_106:                              ; =>This Inner Loop Header: Depth=1
	v_mov_b32_e32 v0, 1
	s_and_saveexec_b32 s1, s0
	s_cbranch_execz .LBB0_103
; %bb.107:                              ;   in Loop: Header=BB0_106 Depth=1
	global_load_b32 v0, v[8:9], off offset:20 scope:SCOPE_SYS
	s_wait_loadcnt 0x0
	global_inv scope:SCOPE_SYS
	v_and_b32_e32 v0, 1, v0
	s_branch .LBB0_103
.LBB0_108:
	s_and_saveexec_b32 s6, s0
	s_cbranch_execz .LBB0_112
; %bb.109:
	v_mov_b32_e32 v6, 0
	s_clause 0x2
	global_load_b64 v[0:1], v6, s[2:3] offset:40
	global_load_b64 v[10:11], v6, s[2:3] offset:24 scope:SCOPE_SYS
	global_load_b64 v[2:3], v6, s[2:3]
	s_wait_loadcnt 0x2
	v_readfirstlane_b32 s8, v0
	v_readfirstlane_b32 s9, v1
	s_add_nc_u64 s[0:1], s[8:9], 1
	s_delay_alu instid0(SALU_CYCLE_1) | instskip(NEXT) | instid1(SALU_CYCLE_1)
	s_add_nc_u64 s[4:5], s[0:1], s[4:5]
	s_cmp_eq_u64 s[4:5], 0
	s_cselect_b32 s1, s1, s5
	s_cselect_b32 s0, s0, s4
	v_mov_b32_e32 v9, s1
	s_and_b64 s[4:5], s[0:1], s[8:9]
	v_mov_b32_e32 v8, s0
	s_mul_u64 s[4:5], s[4:5], 24
	s_wait_loadcnt 0x0
	v_add_nc_u64_e32 v[4:5], s[4:5], v[2:3]
	global_store_b64 v[4:5], v[10:11], off
	global_wb scope:SCOPE_SYS
	s_wait_storecnt 0x0
	s_wait_xcnt 0x0
	global_atomic_cmpswap_b64 v[2:3], v6, v[8:11], s[2:3] offset:24 th:TH_ATOMIC_RETURN scope:SCOPE_SYS
	s_wait_loadcnt 0x0
	v_cmp_ne_u64_e32 vcc_lo, v[2:3], v[10:11]
	s_and_b32 exec_lo, exec_lo, vcc_lo
	s_cbranch_execz .LBB0_112
; %bb.110:
	s_mov_b32 s4, 0
.LBB0_111:                              ; =>This Inner Loop Header: Depth=1
	v_dual_mov_b32 v0, s0 :: v_dual_mov_b32 v1, s1
	s_sleep 1
	global_store_b64 v[4:5], v[2:3], off
	global_wb scope:SCOPE_SYS
	s_wait_storecnt 0x0
	s_wait_xcnt 0x0
	global_atomic_cmpswap_b64 v[0:1], v6, v[0:3], s[2:3] offset:24 th:TH_ATOMIC_RETURN scope:SCOPE_SYS
	s_wait_loadcnt 0x0
	v_cmp_eq_u64_e32 vcc_lo, v[0:1], v[2:3]
	v_mov_b64_e32 v[2:3], v[0:1]
	s_or_b32 s4, vcc_lo, s4
	s_delay_alu instid0(SALU_CYCLE_1)
	s_and_not1_b32 exec_lo, exec_lo, s4
	s_cbranch_execnz .LBB0_111
.LBB0_112:
	s_or_b32 exec_lo, exec_lo, s6
	s_wait_loadcnt 0x0
	s_wait_kmcnt 0x0
	s_set_pc_i64 s[30:31]
.LBB0_113:
	s_cbranch_execnz .LBB0_86
.LBB0_114:
	s_wait_loadcnt 0x0
	s_wait_kmcnt 0x0
	s_set_pc_i64 s[30:31]
.Lfunc_end0:
	.size	__ockl_fprintf_append_string_n, .Lfunc_end0-__ockl_fprintf_append_string_n
                                        ; -- End function
	.set .L__ockl_fprintf_append_string_n.num_vgpr, 40
	.set .L__ockl_fprintf_append_string_n.num_agpr, 0
	.set .L__ockl_fprintf_append_string_n.numbered_sgpr, 32
	.set .L__ockl_fprintf_append_string_n.num_named_barrier, 0
	.set .L__ockl_fprintf_append_string_n.private_seg_size, 0
	.set .L__ockl_fprintf_append_string_n.uses_vcc, 1
	.set .L__ockl_fprintf_append_string_n.uses_flat_scratch, 0
	.set .L__ockl_fprintf_append_string_n.has_dyn_sized_stack, 0
	.set .L__ockl_fprintf_append_string_n.has_recursion, 0
	.set .L__ockl_fprintf_append_string_n.has_indirect_call, 0
	.section	.AMDGPU.csdata,"",@progbits
; Function info:
; codeLenInByte = 4324
; TotalNumSgprs: 34
; NumVgprs: 40
; ScratchSize: 0
; MemoryBound: 0
	.text
	.p2align	2                               ; -- Begin function __assert_fail
	.type	__assert_fail,@function
__assert_fail:                          ; @__assert_fail
; %bb.0:
	s_wait_loadcnt_dscnt 0x0
	s_wait_kmcnt 0x0
	s_mov_b32 s20, s33
	s_mov_b32 s33, s32
	s_or_saveexec_b32 s0, -1
	scratch_store_b32 off, v40, s33 offset:48 ; 4-byte Folded Spill
	s_wait_xcnt 0x0
	s_mov_b32 exec_lo, s0
	v_writelane_b32 v40, s30, 0
	s_add_co_i32 s32, s32, 64
	v_writelane_b32 v40, s31, 1
	v_mov_b32_e32 v8, 0
	s_get_pc_i64 s[0:1]
	s_add_nc_u64 s[0:1], s[0:1], __const.__assert_fail.fmt@rel64+35
	v_dual_mov_b32 v5, v1 :: v_dual_mov_b32 v4, v0
	s_get_pc_i64 s[10:11]
	s_add_nc_u64 s[10:11], s[10:11], __const.__assert_fail.fmt@rel64+20
	global_load_b128 v[0:3], v8, s[0:1]
	s_wait_xcnt 0x0
	s_get_pc_i64 s[0:1]
	s_add_nc_u64 s[0:1], s[0:1], __const.__assert_fail.fmt@rel64+4
	s_clause 0x1
	s_load_b128 s[4:7], s[0:1], 0x0
	s_load_b128 s[12:15], s[10:11], 0x0
	s_load_b64 s[2:3], s[8:9], 0x50
	v_mbcnt_lo_u32_b32 v48, -1, 0
	v_mov_b64_e32 v[6:7], 0
	s_wait_xcnt 0x0
	s_delay_alu instid0(VALU_DEP_2) | instskip(NEXT) | instid1(VALU_DEP_1)
	v_readfirstlane_b32 s0, v48
	v_cmp_eq_u32_e64 s0, s0, v48
	s_wait_kmcnt 0x0
	v_mov_b64_e32 v[12:13], s[6:7]
	v_mov_b64_e32 v[10:11], s[4:5]
	;; [unrolled: 1-line block ×4, first 2 shown]
	s_clause 0x1
	scratch_store_b128 off, v[10:13], s33
	scratch_store_b128 off, v[14:17], s33 offset:16
	s_wait_loadcnt 0x0
	scratch_store_b128 off, v[0:3], s33 offset:31
	s_wait_xcnt 0x0
	s_and_saveexec_b32 s1, s0
	s_cbranch_execz .LBB1_6
; %bb.1:
	global_load_b64 v[2:3], v8, s[2:3] offset:24 scope:SCOPE_SYS
	s_wait_loadcnt 0x0
	global_inv scope:SCOPE_SYS
	s_clause 0x1
	global_load_b64 v[0:1], v8, s[2:3] offset:40
	global_load_b64 v[6:7], v8, s[2:3]
	s_mov_b32 s4, exec_lo
	s_wait_loadcnt 0x1
	v_and_b32_e32 v0, v0, v2
	v_and_b32_e32 v1, v1, v3
	s_delay_alu instid0(VALU_DEP_1) | instskip(SKIP_1) | instid1(VALU_DEP_1)
	v_mul_u64_e32 v[0:1], 24, v[0:1]
	s_wait_loadcnt 0x0
	v_add_nc_u64_e32 v[0:1], v[6:7], v[0:1]
	global_load_b64 v[0:1], v[0:1], off scope:SCOPE_SYS
	s_wait_xcnt 0x0
	s_wait_loadcnt 0x0
	global_atomic_cmpswap_b64 v[6:7], v8, v[0:3], s[2:3] offset:24 th:TH_ATOMIC_RETURN scope:SCOPE_SYS
	s_wait_loadcnt 0x0
	global_inv scope:SCOPE_SYS
	s_wait_xcnt 0x0
	v_cmpx_ne_u64_e64 v[6:7], v[2:3]
	s_cbranch_execz .LBB1_5
; %bb.2:
	v_mov_b32_e32 v0, 0
	s_mov_b32 s5, 0
.LBB1_3:                                ; =>This Inner Loop Header: Depth=1
	s_sleep 1
	s_clause 0x1
	global_load_b64 v[2:3], v0, s[2:3] offset:40
	global_load_b64 v[10:11], v0, s[2:3]
	v_mov_b64_e32 v[12:13], v[6:7]
	s_wait_loadcnt 0x1
	s_delay_alu instid0(VALU_DEP_1) | instskip(SKIP_1) | instid1(VALU_DEP_1)
	v_and_b32_e32 v1, v2, v12
	s_wait_loadcnt 0x0
	v_mad_nc_u64_u32 v[6:7], v1, 24, v[10:11]
	s_delay_alu instid0(VALU_DEP_3) | instskip(NEXT) | instid1(VALU_DEP_1)
	v_and_b32_e32 v1, v3, v13
	v_mad_u32 v7, v1, 24, v7
	global_load_b64 v[10:11], v[6:7], off scope:SCOPE_SYS
	s_wait_xcnt 0x0
	s_wait_loadcnt 0x0
	global_atomic_cmpswap_b64 v[6:7], v0, v[10:13], s[2:3] offset:24 th:TH_ATOMIC_RETURN scope:SCOPE_SYS
	s_wait_loadcnt 0x0
	global_inv scope:SCOPE_SYS
	v_cmp_eq_u64_e32 vcc_lo, v[6:7], v[12:13]
	s_or_b32 s5, vcc_lo, s5
	s_wait_xcnt 0x0
	s_and_not1_b32 exec_lo, exec_lo, s5
	s_cbranch_execnz .LBB1_3
; %bb.4:
	s_or_b32 exec_lo, exec_lo, s5
.LBB1_5:
	s_delay_alu instid0(SALU_CYCLE_1)
	s_or_b32 exec_lo, exec_lo, s4
.LBB1_6:
	s_delay_alu instid0(SALU_CYCLE_1)
	s_or_b32 exec_lo, exec_lo, s1
	s_clause 0x1
	global_load_b64 v[10:11], v8, s[2:3] offset:40
	global_load_b128 v[0:3], v8, s[2:3]
	v_readfirstlane_b32 s4, v6
	v_readfirstlane_b32 s5, v7
	s_mov_b32 s1, exec_lo
	s_wait_loadcnt 0x1
	s_wait_xcnt 0x0
	v_and_b32_e32 v8, s4, v10
	v_and_b32_e32 v9, s5, v11
	s_delay_alu instid0(VALU_DEP_1) | instskip(SKIP_1) | instid1(VALU_DEP_1)
	v_mul_u64_e32 v[6:7], 24, v[8:9]
	s_wait_loadcnt 0x0
	v_add_nc_u64_e32 v[6:7], v[0:1], v[6:7]
	s_and_saveexec_b32 s6, s0
	s_cbranch_execz .LBB1_8
; %bb.7:
	v_mov_b64_e32 v[12:13], 0x100000002
	v_dual_mov_b32 v10, s1 :: v_dual_mov_b32 v11, 0
	global_store_b128 v[6:7], v[10:13], off offset:8
.LBB1_8:
	s_wait_xcnt 0x0
	s_or_b32 exec_lo, exec_lo, s6
	v_lshlrev_b64_e32 v[8:9], 12, v[8:9]
	s_mov_b32 s12, 0
	v_dual_mov_b32 v31, 0 :: v_dual_lshlrev_b32 v30, 6, v48
	s_mov_b32 s14, s12
	s_mov_b32 s15, s12
	;; [unrolled: 1-line block ×3, first 2 shown]
	s_delay_alu instid0(VALU_DEP_2)
	v_add_nc_u64_e32 v[8:9], v[2:3], v[8:9]
	v_mov_b64_e32 v[16:17], s[14:15]
	v_mov_b64_e32 v[14:15], s[12:13]
	v_dual_mov_b32 v10, 33 :: v_dual_mov_b32 v12, 1
	v_dual_mov_b32 v11, v31 :: v_dual_mov_b32 v13, v31
	v_readfirstlane_b32 s6, v8
	v_readfirstlane_b32 s7, v9
	s_clause 0x3
	global_store_b128 v30, v[10:13], s[6:7]
	global_store_b128 v30, v[14:17], s[6:7] offset:16
	global_store_b128 v30, v[14:17], s[6:7] offset:32
	;; [unrolled: 1-line block ×3, first 2 shown]
	s_wait_xcnt 0x0
	s_and_saveexec_b32 s1, s0
	s_cbranch_execz .LBB1_16
; %bb.9:
	s_clause 0x1
	global_load_b64 v[14:15], v31, s[2:3] offset:32 scope:SCOPE_SYS
	global_load_b64 v[2:3], v31, s[2:3] offset:40
	s_mov_b32 s6, exec_lo
	v_dual_mov_b32 v12, s4 :: v_dual_mov_b32 v13, s5
	s_wait_loadcnt 0x0
	v_and_b32_e32 v3, s5, v3
	v_and_b32_e32 v2, s4, v2
	s_delay_alu instid0(VALU_DEP_1) | instskip(NEXT) | instid1(VALU_DEP_1)
	v_mul_u64_e32 v[2:3], 24, v[2:3]
	v_add_nc_u64_e32 v[10:11], v[0:1], v[2:3]
	global_store_b64 v[10:11], v[14:15], off
	global_wb scope:SCOPE_SYS
	s_wait_storecnt 0x0
	s_wait_xcnt 0x0
	global_atomic_cmpswap_b64 v[2:3], v31, v[12:15], s[2:3] offset:32 th:TH_ATOMIC_RETURN scope:SCOPE_SYS
	s_wait_loadcnt 0x0
	v_cmpx_ne_u64_e64 v[2:3], v[14:15]
	s_cbranch_execz .LBB1_12
; %bb.10:
	v_mov_b32_e32 v12, 0
	s_mov_b32 s7, 0
.LBB1_11:                               ; =>This Inner Loop Header: Depth=1
	v_dual_mov_b32 v0, s4 :: v_dual_mov_b32 v1, s5
	s_sleep 1
	global_store_b64 v[10:11], v[2:3], off
	global_wb scope:SCOPE_SYS
	s_wait_storecnt 0x0
	s_wait_xcnt 0x0
	global_atomic_cmpswap_b64 v[0:1], v12, v[0:3], s[2:3] offset:32 th:TH_ATOMIC_RETURN scope:SCOPE_SYS
	s_wait_loadcnt 0x0
	v_cmp_eq_u64_e32 vcc_lo, v[0:1], v[2:3]
	v_mov_b64_e32 v[2:3], v[0:1]
	s_or_b32 s7, vcc_lo, s7
	s_delay_alu instid0(SALU_CYCLE_1)
	s_and_not1_b32 exec_lo, exec_lo, s7
	s_cbranch_execnz .LBB1_11
.LBB1_12:
	s_or_b32 exec_lo, exec_lo, s6
	v_mov_b32_e32 v3, 0
	s_mov_b32 s7, exec_lo
	s_mov_b32 s6, exec_lo
	v_mbcnt_lo_u32_b32 v2, s7, 0
	global_load_b64 v[0:1], v3, s[2:3] offset:16
	s_wait_xcnt 0x0
	v_cmpx_eq_u32_e32 0, v2
	s_cbranch_execz .LBB1_14
; %bb.13:
	s_bcnt1_i32_b32 s7, s7
	s_delay_alu instid0(SALU_CYCLE_1)
	v_mov_b32_e32 v2, s7
	global_wb scope:SCOPE_SYS
	s_wait_loadcnt 0x0
	s_wait_storecnt 0x0
	global_atomic_add_u64 v[0:1], v[2:3], off offset:8 scope:SCOPE_SYS
.LBB1_14:
	s_wait_xcnt 0x0
	s_or_b32 exec_lo, exec_lo, s6
	s_wait_loadcnt 0x0
	global_load_b64 v[2:3], v[0:1], off offset:16
	s_wait_loadcnt 0x0
	v_cmp_eq_u64_e32 vcc_lo, 0, v[2:3]
	s_cbranch_vccnz .LBB1_16
; %bb.15:
	global_load_b32 v0, v[0:1], off offset:24
	s_wait_xcnt 0x0
	v_mov_b32_e32 v1, 0
	s_wait_loadcnt 0x0
	v_readfirstlane_b32 s6, v0
	global_wb scope:SCOPE_SYS
	s_wait_storecnt 0x0
	global_store_b64 v[2:3], v[0:1], off scope:SCOPE_SYS
	s_and_b32 m0, s6, 0xffffff
	s_sendmsg sendmsg(MSG_INTERRUPT)
.LBB1_16:
	s_wait_xcnt 0x0
	s_or_b32 exec_lo, exec_lo, s1
	v_add_nc_u64_e32 v[0:1], v[8:9], v[30:31]
	s_branch .LBB1_20
.LBB1_17:                               ;   in Loop: Header=BB1_20 Depth=1
	s_wait_xcnt 0x0
	s_or_b32 exec_lo, exec_lo, s1
	s_delay_alu instid0(VALU_DEP_1)
	v_readfirstlane_b32 s1, v2
	s_cmp_eq_u32 s1, 0
	s_cbranch_scc1 .LBB1_19
; %bb.18:                               ;   in Loop: Header=BB1_20 Depth=1
	s_sleep 1
	s_cbranch_execnz .LBB1_20
	s_branch .LBB1_22
.LBB1_19:
	s_branch .LBB1_22
.LBB1_20:                               ; =>This Inner Loop Header: Depth=1
	v_mov_b32_e32 v2, 1
	s_and_saveexec_b32 s1, s0
	s_cbranch_execz .LBB1_17
; %bb.21:                               ;   in Loop: Header=BB1_20 Depth=1
	global_load_b32 v2, v[6:7], off offset:20 scope:SCOPE_SYS
	s_wait_loadcnt 0x0
	global_inv scope:SCOPE_SYS
	v_and_b32_e32 v2, 1, v2
	s_branch .LBB1_17
.LBB1_22:
	global_load_b64 v[6:7], v[0:1], off
	s_wait_xcnt 0x0
	s_and_saveexec_b32 s6, s0
	s_cbranch_execz .LBB1_26
; %bb.23:
	v_mov_b32_e32 v10, 0
	s_clause 0x2
	global_load_b64 v[0:1], v10, s[2:3] offset:40
	global_load_b64 v[14:15], v10, s[2:3] offset:24 scope:SCOPE_SYS
	global_load_b64 v[2:3], v10, s[2:3]
	s_wait_loadcnt 0x2
	v_readfirstlane_b32 s10, v0
	v_readfirstlane_b32 s11, v1
	s_add_nc_u64 s[0:1], s[10:11], 1
	s_delay_alu instid0(SALU_CYCLE_1) | instskip(NEXT) | instid1(SALU_CYCLE_1)
	s_add_nc_u64 s[4:5], s[0:1], s[4:5]
	s_cmp_eq_u64 s[4:5], 0
	s_cselect_b32 s1, s1, s5
	s_cselect_b32 s0, s0, s4
	v_mov_b32_e32 v13, s1
	s_and_b64 s[4:5], s[0:1], s[10:11]
	v_mov_b32_e32 v12, s0
	s_mul_u64 s[4:5], s[4:5], 24
	s_wait_loadcnt 0x0
	v_add_nc_u64_e32 v[8:9], s[4:5], v[2:3]
	global_store_b64 v[8:9], v[14:15], off
	global_wb scope:SCOPE_SYS
	s_wait_storecnt 0x0
	s_wait_xcnt 0x0
	global_atomic_cmpswap_b64 v[2:3], v10, v[12:15], s[2:3] offset:24 th:TH_ATOMIC_RETURN scope:SCOPE_SYS
	s_wait_loadcnt 0x0
	v_cmp_ne_u64_e32 vcc_lo, v[2:3], v[14:15]
	s_and_b32 exec_lo, exec_lo, vcc_lo
	s_cbranch_execz .LBB1_26
; %bb.24:
	s_mov_b32 s4, 0
.LBB1_25:                               ; =>This Inner Loop Header: Depth=1
	v_dual_mov_b32 v0, s0 :: v_dual_mov_b32 v1, s1
	s_sleep 1
	global_store_b64 v[8:9], v[2:3], off
	global_wb scope:SCOPE_SYS
	s_wait_storecnt 0x0
	s_wait_xcnt 0x0
	global_atomic_cmpswap_b64 v[0:1], v10, v[0:3], s[2:3] offset:24 th:TH_ATOMIC_RETURN scope:SCOPE_SYS
	s_wait_loadcnt 0x0
	v_cmp_eq_u64_e32 vcc_lo, v[0:1], v[2:3]
	v_mov_b64_e32 v[2:3], v[0:1]
	s_or_b32 s4, vcc_lo, s4
	s_delay_alu instid0(SALU_CYCLE_1)
	s_and_not1_b32 exec_lo, exec_lo, s4
	s_cbranch_execnz .LBB1_25
.LBB1_26:
	s_or_b32 exec_lo, exec_lo, s6
	s_mov_b32 s1, s33
	s_mov_b32 s0, 0
.LBB1_27:                               ; =>This Inner Loop Header: Depth=1
	scratch_load_u8 v0, off, s1
	s_wait_xcnt 0x0
	s_add_co_i32 s1, s1, 1
	s_wait_loadcnt 0x0
	v_cmp_eq_u16_e32 vcc_lo, 0, v0
	v_mov_b32_e32 v0, s1
	s_or_b32 s0, vcc_lo, s0
	s_delay_alu instid0(SALU_CYCLE_1)
	s_and_not1_b32 exec_lo, exec_lo, s0
	s_cbranch_execnz .LBB1_27
; %bb.28:
	s_or_b32 exec_lo, exec_lo, s0
	s_cmp_lg_u32 s33, -1
	s_cbranch_scc0 .LBB1_113
; %bb.29:
	s_mov_b64 s[0:1], src_flat_scratch_base_lo
	v_mov_b64_e32 v[10:11], 0x100000002
	v_dual_add_nc_u32 v0, s0, v0 :: v_dual_bitop2_b32 v28, 2, v6 bitop3:0x40
	s_add_co_i32 s0, s33, s0
	v_dual_mov_b32 v31, 0 :: v_dual_mov_b32 v29, s33
	s_delay_alu instid0(VALU_DEP_2) | instskip(SKIP_3) | instid1(VALU_DEP_2)
	v_subrev_nc_u32_e32 v32, s0, v0
	v_dual_mov_b32 v1, v7 :: v_dual_bitop2_b32 v0, -3, v6 bitop3:0x40
	s_mov_b32 s7, 0
	s_mov_b32 s6, 0
	v_ashrrev_i32_e32 v33, 31, v32
	s_branch .LBB1_31
.LBB1_30:                               ;   in Loop: Header=BB1_31 Depth=1
	s_or_b32 exec_lo, exec_lo, s10
	v_sub_nc_u64_e32 v[32:33], v[32:33], v[34:35]
	v_add_nc_u32_e32 v29, v29, v34
	s_delay_alu instid0(VALU_DEP_2) | instskip(SKIP_1) | instid1(SALU_CYCLE_1)
	v_cmp_eq_u64_e32 vcc_lo, 0, v[32:33]
	s_or_b32 s6, vcc_lo, s6
	s_and_not1_b32 exec_lo, exec_lo, s6
	s_cbranch_execz .LBB1_192
.LBB1_31:                               ; =>This Loop Header: Depth=1
                                        ;     Child Loop BB1_34 Depth 2
                                        ;     Child Loop BB1_42 Depth 2
	;; [unrolled: 1-line block ×11, first 2 shown]
	s_delay_alu instid0(VALU_DEP_1)
	v_min_u64 v[34:35], v[32:33], 56
	v_add_nc_u32_e32 v9, 8, v29
	s_mov_b32 s0, exec_lo
	v_cmpx_gt_u64_e32 8, v[32:33]
	s_xor_b32 s4, exec_lo, s0
	s_cbranch_execz .LBB1_37
; %bb.32:                               ;   in Loop: Header=BB1_31 Depth=1
	v_mov_b64_e32 v[2:3], 0
	s_mov_b32 s5, exec_lo
	v_cmpx_ne_u64_e32 0, v[32:33]
	s_cbranch_execz .LBB1_36
; %bb.33:                               ;   in Loop: Header=BB1_31 Depth=1
	v_mov_b64_e32 v[2:3], 0
	v_dual_mov_b32 v9, v29 :: v_dual_lshlrev_b32 v8, 3, v34
	s_mov_b64 s[0:1], 0
	s_mov_b32 s10, 0
.LBB1_34:                               ;   Parent Loop BB1_31 Depth=1
                                        ; =>  This Inner Loop Header: Depth=2
	scratch_load_u8 v12, v9, off
	s_wait_xcnt 0x0
	v_dual_mov_b32 v13, s7 :: v_dual_add_nc_u32 v9, 1, v9
	s_wait_loadcnt 0x0
	v_and_b32_e32 v12, 0xffff, v12
	s_delay_alu instid0(VALU_DEP_1) | instskip(SKIP_1) | instid1(SALU_CYCLE_1)
	v_lshlrev_b64_e32 v[12:13], s0, v[12:13]
	s_add_nc_u64 s[0:1], s[0:1], 8
	v_cmp_eq_u32_e32 vcc_lo, s0, v8
	s_delay_alu instid0(VALU_DEP_2) | instskip(NEXT) | instid1(VALU_DEP_3)
	v_or_b32_e32 v3, v13, v3
	v_or_b32_e32 v2, v12, v2
	s_or_b32 s10, vcc_lo, s10
	s_delay_alu instid0(SALU_CYCLE_1)
	s_and_not1_b32 exec_lo, exec_lo, s10
	s_cbranch_execnz .LBB1_34
; %bb.35:                               ;   in Loop: Header=BB1_31 Depth=1
	s_or_b32 exec_lo, exec_lo, s10
.LBB1_36:                               ;   in Loop: Header=BB1_31 Depth=1
	s_delay_alu instid0(SALU_CYCLE_1)
	s_or_b32 exec_lo, exec_lo, s5
	v_mov_b32_e32 v9, v29
.LBB1_37:                               ;   in Loop: Header=BB1_31 Depth=1
	s_or_saveexec_b32 s0, s4
	v_mov_b32_e32 v14, 0
	s_xor_b32 exec_lo, exec_lo, s0
	s_cbranch_execz .LBB1_39
; %bb.38:                               ;   in Loop: Header=BB1_31 Depth=1
	scratch_load_b64 v[2:3], v29, off
	v_add_nc_u32_e32 v14, -8, v34
.LBB1_39:                               ;   in Loop: Header=BB1_31 Depth=1
	s_wait_xcnt 0x0
	s_or_b32 exec_lo, exec_lo, s0
	v_add_nc_u32_e32 v8, 8, v9
                                        ; implicit-def: $vgpr12_vgpr13
	s_mov_b32 s0, exec_lo
	v_cmpx_gt_u32_e32 8, v14
	s_xor_b32 s4, exec_lo, s0
	s_cbranch_execz .LBB1_45
; %bb.40:                               ;   in Loop: Header=BB1_31 Depth=1
	v_mov_b64_e32 v[12:13], 0
	s_mov_b32 s5, exec_lo
	v_cmpx_ne_u32_e32 0, v14
	s_cbranch_execz .LBB1_44
; %bb.41:                               ;   in Loop: Header=BB1_31 Depth=1
	v_mov_b64_e32 v[12:13], 0
	s_mov_b64 s[0:1], 0
	s_mov_b32 s10, 0
	s_mov_b32 s11, 0
.LBB1_42:                               ;   Parent Loop BB1_31 Depth=1
                                        ; =>  This Inner Loop Header: Depth=2
	scratch_load_u8 v8, v9, s11
	v_mov_b32_e32 v17, s7
	s_wait_xcnt 0x0
	s_add_co_i32 s11, s11, 1
	s_delay_alu instid0(SALU_CYCLE_1) | instskip(SKIP_3) | instid1(VALU_DEP_1)
	v_cmp_eq_u32_e32 vcc_lo, s11, v14
	s_or_b32 s10, vcc_lo, s10
	s_wait_loadcnt 0x0
	v_and_b32_e32 v16, 0xffff, v8
	v_lshlrev_b64_e32 v[16:17], s0, v[16:17]
	s_add_nc_u64 s[0:1], s[0:1], 8
	s_delay_alu instid0(VALU_DEP_1) | instskip(NEXT) | instid1(VALU_DEP_2)
	v_or_b32_e32 v13, v17, v13
	v_or_b32_e32 v12, v16, v12
	s_and_not1_b32 exec_lo, exec_lo, s10
	s_cbranch_execnz .LBB1_42
; %bb.43:                               ;   in Loop: Header=BB1_31 Depth=1
	s_or_b32 exec_lo, exec_lo, s10
.LBB1_44:                               ;   in Loop: Header=BB1_31 Depth=1
	s_delay_alu instid0(SALU_CYCLE_1)
	s_or_b32 exec_lo, exec_lo, s5
	v_mov_b32_e32 v8, v9
                                        ; implicit-def: $vgpr14
.LBB1_45:                               ;   in Loop: Header=BB1_31 Depth=1
	s_or_saveexec_b32 s0, s4
	v_mov_b32_e32 v16, 0
	s_xor_b32 exec_lo, exec_lo, s0
	s_cbranch_execz .LBB1_47
; %bb.46:                               ;   in Loop: Header=BB1_31 Depth=1
	scratch_load_b64 v[12:13], v9, off
	v_add_nc_u32_e32 v16, -8, v14
.LBB1_47:                               ;   in Loop: Header=BB1_31 Depth=1
	s_wait_xcnt 0x0
	s_or_b32 exec_lo, exec_lo, s0
	v_add_nc_u32_e32 v9, 8, v8
	s_mov_b32 s0, exec_lo
	v_cmpx_gt_u32_e32 8, v16
	s_xor_b32 s4, exec_lo, s0
	s_cbranch_execz .LBB1_53
; %bb.48:                               ;   in Loop: Header=BB1_31 Depth=1
	v_mov_b64_e32 v[14:15], 0
	s_mov_b32 s5, exec_lo
	v_cmpx_ne_u32_e32 0, v16
	s_cbranch_execz .LBB1_52
; %bb.49:                               ;   in Loop: Header=BB1_31 Depth=1
	v_mov_b64_e32 v[14:15], 0
	s_mov_b64 s[0:1], 0
	s_mov_b32 s10, 0
	s_mov_b32 s11, 0
.LBB1_50:                               ;   Parent Loop BB1_31 Depth=1
                                        ; =>  This Inner Loop Header: Depth=2
	scratch_load_u8 v9, v8, s11
	v_mov_b32_e32 v19, s7
	s_wait_xcnt 0x0
	s_add_co_i32 s11, s11, 1
	s_delay_alu instid0(SALU_CYCLE_1) | instskip(SKIP_3) | instid1(VALU_DEP_1)
	v_cmp_eq_u32_e32 vcc_lo, s11, v16
	s_or_b32 s10, vcc_lo, s10
	s_wait_loadcnt 0x0
	v_and_b32_e32 v18, 0xffff, v9
	v_lshlrev_b64_e32 v[18:19], s0, v[18:19]
	s_add_nc_u64 s[0:1], s[0:1], 8
	s_delay_alu instid0(VALU_DEP_1) | instskip(NEXT) | instid1(VALU_DEP_2)
	v_or_b32_e32 v15, v19, v15
	v_or_b32_e32 v14, v18, v14
	s_and_not1_b32 exec_lo, exec_lo, s10
	s_cbranch_execnz .LBB1_50
; %bb.51:                               ;   in Loop: Header=BB1_31 Depth=1
	s_or_b32 exec_lo, exec_lo, s10
.LBB1_52:                               ;   in Loop: Header=BB1_31 Depth=1
	s_delay_alu instid0(SALU_CYCLE_1)
	s_or_b32 exec_lo, exec_lo, s5
	v_mov_b32_e32 v9, v8
                                        ; implicit-def: $vgpr16
.LBB1_53:                               ;   in Loop: Header=BB1_31 Depth=1
	s_or_saveexec_b32 s0, s4
	v_mov_b32_e32 v18, 0
	s_xor_b32 exec_lo, exec_lo, s0
	s_cbranch_execz .LBB1_55
; %bb.54:                               ;   in Loop: Header=BB1_31 Depth=1
	scratch_load_b64 v[14:15], v8, off
	v_add_nc_u32_e32 v18, -8, v16
.LBB1_55:                               ;   in Loop: Header=BB1_31 Depth=1
	s_wait_xcnt 0x0
	s_or_b32 exec_lo, exec_lo, s0
	v_add_nc_u32_e32 v8, 8, v9
                                        ; implicit-def: $vgpr16_vgpr17
	s_mov_b32 s0, exec_lo
	v_cmpx_gt_u32_e32 8, v18
	s_xor_b32 s4, exec_lo, s0
	s_cbranch_execz .LBB1_61
; %bb.56:                               ;   in Loop: Header=BB1_31 Depth=1
	v_mov_b64_e32 v[16:17], 0
	s_mov_b32 s5, exec_lo
	v_cmpx_ne_u32_e32 0, v18
	s_cbranch_execz .LBB1_60
; %bb.57:                               ;   in Loop: Header=BB1_31 Depth=1
	v_mov_b64_e32 v[16:17], 0
	s_mov_b64 s[0:1], 0
	s_mov_b32 s10, 0
	s_mov_b32 s11, 0
.LBB1_58:                               ;   Parent Loop BB1_31 Depth=1
                                        ; =>  This Inner Loop Header: Depth=2
	scratch_load_u8 v8, v9, s11
	v_mov_b32_e32 v21, s7
	s_wait_xcnt 0x0
	s_add_co_i32 s11, s11, 1
	s_delay_alu instid0(SALU_CYCLE_1) | instskip(SKIP_3) | instid1(VALU_DEP_1)
	v_cmp_eq_u32_e32 vcc_lo, s11, v18
	s_or_b32 s10, vcc_lo, s10
	s_wait_loadcnt 0x0
	v_and_b32_e32 v20, 0xffff, v8
	v_lshlrev_b64_e32 v[20:21], s0, v[20:21]
	s_add_nc_u64 s[0:1], s[0:1], 8
	s_delay_alu instid0(VALU_DEP_1) | instskip(NEXT) | instid1(VALU_DEP_2)
	v_or_b32_e32 v17, v21, v17
	v_or_b32_e32 v16, v20, v16
	s_and_not1_b32 exec_lo, exec_lo, s10
	s_cbranch_execnz .LBB1_58
; %bb.59:                               ;   in Loop: Header=BB1_31 Depth=1
	s_or_b32 exec_lo, exec_lo, s10
.LBB1_60:                               ;   in Loop: Header=BB1_31 Depth=1
	s_delay_alu instid0(SALU_CYCLE_1)
	s_or_b32 exec_lo, exec_lo, s5
	v_mov_b32_e32 v8, v9
                                        ; implicit-def: $vgpr18
.LBB1_61:                               ;   in Loop: Header=BB1_31 Depth=1
	s_or_saveexec_b32 s0, s4
	v_mov_b32_e32 v20, 0
	s_xor_b32 exec_lo, exec_lo, s0
	s_cbranch_execz .LBB1_63
; %bb.62:                               ;   in Loop: Header=BB1_31 Depth=1
	scratch_load_b64 v[16:17], v9, off
	v_add_nc_u32_e32 v20, -8, v18
.LBB1_63:                               ;   in Loop: Header=BB1_31 Depth=1
	s_wait_xcnt 0x0
	s_or_b32 exec_lo, exec_lo, s0
	v_add_nc_u32_e32 v9, 8, v8
	s_mov_b32 s0, exec_lo
	v_cmpx_gt_u32_e32 8, v20
	s_xor_b32 s4, exec_lo, s0
	s_cbranch_execz .LBB1_69
; %bb.64:                               ;   in Loop: Header=BB1_31 Depth=1
	v_mov_b64_e32 v[18:19], 0
	s_mov_b32 s5, exec_lo
	v_cmpx_ne_u32_e32 0, v20
	s_cbranch_execz .LBB1_68
; %bb.65:                               ;   in Loop: Header=BB1_31 Depth=1
	v_mov_b64_e32 v[18:19], 0
	s_mov_b64 s[0:1], 0
	s_mov_b32 s10, 0
	s_mov_b32 s11, 0
.LBB1_66:                               ;   Parent Loop BB1_31 Depth=1
                                        ; =>  This Inner Loop Header: Depth=2
	scratch_load_u8 v9, v8, s11
	v_mov_b32_e32 v23, s7
	s_wait_xcnt 0x0
	s_add_co_i32 s11, s11, 1
	s_delay_alu instid0(SALU_CYCLE_1) | instskip(SKIP_3) | instid1(VALU_DEP_1)
	v_cmp_eq_u32_e32 vcc_lo, s11, v20
	s_or_b32 s10, vcc_lo, s10
	s_wait_loadcnt 0x0
	v_and_b32_e32 v22, 0xffff, v9
	v_lshlrev_b64_e32 v[22:23], s0, v[22:23]
	s_add_nc_u64 s[0:1], s[0:1], 8
	s_delay_alu instid0(VALU_DEP_1) | instskip(NEXT) | instid1(VALU_DEP_2)
	v_or_b32_e32 v19, v23, v19
	v_or_b32_e32 v18, v22, v18
	s_and_not1_b32 exec_lo, exec_lo, s10
	s_cbranch_execnz .LBB1_66
; %bb.67:                               ;   in Loop: Header=BB1_31 Depth=1
	s_or_b32 exec_lo, exec_lo, s10
.LBB1_68:                               ;   in Loop: Header=BB1_31 Depth=1
	s_delay_alu instid0(SALU_CYCLE_1)
	s_or_b32 exec_lo, exec_lo, s5
	v_mov_b32_e32 v9, v8
                                        ; implicit-def: $vgpr20
.LBB1_69:                               ;   in Loop: Header=BB1_31 Depth=1
	s_or_saveexec_b32 s0, s4
	v_mov_b32_e32 v22, 0
	s_xor_b32 exec_lo, exec_lo, s0
	s_cbranch_execz .LBB1_71
; %bb.70:                               ;   in Loop: Header=BB1_31 Depth=1
	scratch_load_b64 v[18:19], v8, off
	v_add_nc_u32_e32 v22, -8, v20
.LBB1_71:                               ;   in Loop: Header=BB1_31 Depth=1
	s_wait_xcnt 0x0
	s_or_b32 exec_lo, exec_lo, s0
	v_add_nc_u32_e32 v8, 8, v9
                                        ; implicit-def: $vgpr20_vgpr21
	s_mov_b32 s0, exec_lo
	v_cmpx_gt_u32_e32 8, v22
	s_xor_b32 s4, exec_lo, s0
	s_cbranch_execz .LBB1_77
; %bb.72:                               ;   in Loop: Header=BB1_31 Depth=1
	v_mov_b64_e32 v[20:21], 0
	s_mov_b32 s5, exec_lo
	v_cmpx_ne_u32_e32 0, v22
	s_cbranch_execz .LBB1_76
; %bb.73:                               ;   in Loop: Header=BB1_31 Depth=1
	v_mov_b64_e32 v[20:21], 0
	s_mov_b64 s[0:1], 0
	s_mov_b32 s10, 0
	s_mov_b32 s11, 0
.LBB1_74:                               ;   Parent Loop BB1_31 Depth=1
                                        ; =>  This Inner Loop Header: Depth=2
	scratch_load_u8 v8, v9, s11
	v_mov_b32_e32 v25, s7
	s_wait_xcnt 0x0
	s_add_co_i32 s11, s11, 1
	s_delay_alu instid0(SALU_CYCLE_1) | instskip(SKIP_3) | instid1(VALU_DEP_1)
	v_cmp_eq_u32_e32 vcc_lo, s11, v22
	s_or_b32 s10, vcc_lo, s10
	s_wait_loadcnt 0x0
	v_and_b32_e32 v24, 0xffff, v8
	v_lshlrev_b64_e32 v[24:25], s0, v[24:25]
	s_add_nc_u64 s[0:1], s[0:1], 8
	s_delay_alu instid0(VALU_DEP_1) | instskip(NEXT) | instid1(VALU_DEP_2)
	v_or_b32_e32 v21, v25, v21
	v_or_b32_e32 v20, v24, v20
	s_and_not1_b32 exec_lo, exec_lo, s10
	s_cbranch_execnz .LBB1_74
; %bb.75:                               ;   in Loop: Header=BB1_31 Depth=1
	s_or_b32 exec_lo, exec_lo, s10
.LBB1_76:                               ;   in Loop: Header=BB1_31 Depth=1
	s_delay_alu instid0(SALU_CYCLE_1)
	s_or_b32 exec_lo, exec_lo, s5
	v_mov_b32_e32 v8, v9
                                        ; implicit-def: $vgpr22
.LBB1_77:                               ;   in Loop: Header=BB1_31 Depth=1
	s_or_saveexec_b32 s0, s4
	v_mov_b32_e32 v24, 0
	s_xor_b32 exec_lo, exec_lo, s0
	s_cbranch_execz .LBB1_79
; %bb.78:                               ;   in Loop: Header=BB1_31 Depth=1
	scratch_load_b64 v[20:21], v9, off
	v_add_nc_u32_e32 v24, -8, v22
.LBB1_79:                               ;   in Loop: Header=BB1_31 Depth=1
	s_wait_xcnt 0x0
	s_or_b32 exec_lo, exec_lo, s0
	s_delay_alu instid0(SALU_CYCLE_1) | instskip(NEXT) | instid1(VALU_DEP_1)
	s_mov_b32 s0, exec_lo
	v_cmpx_gt_u32_e32 8, v24
	s_xor_b32 s4, exec_lo, s0
	s_cbranch_execz .LBB1_85
; %bb.80:                               ;   in Loop: Header=BB1_31 Depth=1
	v_mov_b64_e32 v[22:23], 0
	s_mov_b32 s5, exec_lo
	v_cmpx_ne_u32_e32 0, v24
	s_cbranch_execz .LBB1_84
; %bb.81:                               ;   in Loop: Header=BB1_31 Depth=1
	v_mov_b64_e32 v[22:23], 0
	s_mov_b64 s[0:1], 0
	s_mov_b32 s10, 0
.LBB1_82:                               ;   Parent Loop BB1_31 Depth=1
                                        ; =>  This Inner Loop Header: Depth=2
	scratch_load_u8 v9, v8, off
	v_dual_mov_b32 v27, s7 :: v_dual_add_nc_u32 v24, -1, v24
	s_delay_alu instid0(VALU_DEP_1) | instskip(SKIP_3) | instid1(VALU_DEP_1)
	v_cmp_eq_u32_e32 vcc_lo, 0, v24
	s_or_b32 s10, vcc_lo, s10
	s_wait_loadcnt 0x0
	v_and_b32_e32 v26, 0xffff, v9
	v_lshlrev_b64_e32 v[26:27], s0, v[26:27]
	s_wait_xcnt 0x0
	v_add_nc_u32_e32 v8, 1, v8
	s_add_nc_u64 s[0:1], s[0:1], 8
	s_delay_alu instid0(VALU_DEP_2) | instskip(NEXT) | instid1(VALU_DEP_3)
	v_or_b32_e32 v23, v27, v23
	v_or_b32_e32 v22, v26, v22
	s_and_not1_b32 exec_lo, exec_lo, s10
	s_cbranch_execnz .LBB1_82
; %bb.83:                               ;   in Loop: Header=BB1_31 Depth=1
	s_or_b32 exec_lo, exec_lo, s10
.LBB1_84:                               ;   in Loop: Header=BB1_31 Depth=1
	s_delay_alu instid0(SALU_CYCLE_1)
	s_or_b32 exec_lo, exec_lo, s5
                                        ; implicit-def: $vgpr8
.LBB1_85:                               ;   in Loop: Header=BB1_31 Depth=1
	s_and_not1_saveexec_b32 s0, s4
	s_cbranch_execz .LBB1_87
; %bb.86:                               ;   in Loop: Header=BB1_31 Depth=1
	scratch_load_b64 v[22:23], v8, off
.LBB1_87:                               ;   in Loop: Header=BB1_31 Depth=1
	s_wait_xcnt 0x0
	s_or_b32 exec_lo, exec_lo, s0
	v_readfirstlane_b32 s0, v48
	v_mov_b64_e32 v[8:9], 0
	s_delay_alu instid0(VALU_DEP_2)
	v_cmp_eq_u32_e64 s0, s0, v48
	s_and_saveexec_b32 s1, s0
	s_cbranch_execz .LBB1_93
; %bb.88:                               ;   in Loop: Header=BB1_31 Depth=1
	global_load_b64 v[26:27], v31, s[2:3] offset:24 scope:SCOPE_SYS
	s_wait_loadcnt 0x0
	global_inv scope:SCOPE_SYS
	s_clause 0x1
	global_load_b64 v[8:9], v31, s[2:3] offset:40
	global_load_b64 v[24:25], v31, s[2:3]
	s_mov_b32 s4, exec_lo
	s_wait_loadcnt 0x1
	v_and_b32_e32 v8, v8, v26
	v_and_b32_e32 v9, v9, v27
	s_delay_alu instid0(VALU_DEP_1) | instskip(SKIP_1) | instid1(VALU_DEP_1)
	v_mul_u64_e32 v[8:9], 24, v[8:9]
	s_wait_loadcnt 0x0
	v_add_nc_u64_e32 v[8:9], v[24:25], v[8:9]
	global_load_b64 v[24:25], v[8:9], off scope:SCOPE_SYS
	s_wait_xcnt 0x0
	s_wait_loadcnt 0x0
	global_atomic_cmpswap_b64 v[8:9], v31, v[24:27], s[2:3] offset:24 th:TH_ATOMIC_RETURN scope:SCOPE_SYS
	s_wait_loadcnt 0x0
	global_inv scope:SCOPE_SYS
	s_wait_xcnt 0x0
	v_cmpx_ne_u64_e64 v[8:9], v[26:27]
	s_cbranch_execz .LBB1_92
; %bb.89:                               ;   in Loop: Header=BB1_31 Depth=1
	s_mov_b32 s5, 0
.LBB1_90:                               ;   Parent Loop BB1_31 Depth=1
                                        ; =>  This Inner Loop Header: Depth=2
	s_sleep 1
	s_clause 0x1
	global_load_b64 v[24:25], v31, s[2:3] offset:40
	global_load_b64 v[36:37], v31, s[2:3]
	v_mov_b64_e32 v[26:27], v[8:9]
	s_wait_loadcnt 0x1
	s_delay_alu instid0(VALU_DEP_1) | instskip(NEXT) | instid1(VALU_DEP_2)
	v_and_b32_e32 v8, v24, v26
	v_and_b32_e32 v24, v25, v27
	s_wait_loadcnt 0x0
	s_delay_alu instid0(VALU_DEP_2) | instskip(NEXT) | instid1(VALU_DEP_1)
	v_mad_nc_u64_u32 v[8:9], v8, 24, v[36:37]
	v_mad_u32 v9, v24, 24, v9
	global_load_b64 v[24:25], v[8:9], off scope:SCOPE_SYS
	s_wait_xcnt 0x0
	s_wait_loadcnt 0x0
	global_atomic_cmpswap_b64 v[8:9], v31, v[24:27], s[2:3] offset:24 th:TH_ATOMIC_RETURN scope:SCOPE_SYS
	s_wait_loadcnt 0x0
	global_inv scope:SCOPE_SYS
	v_cmp_eq_u64_e32 vcc_lo, v[8:9], v[26:27]
	s_or_b32 s5, vcc_lo, s5
	s_wait_xcnt 0x0
	s_and_not1_b32 exec_lo, exec_lo, s5
	s_cbranch_execnz .LBB1_90
; %bb.91:                               ;   in Loop: Header=BB1_31 Depth=1
	s_or_b32 exec_lo, exec_lo, s5
.LBB1_92:                               ;   in Loop: Header=BB1_31 Depth=1
	s_delay_alu instid0(SALU_CYCLE_1)
	s_or_b32 exec_lo, exec_lo, s4
.LBB1_93:                               ;   in Loop: Header=BB1_31 Depth=1
	s_delay_alu instid0(SALU_CYCLE_1)
	s_or_b32 exec_lo, exec_lo, s1
	s_clause 0x1
	global_load_b64 v[36:37], v31, s[2:3] offset:40
	global_load_b128 v[24:27], v31, s[2:3]
	v_readfirstlane_b32 s4, v8
	v_readfirstlane_b32 s5, v9
	s_mov_b32 s1, exec_lo
	s_wait_loadcnt 0x1
	v_and_b32_e32 v38, s4, v36
	v_and_b32_e32 v39, s5, v37
	s_delay_alu instid0(VALU_DEP_1) | instskip(SKIP_1) | instid1(VALU_DEP_1)
	v_mul_u64_e32 v[8:9], 24, v[38:39]
	s_wait_loadcnt 0x0
	v_add_nc_u64_e32 v[36:37], v[24:25], v[8:9]
	s_wait_xcnt 0x0
	s_and_saveexec_b32 s10, s0
	s_cbranch_execz .LBB1_95
; %bb.94:                               ;   in Loop: Header=BB1_31 Depth=1
	v_dual_mov_b32 v8, s1 :: v_dual_mov_b32 v9, v31
	global_store_b128 v[36:37], v[8:11], off offset:8
.LBB1_95:                               ;   in Loop: Header=BB1_31 Depth=1
	s_wait_xcnt 0x0
	s_or_b32 exec_lo, exec_lo, s10
	v_cmp_gt_u64_e32 vcc_lo, 57, v[32:33]
	v_lshlrev_b64_e32 v[8:9], 12, v[38:39]
	v_and_b32_e32 v0, 0xffffff1f, v0
	v_lshl_add_u32 v39, v34, 2, 28
	v_cndmask_b32_e32 v38, 0, v28, vcc_lo
	s_delay_alu instid0(VALU_DEP_4) | instskip(NEXT) | instid1(VALU_DEP_2)
	v_add_nc_u64_e32 v[8:9], v[26:27], v[8:9]
	v_or_b32_e32 v0, v0, v38
	s_delay_alu instid0(VALU_DEP_2) | instskip(NEXT) | instid1(VALU_DEP_3)
	v_readfirstlane_b32 s10, v8
	v_readfirstlane_b32 s11, v9
	s_delay_alu instid0(VALU_DEP_3)
	v_and_or_b32 v0, 0x1e0, v39, v0
	s_clause 0x3
	global_store_b128 v30, v[0:3], s[10:11]
	global_store_b128 v30, v[12:15], s[10:11] offset:16
	global_store_b128 v30, v[16:19], s[10:11] offset:32
	;; [unrolled: 1-line block ×3, first 2 shown]
	s_wait_xcnt 0x0
	s_and_saveexec_b32 s1, s0
	s_cbranch_execz .LBB1_103
; %bb.96:                               ;   in Loop: Header=BB1_31 Depth=1
	s_clause 0x1
	global_load_b64 v[16:17], v31, s[2:3] offset:32 scope:SCOPE_SYS
	global_load_b64 v[0:1], v31, s[2:3] offset:40
	s_mov_b32 s10, exec_lo
	v_dual_mov_b32 v14, s4 :: v_dual_mov_b32 v15, s5
	s_wait_loadcnt 0x0
	v_and_b32_e32 v1, s5, v1
	v_and_b32_e32 v0, s4, v0
	s_delay_alu instid0(VALU_DEP_1) | instskip(NEXT) | instid1(VALU_DEP_1)
	v_mul_u64_e32 v[0:1], 24, v[0:1]
	v_add_nc_u64_e32 v[12:13], v[24:25], v[0:1]
	global_store_b64 v[12:13], v[16:17], off
	global_wb scope:SCOPE_SYS
	s_wait_storecnt 0x0
	s_wait_xcnt 0x0
	global_atomic_cmpswap_b64 v[2:3], v31, v[14:17], s[2:3] offset:32 th:TH_ATOMIC_RETURN scope:SCOPE_SYS
	s_wait_loadcnt 0x0
	v_cmpx_ne_u64_e64 v[2:3], v[16:17]
	s_cbranch_execz .LBB1_99
; %bb.97:                               ;   in Loop: Header=BB1_31 Depth=1
	s_mov_b32 s11, 0
.LBB1_98:                               ;   Parent Loop BB1_31 Depth=1
                                        ; =>  This Inner Loop Header: Depth=2
	v_dual_mov_b32 v0, s4 :: v_dual_mov_b32 v1, s5
	s_sleep 1
	global_store_b64 v[12:13], v[2:3], off
	global_wb scope:SCOPE_SYS
	s_wait_storecnt 0x0
	s_wait_xcnt 0x0
	global_atomic_cmpswap_b64 v[0:1], v31, v[0:3], s[2:3] offset:32 th:TH_ATOMIC_RETURN scope:SCOPE_SYS
	s_wait_loadcnt 0x0
	v_cmp_eq_u64_e32 vcc_lo, v[0:1], v[2:3]
	v_mov_b64_e32 v[2:3], v[0:1]
	s_or_b32 s11, vcc_lo, s11
	s_delay_alu instid0(SALU_CYCLE_1)
	s_and_not1_b32 exec_lo, exec_lo, s11
	s_cbranch_execnz .LBB1_98
.LBB1_99:                               ;   in Loop: Header=BB1_31 Depth=1
	s_or_b32 exec_lo, exec_lo, s10
	global_load_b64 v[0:1], v31, s[2:3] offset:16
	s_mov_b32 s11, exec_lo
	s_mov_b32 s10, exec_lo
	v_mbcnt_lo_u32_b32 v2, s11, 0
	s_wait_xcnt 0x0
	s_delay_alu instid0(VALU_DEP_1)
	v_cmpx_eq_u32_e32 0, v2
	s_cbranch_execz .LBB1_101
; %bb.100:                              ;   in Loop: Header=BB1_31 Depth=1
	s_bcnt1_i32_b32 s11, s11
	s_delay_alu instid0(SALU_CYCLE_1)
	v_dual_mov_b32 v3, v31 :: v_dual_mov_b32 v2, s11
	global_wb scope:SCOPE_SYS
	s_wait_loadcnt 0x0
	s_wait_storecnt 0x0
	global_atomic_add_u64 v[0:1], v[2:3], off offset:8 scope:SCOPE_SYS
.LBB1_101:                              ;   in Loop: Header=BB1_31 Depth=1
	s_wait_xcnt 0x0
	s_or_b32 exec_lo, exec_lo, s10
	s_wait_loadcnt 0x0
	global_load_b64 v[2:3], v[0:1], off offset:16
	s_wait_loadcnt 0x0
	v_cmp_eq_u64_e32 vcc_lo, 0, v[2:3]
	s_cbranch_vccnz .LBB1_103
; %bb.102:                              ;   in Loop: Header=BB1_31 Depth=1
	global_load_b32 v0, v[0:1], off offset:24
	s_wait_xcnt 0x0
	v_mov_b32_e32 v1, v31
	s_wait_loadcnt 0x0
	v_readfirstlane_b32 s10, v0
	global_wb scope:SCOPE_SYS
	s_wait_storecnt 0x0
	global_store_b64 v[2:3], v[0:1], off scope:SCOPE_SYS
	s_and_b32 m0, s10, 0xffffff
	s_sendmsg sendmsg(MSG_INTERRUPT)
.LBB1_103:                              ;   in Loop: Header=BB1_31 Depth=1
	s_wait_xcnt 0x0
	s_or_b32 exec_lo, exec_lo, s1
	v_add_nc_u64_e32 v[0:1], v[8:9], v[30:31]
	s_branch .LBB1_107
.LBB1_104:                              ;   in Loop: Header=BB1_107 Depth=2
	s_wait_xcnt 0x0
	s_or_b32 exec_lo, exec_lo, s1
	s_delay_alu instid0(VALU_DEP_1)
	v_readfirstlane_b32 s1, v2
	s_cmp_eq_u32 s1, 0
	s_cbranch_scc1 .LBB1_106
; %bb.105:                              ;   in Loop: Header=BB1_107 Depth=2
	s_sleep 1
	s_cbranch_execnz .LBB1_107
	s_branch .LBB1_109
.LBB1_106:                              ;   in Loop: Header=BB1_31 Depth=1
	s_branch .LBB1_109
.LBB1_107:                              ;   Parent Loop BB1_31 Depth=1
                                        ; =>  This Inner Loop Header: Depth=2
	v_mov_b32_e32 v2, 1
	s_and_saveexec_b32 s1, s0
	s_cbranch_execz .LBB1_104
; %bb.108:                              ;   in Loop: Header=BB1_107 Depth=2
	global_load_b32 v2, v[36:37], off offset:20 scope:SCOPE_SYS
	s_wait_loadcnt 0x0
	global_inv scope:SCOPE_SYS
	v_and_b32_e32 v2, 1, v2
	s_branch .LBB1_104
.LBB1_109:                              ;   in Loop: Header=BB1_31 Depth=1
	global_load_b64 v[0:1], v[0:1], off
	s_wait_xcnt 0x0
	s_and_saveexec_b32 s10, s0
	s_cbranch_execz .LBB1_30
; %bb.110:                              ;   in Loop: Header=BB1_31 Depth=1
	s_clause 0x2
	global_load_b64 v[2:3], v31, s[2:3] offset:40
	global_load_b64 v[16:17], v31, s[2:3] offset:24 scope:SCOPE_SYS
	global_load_b64 v[8:9], v31, s[2:3]
	s_wait_loadcnt 0x2
	v_readfirstlane_b32 s12, v2
	v_readfirstlane_b32 s13, v3
	s_add_nc_u64 s[0:1], s[12:13], 1
	s_delay_alu instid0(SALU_CYCLE_1) | instskip(NEXT) | instid1(SALU_CYCLE_1)
	s_add_nc_u64 s[4:5], s[0:1], s[4:5]
	s_cmp_eq_u64 s[4:5], 0
	s_cselect_b32 s1, s1, s5
	s_cselect_b32 s0, s0, s4
	s_delay_alu instid0(SALU_CYCLE_1) | instskip(SKIP_1) | instid1(SALU_CYCLE_1)
	v_dual_mov_b32 v15, s1 :: v_dual_mov_b32 v14, s0
	s_and_b64 s[4:5], s[0:1], s[12:13]
	s_mul_u64 s[4:5], s[4:5], 24
	s_wait_loadcnt 0x0
	v_add_nc_u64_e32 v[2:3], s[4:5], v[8:9]
	global_store_b64 v[2:3], v[16:17], off
	global_wb scope:SCOPE_SYS
	s_wait_storecnt 0x0
	s_wait_xcnt 0x0
	global_atomic_cmpswap_b64 v[14:15], v31, v[14:17], s[2:3] offset:24 th:TH_ATOMIC_RETURN scope:SCOPE_SYS
	s_wait_loadcnt 0x0
	v_cmp_ne_u64_e32 vcc_lo, v[14:15], v[16:17]
	s_and_b32 exec_lo, exec_lo, vcc_lo
	s_cbranch_execz .LBB1_30
; %bb.111:                              ;   in Loop: Header=BB1_31 Depth=1
	s_mov_b32 s4, 0
.LBB1_112:                              ;   Parent Loop BB1_31 Depth=1
                                        ; =>  This Inner Loop Header: Depth=2
	v_dual_mov_b32 v12, s0 :: v_dual_mov_b32 v13, s1
	s_sleep 1
	global_store_b64 v[2:3], v[14:15], off
	global_wb scope:SCOPE_SYS
	s_wait_storecnt 0x0
	s_wait_xcnt 0x0
	global_atomic_cmpswap_b64 v[8:9], v31, v[12:15], s[2:3] offset:24 th:TH_ATOMIC_RETURN scope:SCOPE_SYS
	s_wait_loadcnt 0x0
	v_cmp_eq_u64_e32 vcc_lo, v[8:9], v[14:15]
	v_mov_b64_e32 v[14:15], v[8:9]
	s_or_b32 s4, vcc_lo, s4
	s_delay_alu instid0(SALU_CYCLE_1)
	s_and_not1_b32 exec_lo, exec_lo, s4
	s_cbranch_execnz .LBB1_112
	s_branch .LBB1_30
.LBB1_113:
                                        ; implicit-def: $vgpr0_vgpr1
	s_cbranch_execnz .LBB1_193
.LBB1_114:
	s_get_pc_i64 s[4:5]
	s_add_nc_u64 s[4:5], s[4:5], .str.4@rel64+4
	s_delay_alu instid0(SALU_CYCLE_1)
	s_cmp_lg_u64 s[4:5], 0
	s_cbranch_scc0 .LBB1_221
.LBB1_115:
	v_mov_b64_e32 v[12:13], 0x100000002
	s_get_pc_i64 s[0:1]
	s_add_nc_u64 s[0:1], s[0:1], .str.4@rel64+80
	s_wait_loadcnt 0x0
	v_dual_mov_b32 v11, 0 :: v_dual_bitop2_b32 v2, 2, v0 bitop3:0x40
	v_dual_mov_b32 v7, v1 :: v_dual_bitop2_b32 v6, -3, v0 bitop3:0x40
	s_sub_co_i32 s6, s0, s4
	s_delay_alu instid0(SALU_CYCLE_1)
	s_ashr_i32 s7, s6, 31
	s_branch .LBB1_117
.LBB1_116:                              ;   in Loop: Header=BB1_117 Depth=1
	s_or_b32 exec_lo, exec_lo, s14
	s_sub_nc_u64 s[6:7], s[6:7], s[10:11]
	s_add_nc_u64 s[4:5], s[4:5], s[10:11]
	s_cmp_lg_u64 s[6:7], 0
	s_cbranch_scc0 .LBB1_215
.LBB1_117:                              ; =>This Loop Header: Depth=1
                                        ;     Child Loop BB1_120 Depth 2
                                        ;     Child Loop BB1_127 Depth 2
	;; [unrolled: 1-line block ×11, first 2 shown]
	v_min_u64 v[8:9], s[6:7], 56
	v_cmp_gt_u64_e64 s0, s[6:7], 7
	s_and_b32 vcc_lo, exec_lo, s0
	v_readfirstlane_b32 s10, v8
	v_readfirstlane_b32 s11, v9
	s_cbranch_vccnz .LBB1_122
; %bb.118:                              ;   in Loop: Header=BB1_117 Depth=1
	v_mov_b64_e32 v[8:9], 0
	s_cmp_eq_u64 s[6:7], 0
	s_cbranch_scc1 .LBB1_121
; %bb.119:                              ;   in Loop: Header=BB1_117 Depth=1
	s_mov_b64 s[0:1], 0
	s_mov_b64 s[12:13], 0
.LBB1_120:                              ;   Parent Loop BB1_117 Depth=1
                                        ; =>  This Inner Loop Header: Depth=2
	s_wait_xcnt 0x0
	s_add_nc_u64 s[14:15], s[4:5], s[12:13]
	s_add_nc_u64 s[12:13], s[12:13], 1
	global_load_u8 v3, v11, s[14:15]
	s_cmp_lg_u32 s10, s12
	s_wait_loadcnt 0x0
	v_and_b32_e32 v10, 0xffff, v3
	s_delay_alu instid0(VALU_DEP_1) | instskip(SKIP_1) | instid1(VALU_DEP_1)
	v_lshlrev_b64_e32 v[14:15], s0, v[10:11]
	s_add_nc_u64 s[0:1], s[0:1], 8
	v_or_b32_e32 v8, v14, v8
	s_delay_alu instid0(VALU_DEP_2)
	v_or_b32_e32 v9, v15, v9
	s_cbranch_scc1 .LBB1_120
.LBB1_121:                              ;   in Loop: Header=BB1_117 Depth=1
	s_mov_b64 s[12:13], s[4:5]
	s_mov_b32 s16, 0
	s_cbranch_execz .LBB1_123
	s_branch .LBB1_124
.LBB1_122:                              ;   in Loop: Header=BB1_117 Depth=1
	s_add_nc_u64 s[12:13], s[4:5], 8
	s_mov_b32 s16, 0
.LBB1_123:                              ;   in Loop: Header=BB1_117 Depth=1
	global_load_b64 v[8:9], v11, s[4:5]
	s_add_co_i32 s16, s10, -8
.LBB1_124:                              ;   in Loop: Header=BB1_117 Depth=1
	s_delay_alu instid0(SALU_CYCLE_1)
	s_cmp_gt_u32 s16, 7
	s_cbranch_scc1 .LBB1_129
; %bb.125:                              ;   in Loop: Header=BB1_117 Depth=1
	v_mov_b64_e32 v[14:15], 0
	s_cmp_eq_u32 s16, 0
	s_cbranch_scc1 .LBB1_128
; %bb.126:                              ;   in Loop: Header=BB1_117 Depth=1
	s_mov_b64 s[0:1], 0
	s_wait_xcnt 0x0
	s_mov_b64 s[14:15], 0
.LBB1_127:                              ;   Parent Loop BB1_117 Depth=1
                                        ; =>  This Inner Loop Header: Depth=2
	s_wait_xcnt 0x0
	s_add_nc_u64 s[18:19], s[12:13], s[14:15]
	s_add_nc_u64 s[14:15], s[14:15], 1
	global_load_u8 v3, v11, s[18:19]
	s_cmp_lg_u32 s16, s14
	s_wait_loadcnt 0x0
	v_and_b32_e32 v10, 0xffff, v3
	s_delay_alu instid0(VALU_DEP_1) | instskip(SKIP_1) | instid1(VALU_DEP_1)
	v_lshlrev_b64_e32 v[16:17], s0, v[10:11]
	s_add_nc_u64 s[0:1], s[0:1], 8
	v_or_b32_e32 v14, v16, v14
	s_delay_alu instid0(VALU_DEP_2)
	v_or_b32_e32 v15, v17, v15
	s_cbranch_scc1 .LBB1_127
.LBB1_128:                              ;   in Loop: Header=BB1_117 Depth=1
	s_wait_xcnt 0x0
	s_mov_b64 s[0:1], s[12:13]
	s_mov_b32 s17, 0
	s_cbranch_execz .LBB1_130
	s_branch .LBB1_131
.LBB1_129:                              ;   in Loop: Header=BB1_117 Depth=1
	s_add_nc_u64 s[0:1], s[12:13], 8
	s_wait_xcnt 0x0
                                        ; implicit-def: $vgpr14_vgpr15
	s_mov_b32 s17, 0
.LBB1_130:                              ;   in Loop: Header=BB1_117 Depth=1
	global_load_b64 v[14:15], v11, s[12:13]
	s_add_co_i32 s17, s16, -8
.LBB1_131:                              ;   in Loop: Header=BB1_117 Depth=1
	s_delay_alu instid0(SALU_CYCLE_1)
	s_cmp_gt_u32 s17, 7
	s_cbranch_scc1 .LBB1_136
; %bb.132:                              ;   in Loop: Header=BB1_117 Depth=1
	v_mov_b64_e32 v[16:17], 0
	s_cmp_eq_u32 s17, 0
	s_cbranch_scc1 .LBB1_135
; %bb.133:                              ;   in Loop: Header=BB1_117 Depth=1
	s_wait_xcnt 0x0
	s_mov_b64 s[12:13], 0
	s_mov_b64 s[14:15], 0
.LBB1_134:                              ;   Parent Loop BB1_117 Depth=1
                                        ; =>  This Inner Loop Header: Depth=2
	s_wait_xcnt 0x0
	s_add_nc_u64 s[18:19], s[0:1], s[14:15]
	s_add_nc_u64 s[14:15], s[14:15], 1
	global_load_u8 v3, v11, s[18:19]
	s_cmp_lg_u32 s17, s14
	s_wait_loadcnt 0x0
	v_and_b32_e32 v10, 0xffff, v3
	s_delay_alu instid0(VALU_DEP_1) | instskip(SKIP_1) | instid1(VALU_DEP_1)
	v_lshlrev_b64_e32 v[18:19], s12, v[10:11]
	s_add_nc_u64 s[12:13], s[12:13], 8
	v_or_b32_e32 v16, v18, v16
	s_delay_alu instid0(VALU_DEP_2)
	v_or_b32_e32 v17, v19, v17
	s_cbranch_scc1 .LBB1_134
.LBB1_135:                              ;   in Loop: Header=BB1_117 Depth=1
	s_wait_xcnt 0x0
	s_mov_b64 s[12:13], s[0:1]
	s_mov_b32 s16, 0
	s_cbranch_execz .LBB1_137
	s_branch .LBB1_138
.LBB1_136:                              ;   in Loop: Header=BB1_117 Depth=1
	s_wait_xcnt 0x0
	s_add_nc_u64 s[12:13], s[0:1], 8
	s_mov_b32 s16, 0
.LBB1_137:                              ;   in Loop: Header=BB1_117 Depth=1
	global_load_b64 v[16:17], v11, s[0:1]
	s_add_co_i32 s16, s17, -8
.LBB1_138:                              ;   in Loop: Header=BB1_117 Depth=1
	s_delay_alu instid0(SALU_CYCLE_1)
	s_cmp_gt_u32 s16, 7
	s_cbranch_scc1 .LBB1_143
; %bb.139:                              ;   in Loop: Header=BB1_117 Depth=1
	v_mov_b64_e32 v[18:19], 0
	s_cmp_eq_u32 s16, 0
	s_cbranch_scc1 .LBB1_142
; %bb.140:                              ;   in Loop: Header=BB1_117 Depth=1
	s_wait_xcnt 0x0
	s_mov_b64 s[0:1], 0
	s_mov_b64 s[14:15], 0
.LBB1_141:                              ;   Parent Loop BB1_117 Depth=1
                                        ; =>  This Inner Loop Header: Depth=2
	s_wait_xcnt 0x0
	s_add_nc_u64 s[18:19], s[12:13], s[14:15]
	s_add_nc_u64 s[14:15], s[14:15], 1
	global_load_u8 v3, v11, s[18:19]
	s_cmp_lg_u32 s16, s14
	s_wait_loadcnt 0x0
	v_and_b32_e32 v10, 0xffff, v3
	s_delay_alu instid0(VALU_DEP_1) | instskip(SKIP_1) | instid1(VALU_DEP_1)
	v_lshlrev_b64_e32 v[20:21], s0, v[10:11]
	s_add_nc_u64 s[0:1], s[0:1], 8
	v_or_b32_e32 v18, v20, v18
	s_delay_alu instid0(VALU_DEP_2)
	v_or_b32_e32 v19, v21, v19
	s_cbranch_scc1 .LBB1_141
.LBB1_142:                              ;   in Loop: Header=BB1_117 Depth=1
	s_wait_xcnt 0x0
	s_mov_b64 s[0:1], s[12:13]
	s_mov_b32 s17, 0
	s_cbranch_execz .LBB1_144
	s_branch .LBB1_145
.LBB1_143:                              ;   in Loop: Header=BB1_117 Depth=1
	s_wait_xcnt 0x0
	s_add_nc_u64 s[0:1], s[12:13], 8
                                        ; implicit-def: $vgpr18_vgpr19
	s_mov_b32 s17, 0
.LBB1_144:                              ;   in Loop: Header=BB1_117 Depth=1
	global_load_b64 v[18:19], v11, s[12:13]
	s_add_co_i32 s17, s16, -8
.LBB1_145:                              ;   in Loop: Header=BB1_117 Depth=1
	s_delay_alu instid0(SALU_CYCLE_1)
	s_cmp_gt_u32 s17, 7
	s_cbranch_scc1 .LBB1_150
; %bb.146:                              ;   in Loop: Header=BB1_117 Depth=1
	v_mov_b64_e32 v[20:21], 0
	s_cmp_eq_u32 s17, 0
	s_cbranch_scc1 .LBB1_149
; %bb.147:                              ;   in Loop: Header=BB1_117 Depth=1
	s_wait_xcnt 0x0
	s_mov_b64 s[12:13], 0
	s_mov_b64 s[14:15], 0
.LBB1_148:                              ;   Parent Loop BB1_117 Depth=1
                                        ; =>  This Inner Loop Header: Depth=2
	s_wait_xcnt 0x0
	s_add_nc_u64 s[18:19], s[0:1], s[14:15]
	s_add_nc_u64 s[14:15], s[14:15], 1
	global_load_u8 v3, v11, s[18:19]
	s_cmp_lg_u32 s17, s14
	s_wait_loadcnt 0x0
	v_and_b32_e32 v10, 0xffff, v3
	s_delay_alu instid0(VALU_DEP_1) | instskip(SKIP_1) | instid1(VALU_DEP_1)
	v_lshlrev_b64_e32 v[22:23], s12, v[10:11]
	s_add_nc_u64 s[12:13], s[12:13], 8
	v_or_b32_e32 v20, v22, v20
	s_delay_alu instid0(VALU_DEP_2)
	v_or_b32_e32 v21, v23, v21
	s_cbranch_scc1 .LBB1_148
.LBB1_149:                              ;   in Loop: Header=BB1_117 Depth=1
	s_wait_xcnt 0x0
	s_mov_b64 s[12:13], s[0:1]
	s_mov_b32 s16, 0
	s_cbranch_execz .LBB1_151
	s_branch .LBB1_152
.LBB1_150:                              ;   in Loop: Header=BB1_117 Depth=1
	s_wait_xcnt 0x0
	s_add_nc_u64 s[12:13], s[0:1], 8
	s_mov_b32 s16, 0
.LBB1_151:                              ;   in Loop: Header=BB1_117 Depth=1
	global_load_b64 v[20:21], v11, s[0:1]
	s_add_co_i32 s16, s17, -8
.LBB1_152:                              ;   in Loop: Header=BB1_117 Depth=1
	s_delay_alu instid0(SALU_CYCLE_1)
	s_cmp_gt_u32 s16, 7
	s_cbranch_scc1 .LBB1_157
; %bb.153:                              ;   in Loop: Header=BB1_117 Depth=1
	v_mov_b64_e32 v[22:23], 0
	s_cmp_eq_u32 s16, 0
	s_cbranch_scc1 .LBB1_156
; %bb.154:                              ;   in Loop: Header=BB1_117 Depth=1
	s_wait_xcnt 0x0
	s_mov_b64 s[0:1], 0
	s_mov_b64 s[14:15], 0
.LBB1_155:                              ;   Parent Loop BB1_117 Depth=1
                                        ; =>  This Inner Loop Header: Depth=2
	s_wait_xcnt 0x0
	s_add_nc_u64 s[18:19], s[12:13], s[14:15]
	s_add_nc_u64 s[14:15], s[14:15], 1
	global_load_u8 v3, v11, s[18:19]
	s_cmp_lg_u32 s16, s14
	s_wait_loadcnt 0x0
	v_and_b32_e32 v10, 0xffff, v3
	s_delay_alu instid0(VALU_DEP_1) | instskip(SKIP_1) | instid1(VALU_DEP_1)
	v_lshlrev_b64_e32 v[24:25], s0, v[10:11]
	s_add_nc_u64 s[0:1], s[0:1], 8
	v_or_b32_e32 v22, v24, v22
	s_delay_alu instid0(VALU_DEP_2)
	v_or_b32_e32 v23, v25, v23
	s_cbranch_scc1 .LBB1_155
.LBB1_156:                              ;   in Loop: Header=BB1_117 Depth=1
	s_wait_xcnt 0x0
	s_mov_b64 s[0:1], s[12:13]
	s_mov_b32 s17, 0
	s_cbranch_execz .LBB1_158
	s_branch .LBB1_159
.LBB1_157:                              ;   in Loop: Header=BB1_117 Depth=1
	s_wait_xcnt 0x0
	s_add_nc_u64 s[0:1], s[12:13], 8
                                        ; implicit-def: $vgpr22_vgpr23
	s_mov_b32 s17, 0
.LBB1_158:                              ;   in Loop: Header=BB1_117 Depth=1
	global_load_b64 v[22:23], v11, s[12:13]
	s_add_co_i32 s17, s16, -8
.LBB1_159:                              ;   in Loop: Header=BB1_117 Depth=1
	s_delay_alu instid0(SALU_CYCLE_1)
	s_cmp_gt_u32 s17, 7
	s_cbranch_scc1 .LBB1_164
; %bb.160:                              ;   in Loop: Header=BB1_117 Depth=1
	v_mov_b64_e32 v[24:25], 0
	s_cmp_eq_u32 s17, 0
	s_cbranch_scc1 .LBB1_163
; %bb.161:                              ;   in Loop: Header=BB1_117 Depth=1
	s_wait_xcnt 0x0
	s_mov_b64 s[12:13], 0
	s_mov_b64 s[14:15], s[0:1]
.LBB1_162:                              ;   Parent Loop BB1_117 Depth=1
                                        ; =>  This Inner Loop Header: Depth=2
	global_load_u8 v3, v11, s[14:15]
	s_add_co_i32 s17, s17, -1
	s_wait_xcnt 0x0
	s_add_nc_u64 s[14:15], s[14:15], 1
	s_cmp_lg_u32 s17, 0
	s_wait_loadcnt 0x0
	v_and_b32_e32 v10, 0xffff, v3
	s_delay_alu instid0(VALU_DEP_1) | instskip(SKIP_1) | instid1(VALU_DEP_1)
	v_lshlrev_b64_e32 v[26:27], s12, v[10:11]
	s_add_nc_u64 s[12:13], s[12:13], 8
	v_or_b32_e32 v24, v26, v24
	s_delay_alu instid0(VALU_DEP_2)
	v_or_b32_e32 v25, v27, v25
	s_cbranch_scc1 .LBB1_162
.LBB1_163:                              ;   in Loop: Header=BB1_117 Depth=1
	s_wait_xcnt 0x0
	s_cbranch_execz .LBB1_165
	s_branch .LBB1_166
.LBB1_164:                              ;   in Loop: Header=BB1_117 Depth=1
	s_wait_xcnt 0x0
.LBB1_165:                              ;   in Loop: Header=BB1_117 Depth=1
	global_load_b64 v[24:25], v11, s[0:1]
.LBB1_166:                              ;   in Loop: Header=BB1_117 Depth=1
	s_wait_xcnt 0x0
	v_readfirstlane_b32 s0, v48
	v_mov_b64_e32 v[32:33], 0
	s_delay_alu instid0(VALU_DEP_2)
	v_cmp_eq_u32_e64 s0, s0, v48
	s_and_saveexec_b32 s1, s0
	s_cbranch_execz .LBB1_172
; %bb.167:                              ;   in Loop: Header=BB1_117 Depth=1
	global_load_b64 v[28:29], v11, s[2:3] offset:24 scope:SCOPE_SYS
	s_wait_loadcnt 0x0
	global_inv scope:SCOPE_SYS
	s_clause 0x1
	global_load_b64 v[26:27], v11, s[2:3] offset:40
	global_load_b64 v[32:33], v11, s[2:3]
	s_mov_b32 s12, exec_lo
	s_wait_loadcnt 0x1
	v_and_b32_e32 v26, v26, v28
	v_and_b32_e32 v27, v27, v29
	s_delay_alu instid0(VALU_DEP_1) | instskip(SKIP_1) | instid1(VALU_DEP_1)
	v_mul_u64_e32 v[26:27], 24, v[26:27]
	s_wait_loadcnt 0x0
	v_add_nc_u64_e32 v[26:27], v[32:33], v[26:27]
	global_load_b64 v[26:27], v[26:27], off scope:SCOPE_SYS
	s_wait_xcnt 0x0
	s_wait_loadcnt 0x0
	global_atomic_cmpswap_b64 v[32:33], v11, v[26:29], s[2:3] offset:24 th:TH_ATOMIC_RETURN scope:SCOPE_SYS
	s_wait_loadcnt 0x0
	global_inv scope:SCOPE_SYS
	s_wait_xcnt 0x0
	v_cmpx_ne_u64_e64 v[32:33], v[28:29]
	s_cbranch_execz .LBB1_171
; %bb.168:                              ;   in Loop: Header=BB1_117 Depth=1
	s_mov_b32 s13, 0
.LBB1_169:                              ;   Parent Loop BB1_117 Depth=1
                                        ; =>  This Inner Loop Header: Depth=2
	s_sleep 1
	s_clause 0x1
	global_load_b64 v[26:27], v11, s[2:3] offset:40
	global_load_b64 v[34:35], v11, s[2:3]
	v_mov_b64_e32 v[28:29], v[32:33]
	s_wait_loadcnt 0x1
	s_delay_alu instid0(VALU_DEP_1) | instskip(SKIP_1) | instid1(VALU_DEP_1)
	v_and_b32_e32 v3, v26, v28
	s_wait_loadcnt 0x0
	v_mad_nc_u64_u32 v[32:33], v3, 24, v[34:35]
	s_delay_alu instid0(VALU_DEP_3) | instskip(NEXT) | instid1(VALU_DEP_1)
	v_and_b32_e32 v3, v27, v29
	v_mad_u32 v33, v3, 24, v33
	global_load_b64 v[26:27], v[32:33], off scope:SCOPE_SYS
	s_wait_xcnt 0x0
	s_wait_loadcnt 0x0
	global_atomic_cmpswap_b64 v[32:33], v11, v[26:29], s[2:3] offset:24 th:TH_ATOMIC_RETURN scope:SCOPE_SYS
	s_wait_loadcnt 0x0
	global_inv scope:SCOPE_SYS
	v_cmp_eq_u64_e32 vcc_lo, v[32:33], v[28:29]
	s_or_b32 s13, vcc_lo, s13
	s_wait_xcnt 0x0
	s_and_not1_b32 exec_lo, exec_lo, s13
	s_cbranch_execnz .LBB1_169
; %bb.170:                              ;   in Loop: Header=BB1_117 Depth=1
	s_or_b32 exec_lo, exec_lo, s13
.LBB1_171:                              ;   in Loop: Header=BB1_117 Depth=1
	s_delay_alu instid0(SALU_CYCLE_1)
	s_or_b32 exec_lo, exec_lo, s12
.LBB1_172:                              ;   in Loop: Header=BB1_117 Depth=1
	s_delay_alu instid0(SALU_CYCLE_1)
	s_or_b32 exec_lo, exec_lo, s1
	s_clause 0x1
	global_load_b64 v[34:35], v11, s[2:3] offset:40
	global_load_b128 v[26:29], v11, s[2:3]
	v_readfirstlane_b32 s12, v32
	v_readfirstlane_b32 s13, v33
	s_mov_b32 s1, exec_lo
	s_wait_loadcnt 0x1
	v_and_b32_e32 v34, s12, v34
	v_and_b32_e32 v35, s13, v35
	s_delay_alu instid0(VALU_DEP_1) | instskip(SKIP_1) | instid1(VALU_DEP_1)
	v_mul_u64_e32 v[32:33], 24, v[34:35]
	s_wait_loadcnt 0x0
	v_add_nc_u64_e32 v[32:33], v[26:27], v[32:33]
	s_wait_xcnt 0x0
	s_and_saveexec_b32 s14, s0
	s_cbranch_execz .LBB1_174
; %bb.173:                              ;   in Loop: Header=BB1_117 Depth=1
	v_mov_b32_e32 v10, s1
	global_store_b128 v[32:33], v[10:13], off offset:8
.LBB1_174:                              ;   in Loop: Header=BB1_117 Depth=1
	s_wait_xcnt 0x0
	s_or_b32 exec_lo, exec_lo, s14
	v_cmp_lt_u64_e64 vcc_lo, s[6:7], 57
	v_lshlrev_b64_e32 v[34:35], 12, v[34:35]
	v_and_b32_e32 v6, 0xffffff1f, v6
	s_lshl_b32 s1, s10, 2
	s_delay_alu instid0(SALU_CYCLE_1) | instskip(SKIP_1) | instid1(VALU_DEP_3)
	s_add_co_i32 s1, s1, 28
	v_cndmask_b32_e32 v3, 0, v2, vcc_lo
	v_add_nc_u64_e32 v[28:29], v[28:29], v[34:35]
	s_delay_alu instid0(VALU_DEP_2) | instskip(NEXT) | instid1(VALU_DEP_2)
	v_or_b32_e32 v3, v6, v3
	v_readfirstlane_b32 s14, v28
	s_delay_alu instid0(VALU_DEP_3) | instskip(NEXT) | instid1(VALU_DEP_3)
	v_readfirstlane_b32 s15, v29
	v_and_or_b32 v6, 0x1e0, s1, v3
	s_clause 0x3
	global_store_b128 v30, v[6:9], s[14:15]
	global_store_b128 v30, v[14:17], s[14:15] offset:16
	global_store_b128 v30, v[18:21], s[14:15] offset:32
	;; [unrolled: 1-line block ×3, first 2 shown]
	s_wait_xcnt 0x0
	s_and_saveexec_b32 s1, s0
	s_cbranch_execz .LBB1_182
; %bb.175:                              ;   in Loop: Header=BB1_117 Depth=1
	s_clause 0x1
	global_load_b64 v[18:19], v11, s[2:3] offset:32 scope:SCOPE_SYS
	global_load_b64 v[6:7], v11, s[2:3] offset:40
	s_mov_b32 s14, exec_lo
	v_dual_mov_b32 v16, s12 :: v_dual_mov_b32 v17, s13
	s_wait_loadcnt 0x0
	v_and_b32_e32 v7, s13, v7
	v_and_b32_e32 v6, s12, v6
	s_delay_alu instid0(VALU_DEP_1) | instskip(NEXT) | instid1(VALU_DEP_1)
	v_mul_u64_e32 v[6:7], 24, v[6:7]
	v_add_nc_u64_e32 v[14:15], v[26:27], v[6:7]
	global_store_b64 v[14:15], v[18:19], off
	global_wb scope:SCOPE_SYS
	s_wait_storecnt 0x0
	s_wait_xcnt 0x0
	global_atomic_cmpswap_b64 v[8:9], v11, v[16:19], s[2:3] offset:32 th:TH_ATOMIC_RETURN scope:SCOPE_SYS
	s_wait_loadcnt 0x0
	v_cmpx_ne_u64_e64 v[8:9], v[18:19]
	s_cbranch_execz .LBB1_178
; %bb.176:                              ;   in Loop: Header=BB1_117 Depth=1
	s_mov_b32 s15, 0
.LBB1_177:                              ;   Parent Loop BB1_117 Depth=1
                                        ; =>  This Inner Loop Header: Depth=2
	v_dual_mov_b32 v6, s12 :: v_dual_mov_b32 v7, s13
	s_sleep 1
	global_store_b64 v[14:15], v[8:9], off
	global_wb scope:SCOPE_SYS
	s_wait_storecnt 0x0
	s_wait_xcnt 0x0
	global_atomic_cmpswap_b64 v[6:7], v11, v[6:9], s[2:3] offset:32 th:TH_ATOMIC_RETURN scope:SCOPE_SYS
	s_wait_loadcnt 0x0
	v_cmp_eq_u64_e32 vcc_lo, v[6:7], v[8:9]
	v_mov_b64_e32 v[8:9], v[6:7]
	s_or_b32 s15, vcc_lo, s15
	s_delay_alu instid0(SALU_CYCLE_1)
	s_and_not1_b32 exec_lo, exec_lo, s15
	s_cbranch_execnz .LBB1_177
.LBB1_178:                              ;   in Loop: Header=BB1_117 Depth=1
	s_or_b32 exec_lo, exec_lo, s14
	global_load_b64 v[6:7], v11, s[2:3] offset:16
	s_mov_b32 s15, exec_lo
	s_mov_b32 s14, exec_lo
	v_mbcnt_lo_u32_b32 v3, s15, 0
	s_wait_xcnt 0x0
	s_delay_alu instid0(VALU_DEP_1)
	v_cmpx_eq_u32_e32 0, v3
	s_cbranch_execz .LBB1_180
; %bb.179:                              ;   in Loop: Header=BB1_117 Depth=1
	s_bcnt1_i32_b32 s15, s15
	s_delay_alu instid0(SALU_CYCLE_1)
	v_mov_b32_e32 v10, s15
	global_wb scope:SCOPE_SYS
	s_wait_loadcnt 0x0
	s_wait_storecnt 0x0
	global_atomic_add_u64 v[6:7], v[10:11], off offset:8 scope:SCOPE_SYS
.LBB1_180:                              ;   in Loop: Header=BB1_117 Depth=1
	s_wait_xcnt 0x0
	s_or_b32 exec_lo, exec_lo, s14
	s_wait_loadcnt 0x0
	global_load_b64 v[8:9], v[6:7], off offset:16
	s_wait_loadcnt 0x0
	v_cmp_eq_u64_e32 vcc_lo, 0, v[8:9]
	s_cbranch_vccnz .LBB1_182
; %bb.181:                              ;   in Loop: Header=BB1_117 Depth=1
	global_load_b32 v10, v[6:7], off offset:24
	s_wait_loadcnt 0x0
	v_readfirstlane_b32 s14, v10
	global_wb scope:SCOPE_SYS
	s_wait_storecnt 0x0
	s_wait_xcnt 0x0
	global_store_b64 v[8:9], v[10:11], off scope:SCOPE_SYS
	s_and_b32 m0, s14, 0xffffff
	s_sendmsg sendmsg(MSG_INTERRUPT)
.LBB1_182:                              ;   in Loop: Header=BB1_117 Depth=1
	s_wait_xcnt 0x0
	s_or_b32 exec_lo, exec_lo, s1
	v_mov_b32_e32 v31, v11
	s_delay_alu instid0(VALU_DEP_1)
	v_add_nc_u64_e32 v[6:7], v[28:29], v[30:31]
	s_branch .LBB1_186
.LBB1_183:                              ;   in Loop: Header=BB1_186 Depth=2
	s_wait_xcnt 0x0
	s_or_b32 exec_lo, exec_lo, s1
	s_delay_alu instid0(VALU_DEP_1)
	v_readfirstlane_b32 s1, v3
	s_cmp_eq_u32 s1, 0
	s_cbranch_scc1 .LBB1_185
; %bb.184:                              ;   in Loop: Header=BB1_186 Depth=2
	s_sleep 1
	s_cbranch_execnz .LBB1_186
	s_branch .LBB1_188
.LBB1_185:                              ;   in Loop: Header=BB1_117 Depth=1
	s_branch .LBB1_188
.LBB1_186:                              ;   Parent Loop BB1_117 Depth=1
                                        ; =>  This Inner Loop Header: Depth=2
	v_mov_b32_e32 v3, 1
	s_and_saveexec_b32 s1, s0
	s_cbranch_execz .LBB1_183
; %bb.187:                              ;   in Loop: Header=BB1_186 Depth=2
	global_load_b32 v3, v[32:33], off offset:20 scope:SCOPE_SYS
	s_wait_loadcnt 0x0
	global_inv scope:SCOPE_SYS
	v_and_b32_e32 v3, 1, v3
	s_branch .LBB1_183
.LBB1_188:                              ;   in Loop: Header=BB1_117 Depth=1
	global_load_b64 v[6:7], v[6:7], off
	s_wait_xcnt 0x0
	s_and_saveexec_b32 s14, s0
	s_cbranch_execz .LBB1_116
; %bb.189:                              ;   in Loop: Header=BB1_117 Depth=1
	s_clause 0x2
	global_load_b64 v[8:9], v11, s[2:3] offset:40
	global_load_b64 v[18:19], v11, s[2:3] offset:24 scope:SCOPE_SYS
	global_load_b64 v[14:15], v11, s[2:3]
	s_wait_loadcnt 0x2
	v_readfirstlane_b32 s16, v8
	v_readfirstlane_b32 s17, v9
	s_add_nc_u64 s[0:1], s[16:17], 1
	s_delay_alu instid0(SALU_CYCLE_1) | instskip(NEXT) | instid1(SALU_CYCLE_1)
	s_add_nc_u64 s[12:13], s[0:1], s[12:13]
	s_cmp_eq_u64 s[12:13], 0
	s_cselect_b32 s1, s1, s13
	s_cselect_b32 s0, s0, s12
	s_delay_alu instid0(SALU_CYCLE_1) | instskip(SKIP_1) | instid1(SALU_CYCLE_1)
	v_dual_mov_b32 v17, s1 :: v_dual_mov_b32 v16, s0
	s_and_b64 s[12:13], s[0:1], s[16:17]
	s_mul_u64 s[12:13], s[12:13], 24
	s_wait_loadcnt 0x0
	v_add_nc_u64_e32 v[8:9], s[12:13], v[14:15]
	global_store_b64 v[8:9], v[18:19], off
	global_wb scope:SCOPE_SYS
	s_wait_storecnt 0x0
	s_wait_xcnt 0x0
	global_atomic_cmpswap_b64 v[16:17], v11, v[16:19], s[2:3] offset:24 th:TH_ATOMIC_RETURN scope:SCOPE_SYS
	s_wait_loadcnt 0x0
	v_cmp_ne_u64_e32 vcc_lo, v[16:17], v[18:19]
	s_and_b32 exec_lo, exec_lo, vcc_lo
	s_cbranch_execz .LBB1_116
; %bb.190:                              ;   in Loop: Header=BB1_117 Depth=1
	s_mov_b32 s12, 0
.LBB1_191:                              ;   Parent Loop BB1_117 Depth=1
                                        ; =>  This Inner Loop Header: Depth=2
	v_dual_mov_b32 v14, s0 :: v_dual_mov_b32 v15, s1
	s_sleep 1
	global_store_b64 v[8:9], v[16:17], off
	global_wb scope:SCOPE_SYS
	s_wait_storecnt 0x0
	s_wait_xcnt 0x0
	global_atomic_cmpswap_b64 v[14:15], v11, v[14:17], s[2:3] offset:24 th:TH_ATOMIC_RETURN scope:SCOPE_SYS
	s_wait_loadcnt 0x0
	v_cmp_eq_u64_e32 vcc_lo, v[14:15], v[16:17]
	v_mov_b64_e32 v[16:17], v[14:15]
	s_or_b32 s12, vcc_lo, s12
	s_delay_alu instid0(SALU_CYCLE_1)
	s_and_not1_b32 exec_lo, exec_lo, s12
	s_cbranch_execnz .LBB1_191
	s_branch .LBB1_116
.LBB1_192:
	s_or_b32 exec_lo, exec_lo, s6
	s_branch .LBB1_114
.LBB1_193:
	v_readfirstlane_b32 s0, v48
	v_mov_b64_e32 v[8:9], 0
	s_delay_alu instid0(VALU_DEP_2)
	v_cmp_eq_u32_e64 s0, s0, v48
	s_and_saveexec_b32 s1, s0
	s_cbranch_execz .LBB1_199
; %bb.194:
	s_wait_loadcnt 0x0
	v_mov_b32_e32 v0, 0
	s_mov_b32 s4, exec_lo
	global_load_b64 v[10:11], v0, s[2:3] offset:24 scope:SCOPE_SYS
	s_wait_loadcnt 0x0
	global_inv scope:SCOPE_SYS
	s_clause 0x1
	global_load_b64 v[2:3], v0, s[2:3] offset:40
	global_load_b64 v[8:9], v0, s[2:3]
	s_wait_loadcnt 0x1
	v_and_b32_e32 v2, v2, v10
	v_and_b32_e32 v3, v3, v11
	s_delay_alu instid0(VALU_DEP_1) | instskip(SKIP_1) | instid1(VALU_DEP_1)
	v_mul_u64_e32 v[2:3], 24, v[2:3]
	s_wait_loadcnt 0x0
	v_add_nc_u64_e32 v[2:3], v[8:9], v[2:3]
	global_load_b64 v[8:9], v[2:3], off scope:SCOPE_SYS
	s_wait_xcnt 0x0
	s_wait_loadcnt 0x0
	global_atomic_cmpswap_b64 v[8:9], v0, v[8:11], s[2:3] offset:24 th:TH_ATOMIC_RETURN scope:SCOPE_SYS
	s_wait_loadcnt 0x0
	global_inv scope:SCOPE_SYS
	s_wait_xcnt 0x0
	v_cmpx_ne_u64_e64 v[8:9], v[10:11]
	s_cbranch_execz .LBB1_198
; %bb.195:
	s_mov_b32 s5, 0
.LBB1_196:                              ; =>This Inner Loop Header: Depth=1
	s_sleep 1
	s_clause 0x1
	global_load_b64 v[2:3], v0, s[2:3] offset:40
	global_load_b64 v[12:13], v0, s[2:3]
	v_mov_b64_e32 v[10:11], v[8:9]
	s_wait_loadcnt 0x1
	s_delay_alu instid0(VALU_DEP_1) | instskip(SKIP_1) | instid1(VALU_DEP_1)
	v_and_b32_e32 v1, v2, v10
	s_wait_loadcnt 0x0
	v_mad_nc_u64_u32 v[8:9], v1, 24, v[12:13]
	s_delay_alu instid0(VALU_DEP_3) | instskip(NEXT) | instid1(VALU_DEP_1)
	v_and_b32_e32 v1, v3, v11
	v_mad_u32 v9, v1, 24, v9
	global_load_b64 v[8:9], v[8:9], off scope:SCOPE_SYS
	s_wait_xcnt 0x0
	s_wait_loadcnt 0x0
	global_atomic_cmpswap_b64 v[8:9], v0, v[8:11], s[2:3] offset:24 th:TH_ATOMIC_RETURN scope:SCOPE_SYS
	s_wait_loadcnt 0x0
	global_inv scope:SCOPE_SYS
	v_cmp_eq_u64_e32 vcc_lo, v[8:9], v[10:11]
	s_or_b32 s5, vcc_lo, s5
	s_wait_xcnt 0x0
	s_and_not1_b32 exec_lo, exec_lo, s5
	s_cbranch_execnz .LBB1_196
; %bb.197:
	s_or_b32 exec_lo, exec_lo, s5
.LBB1_198:
	s_delay_alu instid0(SALU_CYCLE_1)
	s_or_b32 exec_lo, exec_lo, s4
.LBB1_199:
	s_delay_alu instid0(SALU_CYCLE_1)
	s_or_b32 exec_lo, exec_lo, s1
	v_readfirstlane_b32 s4, v8
	v_mov_b32_e32 v31, 0
	v_readfirstlane_b32 s5, v9
	s_mov_b32 s1, exec_lo
	global_load_b64 v[10:11], v31, s[2:3] offset:40
	s_wait_loadcnt 0x1
	global_load_b128 v[0:3], v31, s[2:3]
	s_wait_loadcnt 0x1
	v_and_b32_e32 v8, s4, v10
	v_and_b32_e32 v9, s5, v11
	s_delay_alu instid0(VALU_DEP_1) | instskip(SKIP_1) | instid1(VALU_DEP_1)
	v_mul_u64_e32 v[10:11], 24, v[8:9]
	s_wait_loadcnt 0x0
	v_add_nc_u64_e32 v[10:11], v[0:1], v[10:11]
	s_wait_xcnt 0x0
	s_and_saveexec_b32 s6, s0
	s_cbranch_execz .LBB1_201
; %bb.200:
	v_mov_b64_e32 v[14:15], 0x100000002
	v_dual_mov_b32 v12, s1 :: v_dual_mov_b32 v13, v31
	global_store_b128 v[10:11], v[12:15], off offset:8
.LBB1_201:
	s_wait_xcnt 0x0
	s_or_b32 exec_lo, exec_lo, s6
	v_lshlrev_b64_e32 v[8:9], 12, v[8:9]
	s_mov_b32 s12, 0
	v_and_or_b32 v6, 0xffffff1f, v6, 32
	s_mov_b32 s14, s12
	s_mov_b32 s15, s12
	;; [unrolled: 1-line block ×3, first 2 shown]
	v_mov_b64_e32 v[16:17], s[14:15]
	v_add_nc_u64_e32 v[12:13], v[2:3], v[8:9]
	v_mov_b64_e32 v[14:15], s[12:13]
	v_dual_mov_b32 v8, v31 :: v_dual_mov_b32 v9, v31
	s_delay_alu instid0(VALU_DEP_3) | instskip(NEXT) | instid1(VALU_DEP_4)
	v_readfirstlane_b32 s6, v12
	v_readfirstlane_b32 s7, v13
	s_clause 0x3
	global_store_b128 v30, v[6:9], s[6:7]
	global_store_b128 v30, v[14:17], s[6:7] offset:16
	global_store_b128 v30, v[14:17], s[6:7] offset:32
	;; [unrolled: 1-line block ×3, first 2 shown]
	s_wait_xcnt 0x0
	s_and_saveexec_b32 s1, s0
	s_cbranch_execz .LBB1_209
; %bb.202:
	v_dual_mov_b32 v8, 0 :: v_dual_mov_b32 v15, s5
	s_mov_b32 s6, exec_lo
	s_clause 0x1
	global_load_b64 v[16:17], v8, s[2:3] offset:32 scope:SCOPE_SYS
	global_load_b64 v[2:3], v8, s[2:3] offset:40
	s_wait_loadcnt 0x0
	v_dual_mov_b32 v14, s4 :: v_dual_bitop2_b32 v3, s5, v3 bitop3:0x40
	v_and_b32_e32 v2, s4, v2
	s_delay_alu instid0(VALU_DEP_1) | instskip(NEXT) | instid1(VALU_DEP_1)
	v_mul_u64_e32 v[2:3], 24, v[2:3]
	v_add_nc_u64_e32 v[6:7], v[0:1], v[2:3]
	global_store_b64 v[6:7], v[16:17], off
	global_wb scope:SCOPE_SYS
	s_wait_storecnt 0x0
	s_wait_xcnt 0x0
	global_atomic_cmpswap_b64 v[2:3], v8, v[14:17], s[2:3] offset:32 th:TH_ATOMIC_RETURN scope:SCOPE_SYS
	s_wait_loadcnt 0x0
	v_cmpx_ne_u64_e64 v[2:3], v[16:17]
	s_cbranch_execz .LBB1_205
; %bb.203:
	s_mov_b32 s7, 0
.LBB1_204:                              ; =>This Inner Loop Header: Depth=1
	v_dual_mov_b32 v0, s4 :: v_dual_mov_b32 v1, s5
	s_sleep 1
	global_store_b64 v[6:7], v[2:3], off
	global_wb scope:SCOPE_SYS
	s_wait_storecnt 0x0
	s_wait_xcnt 0x0
	global_atomic_cmpswap_b64 v[0:1], v8, v[0:3], s[2:3] offset:32 th:TH_ATOMIC_RETURN scope:SCOPE_SYS
	s_wait_loadcnt 0x0
	v_cmp_eq_u64_e32 vcc_lo, v[0:1], v[2:3]
	v_mov_b64_e32 v[2:3], v[0:1]
	s_or_b32 s7, vcc_lo, s7
	s_delay_alu instid0(SALU_CYCLE_1)
	s_and_not1_b32 exec_lo, exec_lo, s7
	s_cbranch_execnz .LBB1_204
.LBB1_205:
	s_or_b32 exec_lo, exec_lo, s6
	v_mov_b32_e32 v3, 0
	s_mov_b32 s7, exec_lo
	s_mov_b32 s6, exec_lo
	v_mbcnt_lo_u32_b32 v2, s7, 0
	global_load_b64 v[0:1], v3, s[2:3] offset:16
	s_wait_xcnt 0x0
	v_cmpx_eq_u32_e32 0, v2
	s_cbranch_execz .LBB1_207
; %bb.206:
	s_bcnt1_i32_b32 s7, s7
	s_delay_alu instid0(SALU_CYCLE_1)
	v_mov_b32_e32 v2, s7
	global_wb scope:SCOPE_SYS
	s_wait_loadcnt 0x0
	s_wait_storecnt 0x0
	global_atomic_add_u64 v[0:1], v[2:3], off offset:8 scope:SCOPE_SYS
.LBB1_207:
	s_wait_xcnt 0x0
	s_or_b32 exec_lo, exec_lo, s6
	s_wait_loadcnt 0x0
	global_load_b64 v[2:3], v[0:1], off offset:16
	s_wait_loadcnt 0x0
	v_cmp_eq_u64_e32 vcc_lo, 0, v[2:3]
	s_cbranch_vccnz .LBB1_209
; %bb.208:
	global_load_b32 v0, v[0:1], off offset:24
	s_wait_xcnt 0x0
	v_mov_b32_e32 v1, 0
	s_wait_loadcnt 0x0
	v_readfirstlane_b32 s6, v0
	global_wb scope:SCOPE_SYS
	s_wait_storecnt 0x0
	global_store_b64 v[2:3], v[0:1], off scope:SCOPE_SYS
	s_and_b32 m0, s6, 0xffffff
	s_sendmsg sendmsg(MSG_INTERRUPT)
.LBB1_209:
	s_wait_xcnt 0x0
	s_or_b32 exec_lo, exec_lo, s1
	v_add_nc_u64_e32 v[0:1], v[12:13], v[30:31]
	s_branch .LBB1_213
.LBB1_210:                              ;   in Loop: Header=BB1_213 Depth=1
	s_wait_xcnt 0x0
	s_or_b32 exec_lo, exec_lo, s1
	s_delay_alu instid0(VALU_DEP_1)
	v_readfirstlane_b32 s1, v2
	s_cmp_eq_u32 s1, 0
	s_cbranch_scc1 .LBB1_212
; %bb.211:                              ;   in Loop: Header=BB1_213 Depth=1
	s_sleep 1
	s_cbranch_execnz .LBB1_213
	s_branch .LBB1_216
.LBB1_212:
	s_branch .LBB1_216
.LBB1_213:                              ; =>This Inner Loop Header: Depth=1
	v_mov_b32_e32 v2, 1
	s_and_saveexec_b32 s1, s0
	s_cbranch_execz .LBB1_210
; %bb.214:                              ;   in Loop: Header=BB1_213 Depth=1
	global_load_b32 v2, v[10:11], off offset:20 scope:SCOPE_SYS
	s_wait_loadcnt 0x0
	global_inv scope:SCOPE_SYS
	v_and_b32_e32 v2, 1, v2
	s_branch .LBB1_210
.LBB1_215:
	s_branch .LBB1_249
.LBB1_216:
	global_load_b64 v[0:1], v[0:1], off
	s_wait_xcnt 0x0
	s_and_saveexec_b32 s6, s0
	s_cbranch_execz .LBB1_220
; %bb.217:
	v_mov_b32_e32 v10, 0
	s_clause 0x2
	global_load_b64 v[2:3], v10, s[2:3] offset:40
	global_load_b64 v[14:15], v10, s[2:3] offset:24 scope:SCOPE_SYS
	global_load_b64 v[6:7], v10, s[2:3]
	s_wait_loadcnt 0x2
	v_readfirstlane_b32 s10, v2
	v_readfirstlane_b32 s11, v3
	s_add_nc_u64 s[0:1], s[10:11], 1
	s_delay_alu instid0(SALU_CYCLE_1) | instskip(NEXT) | instid1(SALU_CYCLE_1)
	s_add_nc_u64 s[4:5], s[0:1], s[4:5]
	s_cmp_eq_u64 s[4:5], 0
	s_cselect_b32 s1, s1, s5
	s_cselect_b32 s0, s0, s4
	v_mov_b32_e32 v13, s1
	s_and_b64 s[4:5], s[0:1], s[10:11]
	v_mov_b32_e32 v12, s0
	s_mul_u64 s[4:5], s[4:5], 24
	s_wait_loadcnt 0x0
	v_add_nc_u64_e32 v[2:3], s[4:5], v[6:7]
	global_store_b64 v[2:3], v[14:15], off
	global_wb scope:SCOPE_SYS
	s_wait_storecnt 0x0
	s_wait_xcnt 0x0
	global_atomic_cmpswap_b64 v[8:9], v10, v[12:15], s[2:3] offset:24 th:TH_ATOMIC_RETURN scope:SCOPE_SYS
	s_wait_loadcnt 0x0
	v_cmp_ne_u64_e32 vcc_lo, v[8:9], v[14:15]
	s_and_b32 exec_lo, exec_lo, vcc_lo
	s_cbranch_execz .LBB1_220
; %bb.218:
	s_mov_b32 s4, 0
.LBB1_219:                              ; =>This Inner Loop Header: Depth=1
	v_dual_mov_b32 v6, s0 :: v_dual_mov_b32 v7, s1
	s_sleep 1
	global_store_b64 v[2:3], v[8:9], off
	global_wb scope:SCOPE_SYS
	s_wait_storecnt 0x0
	s_wait_xcnt 0x0
	global_atomic_cmpswap_b64 v[6:7], v10, v[6:9], s[2:3] offset:24 th:TH_ATOMIC_RETURN scope:SCOPE_SYS
	s_wait_loadcnt 0x0
	v_cmp_eq_u64_e32 vcc_lo, v[6:7], v[8:9]
	v_mov_b64_e32 v[8:9], v[6:7]
	s_or_b32 s4, vcc_lo, s4
	s_delay_alu instid0(SALU_CYCLE_1)
	s_and_not1_b32 exec_lo, exec_lo, s4
	s_cbranch_execnz .LBB1_219
.LBB1_220:
	s_or_b32 exec_lo, exec_lo, s6
	s_get_pc_i64 s[4:5]
	s_add_nc_u64 s[4:5], s[4:5], .str.4@rel64+4
	s_delay_alu instid0(SALU_CYCLE_1)
	s_cmp_lg_u64 s[4:5], 0
	s_cbranch_scc1 .LBB1_115
.LBB1_221:
                                        ; implicit-def: $vgpr6_vgpr7
	s_cbranch_execz .LBB1_249
; %bb.222:
	v_readfirstlane_b32 s0, v48
	v_mov_b64_e32 v[2:3], 0
	s_delay_alu instid0(VALU_DEP_2)
	v_cmp_eq_u32_e64 s0, s0, v48
	s_and_saveexec_b32 s1, s0
	s_cbranch_execz .LBB1_228
; %bb.223:
	s_wait_loadcnt 0x0
	v_mov_b32_e32 v6, 0
	s_mov_b32 s4, exec_lo
	global_load_b64 v[10:11], v6, s[2:3] offset:24 scope:SCOPE_SYS
	s_wait_loadcnt 0x0
	global_inv scope:SCOPE_SYS
	s_clause 0x1
	global_load_b64 v[2:3], v6, s[2:3] offset:40
	global_load_b64 v[8:9], v6, s[2:3]
	s_wait_loadcnt 0x1
	v_and_b32_e32 v2, v2, v10
	v_and_b32_e32 v3, v3, v11
	s_delay_alu instid0(VALU_DEP_1) | instskip(SKIP_1) | instid1(VALU_DEP_1)
	v_mul_u64_e32 v[2:3], 24, v[2:3]
	s_wait_loadcnt 0x0
	v_add_nc_u64_e32 v[2:3], v[8:9], v[2:3]
	global_load_b64 v[8:9], v[2:3], off scope:SCOPE_SYS
	s_wait_xcnt 0x0
	s_wait_loadcnt 0x0
	global_atomic_cmpswap_b64 v[2:3], v6, v[8:11], s[2:3] offset:24 th:TH_ATOMIC_RETURN scope:SCOPE_SYS
	s_wait_loadcnt 0x0
	global_inv scope:SCOPE_SYS
	s_wait_xcnt 0x0
	v_cmpx_ne_u64_e64 v[2:3], v[10:11]
	s_cbranch_execz .LBB1_227
; %bb.224:
	s_mov_b32 s5, 0
.LBB1_225:                              ; =>This Inner Loop Header: Depth=1
	s_sleep 1
	s_clause 0x1
	global_load_b64 v[8:9], v6, s[2:3] offset:40
	global_load_b64 v[12:13], v6, s[2:3]
	v_mov_b64_e32 v[10:11], v[2:3]
	s_wait_loadcnt 0x1
	s_delay_alu instid0(VALU_DEP_1) | instskip(NEXT) | instid1(VALU_DEP_2)
	v_and_b32_e32 v2, v8, v10
	v_and_b32_e32 v7, v9, v11
	s_wait_loadcnt 0x0
	s_delay_alu instid0(VALU_DEP_2) | instskip(NEXT) | instid1(VALU_DEP_1)
	v_mad_nc_u64_u32 v[2:3], v2, 24, v[12:13]
	v_mad_u32 v3, v7, 24, v3
	global_load_b64 v[8:9], v[2:3], off scope:SCOPE_SYS
	s_wait_xcnt 0x0
	s_wait_loadcnt 0x0
	global_atomic_cmpswap_b64 v[2:3], v6, v[8:11], s[2:3] offset:24 th:TH_ATOMIC_RETURN scope:SCOPE_SYS
	s_wait_loadcnt 0x0
	global_inv scope:SCOPE_SYS
	v_cmp_eq_u64_e32 vcc_lo, v[2:3], v[10:11]
	s_or_b32 s5, vcc_lo, s5
	s_wait_xcnt 0x0
	s_and_not1_b32 exec_lo, exec_lo, s5
	s_cbranch_execnz .LBB1_225
; %bb.226:
	s_or_b32 exec_lo, exec_lo, s5
.LBB1_227:
	s_delay_alu instid0(SALU_CYCLE_1)
	s_or_b32 exec_lo, exec_lo, s4
.LBB1_228:
	s_delay_alu instid0(SALU_CYCLE_1)
	s_or_b32 exec_lo, exec_lo, s1
	v_readfirstlane_b32 s4, v2
	v_mov_b32_e32 v31, 0
	v_readfirstlane_b32 s5, v3
	s_mov_b32 s1, exec_lo
	global_load_b64 v[10:11], v31, s[2:3] offset:40
	s_wait_loadcnt 0x1
	global_load_b128 v[6:9], v31, s[2:3]
	s_wait_loadcnt 0x1
	v_and_b32_e32 v2, s4, v10
	v_and_b32_e32 v3, s5, v11
	s_delay_alu instid0(VALU_DEP_1) | instskip(SKIP_1) | instid1(VALU_DEP_1)
	v_mul_u64_e32 v[10:11], 24, v[2:3]
	s_wait_loadcnt 0x0
	v_add_nc_u64_e32 v[10:11], v[6:7], v[10:11]
	s_wait_xcnt 0x0
	s_and_saveexec_b32 s6, s0
	s_cbranch_execz .LBB1_230
; %bb.229:
	v_mov_b64_e32 v[14:15], 0x100000002
	v_dual_mov_b32 v12, s1 :: v_dual_mov_b32 v13, v31
	global_store_b128 v[10:11], v[12:15], off offset:8
.LBB1_230:
	s_wait_xcnt 0x0
	s_or_b32 exec_lo, exec_lo, s6
	v_lshlrev_b64_e32 v[2:3], 12, v[2:3]
	s_mov_b32 s12, 0
	v_and_or_b32 v0, 0xffffff1f, v0, 32
	s_mov_b32 s13, s12
	s_mov_b32 s14, s12
	;; [unrolled: 1-line block ×3, first 2 shown]
	v_mov_b64_e32 v[12:13], s[12:13]
	v_add_nc_u64_e32 v[8:9], v[8:9], v[2:3]
	v_mov_b64_e32 v[14:15], s[14:15]
	v_dual_mov_b32 v2, v31 :: v_dual_mov_b32 v3, v31
	s_delay_alu instid0(VALU_DEP_3) | instskip(NEXT) | instid1(VALU_DEP_4)
	v_readfirstlane_b32 s6, v8
	v_readfirstlane_b32 s7, v9
	s_clause 0x3
	global_store_b128 v30, v[0:3], s[6:7]
	global_store_b128 v30, v[12:15], s[6:7] offset:16
	global_store_b128 v30, v[12:15], s[6:7] offset:32
	;; [unrolled: 1-line block ×3, first 2 shown]
	s_wait_xcnt 0x0
	s_and_saveexec_b32 s1, s0
	s_cbranch_execz .LBB1_238
; %bb.231:
	v_dual_mov_b32 v12, 0 :: v_dual_mov_b32 v15, s5
	s_mov_b32 s6, exec_lo
	s_clause 0x1
	global_load_b64 v[16:17], v12, s[2:3] offset:32 scope:SCOPE_SYS
	global_load_b64 v[0:1], v12, s[2:3] offset:40
	s_wait_loadcnt 0x0
	v_dual_mov_b32 v14, s4 :: v_dual_bitop2_b32 v1, s5, v1 bitop3:0x40
	v_and_b32_e32 v0, s4, v0
	s_delay_alu instid0(VALU_DEP_1) | instskip(NEXT) | instid1(VALU_DEP_1)
	v_mul_u64_e32 v[0:1], 24, v[0:1]
	v_add_nc_u64_e32 v[6:7], v[6:7], v[0:1]
	global_store_b64 v[6:7], v[16:17], off
	global_wb scope:SCOPE_SYS
	s_wait_storecnt 0x0
	s_wait_xcnt 0x0
	global_atomic_cmpswap_b64 v[2:3], v12, v[14:17], s[2:3] offset:32 th:TH_ATOMIC_RETURN scope:SCOPE_SYS
	s_wait_loadcnt 0x0
	v_cmpx_ne_u64_e64 v[2:3], v[16:17]
	s_cbranch_execz .LBB1_234
; %bb.232:
	s_mov_b32 s7, 0
.LBB1_233:                              ; =>This Inner Loop Header: Depth=1
	v_dual_mov_b32 v0, s4 :: v_dual_mov_b32 v1, s5
	s_sleep 1
	global_store_b64 v[6:7], v[2:3], off
	global_wb scope:SCOPE_SYS
	s_wait_storecnt 0x0
	s_wait_xcnt 0x0
	global_atomic_cmpswap_b64 v[0:1], v12, v[0:3], s[2:3] offset:32 th:TH_ATOMIC_RETURN scope:SCOPE_SYS
	s_wait_loadcnt 0x0
	v_cmp_eq_u64_e32 vcc_lo, v[0:1], v[2:3]
	v_mov_b64_e32 v[2:3], v[0:1]
	s_or_b32 s7, vcc_lo, s7
	s_delay_alu instid0(SALU_CYCLE_1)
	s_and_not1_b32 exec_lo, exec_lo, s7
	s_cbranch_execnz .LBB1_233
.LBB1_234:
	s_or_b32 exec_lo, exec_lo, s6
	v_mov_b32_e32 v3, 0
	s_mov_b32 s7, exec_lo
	s_mov_b32 s6, exec_lo
	v_mbcnt_lo_u32_b32 v2, s7, 0
	global_load_b64 v[0:1], v3, s[2:3] offset:16
	s_wait_xcnt 0x0
	v_cmpx_eq_u32_e32 0, v2
	s_cbranch_execz .LBB1_236
; %bb.235:
	s_bcnt1_i32_b32 s7, s7
	s_delay_alu instid0(SALU_CYCLE_1)
	v_mov_b32_e32 v2, s7
	global_wb scope:SCOPE_SYS
	s_wait_loadcnt 0x0
	s_wait_storecnt 0x0
	global_atomic_add_u64 v[0:1], v[2:3], off offset:8 scope:SCOPE_SYS
.LBB1_236:
	s_wait_xcnt 0x0
	s_or_b32 exec_lo, exec_lo, s6
	s_wait_loadcnt 0x0
	global_load_b64 v[2:3], v[0:1], off offset:16
	s_wait_loadcnt 0x0
	v_cmp_eq_u64_e32 vcc_lo, 0, v[2:3]
	s_cbranch_vccnz .LBB1_238
; %bb.237:
	global_load_b32 v0, v[0:1], off offset:24
	s_wait_xcnt 0x0
	v_mov_b32_e32 v1, 0
	s_wait_loadcnt 0x0
	v_readfirstlane_b32 s6, v0
	global_wb scope:SCOPE_SYS
	s_wait_storecnt 0x0
	global_store_b64 v[2:3], v[0:1], off scope:SCOPE_SYS
	s_and_b32 m0, s6, 0xffffff
	s_sendmsg sendmsg(MSG_INTERRUPT)
.LBB1_238:
	s_wait_xcnt 0x0
	s_or_b32 exec_lo, exec_lo, s1
	v_add_nc_u64_e32 v[0:1], v[8:9], v[30:31]
	s_branch .LBB1_242
.LBB1_239:                              ;   in Loop: Header=BB1_242 Depth=1
	s_wait_xcnt 0x0
	s_or_b32 exec_lo, exec_lo, s1
	s_delay_alu instid0(VALU_DEP_1)
	v_readfirstlane_b32 s1, v2
	s_cmp_eq_u32 s1, 0
	s_cbranch_scc1 .LBB1_241
; %bb.240:                              ;   in Loop: Header=BB1_242 Depth=1
	s_sleep 1
	s_cbranch_execnz .LBB1_242
	s_branch .LBB1_244
.LBB1_241:
	s_branch .LBB1_244
.LBB1_242:                              ; =>This Inner Loop Header: Depth=1
	v_mov_b32_e32 v2, 1
	s_and_saveexec_b32 s1, s0
	s_cbranch_execz .LBB1_239
; %bb.243:                              ;   in Loop: Header=BB1_242 Depth=1
	global_load_b32 v2, v[10:11], off offset:20 scope:SCOPE_SYS
	s_wait_loadcnt 0x0
	global_inv scope:SCOPE_SYS
	v_and_b32_e32 v2, 1, v2
	s_branch .LBB1_239
.LBB1_244:
	global_load_b64 v[6:7], v[0:1], off
	s_wait_xcnt 0x0
	s_and_saveexec_b32 s6, s0
	s_cbranch_execz .LBB1_248
; %bb.245:
	v_mov_b32_e32 v10, 0
	s_clause 0x2
	global_load_b64 v[0:1], v10, s[2:3] offset:40
	global_load_b64 v[14:15], v10, s[2:3] offset:24 scope:SCOPE_SYS
	global_load_b64 v[2:3], v10, s[2:3]
	s_wait_loadcnt 0x2
	v_readfirstlane_b32 s10, v0
	v_readfirstlane_b32 s11, v1
	s_add_nc_u64 s[0:1], s[10:11], 1
	s_delay_alu instid0(SALU_CYCLE_1) | instskip(NEXT) | instid1(SALU_CYCLE_1)
	s_add_nc_u64 s[4:5], s[0:1], s[4:5]
	s_cmp_eq_u64 s[4:5], 0
	s_cselect_b32 s1, s1, s5
	s_cselect_b32 s0, s0, s4
	v_mov_b32_e32 v13, s1
	s_and_b64 s[4:5], s[0:1], s[10:11]
	v_mov_b32_e32 v12, s0
	s_mul_u64 s[4:5], s[4:5], 24
	s_wait_loadcnt 0x0
	v_add_nc_u64_e32 v[8:9], s[4:5], v[2:3]
	global_store_b64 v[8:9], v[14:15], off
	global_wb scope:SCOPE_SYS
	s_wait_storecnt 0x0
	s_wait_xcnt 0x0
	global_atomic_cmpswap_b64 v[2:3], v10, v[12:15], s[2:3] offset:24 th:TH_ATOMIC_RETURN scope:SCOPE_SYS
	s_wait_loadcnt 0x0
	v_cmp_ne_u64_e32 vcc_lo, v[2:3], v[14:15]
	s_and_b32 exec_lo, exec_lo, vcc_lo
	s_cbranch_execz .LBB1_248
; %bb.246:
	s_mov_b32 s4, 0
.LBB1_247:                              ; =>This Inner Loop Header: Depth=1
	v_dual_mov_b32 v0, s0 :: v_dual_mov_b32 v1, s1
	s_sleep 1
	global_store_b64 v[8:9], v[2:3], off
	global_wb scope:SCOPE_SYS
	s_wait_storecnt 0x0
	s_wait_xcnt 0x0
	global_atomic_cmpswap_b64 v[0:1], v10, v[0:3], s[2:3] offset:24 th:TH_ATOMIC_RETURN scope:SCOPE_SYS
	s_wait_loadcnt 0x0
	v_cmp_eq_u64_e32 vcc_lo, v[0:1], v[2:3]
	v_mov_b64_e32 v[2:3], v[0:1]
	s_or_b32 s4, vcc_lo, s4
	s_delay_alu instid0(SALU_CYCLE_1)
	s_and_not1_b32 exec_lo, exec_lo, s4
	s_cbranch_execnz .LBB1_247
.LBB1_248:
	s_or_b32 exec_lo, exec_lo, s6
.LBB1_249:
	v_readfirstlane_b32 s0, v48
	v_mov_b64_e32 v[8:9], 0
	s_delay_alu instid0(VALU_DEP_2)
	v_cmp_eq_u32_e64 s0, s0, v48
	s_and_saveexec_b32 s1, s0
	s_cbranch_execz .LBB1_255
; %bb.250:
	s_wait_loadcnt 0x0
	v_mov_b32_e32 v0, 0
	s_mov_b32 s4, exec_lo
	global_load_b64 v[10:11], v0, s[2:3] offset:24 scope:SCOPE_SYS
	s_wait_loadcnt 0x0
	global_inv scope:SCOPE_SYS
	s_clause 0x1
	global_load_b64 v[2:3], v0, s[2:3] offset:40
	global_load_b64 v[8:9], v0, s[2:3]
	s_wait_loadcnt 0x1
	v_and_b32_e32 v2, v2, v10
	v_and_b32_e32 v3, v3, v11
	s_delay_alu instid0(VALU_DEP_1) | instskip(SKIP_1) | instid1(VALU_DEP_1)
	v_mul_u64_e32 v[2:3], 24, v[2:3]
	s_wait_loadcnt 0x0
	v_add_nc_u64_e32 v[2:3], v[8:9], v[2:3]
	global_load_b64 v[8:9], v[2:3], off scope:SCOPE_SYS
	s_wait_xcnt 0x0
	s_wait_loadcnt 0x0
	global_atomic_cmpswap_b64 v[8:9], v0, v[8:11], s[2:3] offset:24 th:TH_ATOMIC_RETURN scope:SCOPE_SYS
	s_wait_loadcnt 0x0
	global_inv scope:SCOPE_SYS
	s_wait_xcnt 0x0
	v_cmpx_ne_u64_e64 v[8:9], v[10:11]
	s_cbranch_execz .LBB1_254
; %bb.251:
	s_mov_b32 s5, 0
.LBB1_252:                              ; =>This Inner Loop Header: Depth=1
	s_sleep 1
	s_clause 0x1
	global_load_b64 v[2:3], v0, s[2:3] offset:40
	global_load_b64 v[12:13], v0, s[2:3]
	v_mov_b64_e32 v[10:11], v[8:9]
	s_wait_loadcnt 0x1
	s_delay_alu instid0(VALU_DEP_1) | instskip(SKIP_1) | instid1(VALU_DEP_1)
	v_and_b32_e32 v1, v2, v10
	s_wait_loadcnt 0x0
	v_mad_nc_u64_u32 v[8:9], v1, 24, v[12:13]
	s_delay_alu instid0(VALU_DEP_3) | instskip(NEXT) | instid1(VALU_DEP_1)
	v_and_b32_e32 v1, v3, v11
	v_mad_u32 v9, v1, 24, v9
	global_load_b64 v[8:9], v[8:9], off scope:SCOPE_SYS
	s_wait_xcnt 0x0
	s_wait_loadcnt 0x0
	global_atomic_cmpswap_b64 v[8:9], v0, v[8:11], s[2:3] offset:24 th:TH_ATOMIC_RETURN scope:SCOPE_SYS
	s_wait_loadcnt 0x0
	global_inv scope:SCOPE_SYS
	v_cmp_eq_u64_e32 vcc_lo, v[8:9], v[10:11]
	s_or_b32 s5, vcc_lo, s5
	s_wait_xcnt 0x0
	s_and_not1_b32 exec_lo, exec_lo, s5
	s_cbranch_execnz .LBB1_252
; %bb.253:
	s_or_b32 exec_lo, exec_lo, s5
.LBB1_254:
	s_delay_alu instid0(SALU_CYCLE_1)
	s_or_b32 exec_lo, exec_lo, s4
.LBB1_255:
	s_delay_alu instid0(SALU_CYCLE_1)
	s_or_b32 exec_lo, exec_lo, s1
	v_readfirstlane_b32 s4, v8
	v_mov_b32_e32 v31, 0
	v_readfirstlane_b32 s5, v9
	s_mov_b32 s1, exec_lo
	global_load_b64 v[10:11], v31, s[2:3] offset:40
	s_wait_loadcnt 0x1
	global_load_b128 v[0:3], v31, s[2:3]
	s_wait_loadcnt 0x1
	v_and_b32_e32 v8, s4, v10
	v_and_b32_e32 v9, s5, v11
	s_delay_alu instid0(VALU_DEP_1) | instskip(SKIP_1) | instid1(VALU_DEP_1)
	v_mul_u64_e32 v[10:11], 24, v[8:9]
	s_wait_loadcnt 0x0
	v_add_nc_u64_e32 v[10:11], v[0:1], v[10:11]
	s_wait_xcnt 0x0
	s_and_saveexec_b32 s6, s0
	s_cbranch_execz .LBB1_257
; %bb.256:
	v_mov_b64_e32 v[14:15], 0x100000002
	v_dual_mov_b32 v12, s1 :: v_dual_mov_b32 v13, v31
	global_store_b128 v[10:11], v[12:15], off offset:8
.LBB1_257:
	s_wait_xcnt 0x0
	s_or_b32 exec_lo, exec_lo, s6
	v_lshlrev_b64_e32 v[8:9], 12, v[8:9]
	s_mov_b32 s12, 0
	v_and_or_b32 v6, 0xffffff1f, v6, 32
	s_mov_b32 s14, s12
	s_mov_b32 s15, s12
	s_mov_b32 s13, s12
	v_mov_b64_e32 v[16:17], s[14:15]
	v_add_nc_u64_e32 v[12:13], v[2:3], v[8:9]
	v_mov_b64_e32 v[14:15], s[12:13]
	v_dual_mov_b32 v8, 0x331 :: v_dual_mov_b32 v9, v31
	s_delay_alu instid0(VALU_DEP_3) | instskip(NEXT) | instid1(VALU_DEP_4)
	v_readfirstlane_b32 s6, v12
	v_readfirstlane_b32 s7, v13
	s_clause 0x3
	global_store_b128 v30, v[6:9], s[6:7]
	global_store_b128 v30, v[14:17], s[6:7] offset:16
	global_store_b128 v30, v[14:17], s[6:7] offset:32
	;; [unrolled: 1-line block ×3, first 2 shown]
	s_wait_xcnt 0x0
	s_and_saveexec_b32 s1, s0
	s_cbranch_execz .LBB1_265
; %bb.258:
	v_dual_mov_b32 v8, 0 :: v_dual_mov_b32 v15, s5
	s_mov_b32 s6, exec_lo
	s_clause 0x1
	global_load_b64 v[16:17], v8, s[2:3] offset:32 scope:SCOPE_SYS
	global_load_b64 v[2:3], v8, s[2:3] offset:40
	s_wait_loadcnt 0x0
	v_dual_mov_b32 v14, s4 :: v_dual_bitop2_b32 v3, s5, v3 bitop3:0x40
	v_and_b32_e32 v2, s4, v2
	s_delay_alu instid0(VALU_DEP_1) | instskip(NEXT) | instid1(VALU_DEP_1)
	v_mul_u64_e32 v[2:3], 24, v[2:3]
	v_add_nc_u64_e32 v[6:7], v[0:1], v[2:3]
	global_store_b64 v[6:7], v[16:17], off
	global_wb scope:SCOPE_SYS
	s_wait_storecnt 0x0
	s_wait_xcnt 0x0
	global_atomic_cmpswap_b64 v[2:3], v8, v[14:17], s[2:3] offset:32 th:TH_ATOMIC_RETURN scope:SCOPE_SYS
	s_wait_loadcnt 0x0
	v_cmpx_ne_u64_e64 v[2:3], v[16:17]
	s_cbranch_execz .LBB1_261
; %bb.259:
	s_mov_b32 s7, 0
.LBB1_260:                              ; =>This Inner Loop Header: Depth=1
	v_dual_mov_b32 v0, s4 :: v_dual_mov_b32 v1, s5
	s_sleep 1
	global_store_b64 v[6:7], v[2:3], off
	global_wb scope:SCOPE_SYS
	s_wait_storecnt 0x0
	s_wait_xcnt 0x0
	global_atomic_cmpswap_b64 v[0:1], v8, v[0:3], s[2:3] offset:32 th:TH_ATOMIC_RETURN scope:SCOPE_SYS
	s_wait_loadcnt 0x0
	v_cmp_eq_u64_e32 vcc_lo, v[0:1], v[2:3]
	v_mov_b64_e32 v[2:3], v[0:1]
	s_or_b32 s7, vcc_lo, s7
	s_delay_alu instid0(SALU_CYCLE_1)
	s_and_not1_b32 exec_lo, exec_lo, s7
	s_cbranch_execnz .LBB1_260
.LBB1_261:
	s_or_b32 exec_lo, exec_lo, s6
	v_mov_b32_e32 v3, 0
	s_mov_b32 s7, exec_lo
	s_mov_b32 s6, exec_lo
	v_mbcnt_lo_u32_b32 v2, s7, 0
	global_load_b64 v[0:1], v3, s[2:3] offset:16
	s_wait_xcnt 0x0
	v_cmpx_eq_u32_e32 0, v2
	s_cbranch_execz .LBB1_263
; %bb.262:
	s_bcnt1_i32_b32 s7, s7
	s_delay_alu instid0(SALU_CYCLE_1)
	v_mov_b32_e32 v2, s7
	global_wb scope:SCOPE_SYS
	s_wait_loadcnt 0x0
	s_wait_storecnt 0x0
	global_atomic_add_u64 v[0:1], v[2:3], off offset:8 scope:SCOPE_SYS
.LBB1_263:
	s_wait_xcnt 0x0
	s_or_b32 exec_lo, exec_lo, s6
	s_wait_loadcnt 0x0
	global_load_b64 v[2:3], v[0:1], off offset:16
	s_wait_loadcnt 0x0
	v_cmp_eq_u64_e32 vcc_lo, 0, v[2:3]
	s_cbranch_vccnz .LBB1_265
; %bb.264:
	global_load_b32 v0, v[0:1], off offset:24
	s_wait_xcnt 0x0
	v_mov_b32_e32 v1, 0
	s_wait_loadcnt 0x0
	v_readfirstlane_b32 s6, v0
	global_wb scope:SCOPE_SYS
	s_wait_storecnt 0x0
	global_store_b64 v[2:3], v[0:1], off scope:SCOPE_SYS
	s_and_b32 m0, s6, 0xffffff
	s_sendmsg sendmsg(MSG_INTERRUPT)
.LBB1_265:
	s_wait_xcnt 0x0
	s_or_b32 exec_lo, exec_lo, s1
	v_add_nc_u64_e32 v[0:1], v[12:13], v[30:31]
	s_branch .LBB1_269
.LBB1_266:                              ;   in Loop: Header=BB1_269 Depth=1
	s_wait_xcnt 0x0
	s_or_b32 exec_lo, exec_lo, s1
	s_delay_alu instid0(VALU_DEP_1)
	v_readfirstlane_b32 s1, v2
	s_cmp_eq_u32 s1, 0
	s_cbranch_scc1 .LBB1_268
; %bb.267:                              ;   in Loop: Header=BB1_269 Depth=1
	s_sleep 1
	s_cbranch_execnz .LBB1_269
	s_branch .LBB1_271
.LBB1_268:
	s_branch .LBB1_271
.LBB1_269:                              ; =>This Inner Loop Header: Depth=1
	v_mov_b32_e32 v2, 1
	s_and_saveexec_b32 s1, s0
	s_cbranch_execz .LBB1_266
; %bb.270:                              ;   in Loop: Header=BB1_269 Depth=1
	global_load_b32 v2, v[10:11], off offset:20 scope:SCOPE_SYS
	s_wait_loadcnt 0x0
	global_inv scope:SCOPE_SYS
	v_and_b32_e32 v2, 1, v2
	s_branch .LBB1_266
.LBB1_271:
	global_load_b64 v[0:1], v[0:1], off
	s_wait_xcnt 0x0
	s_and_saveexec_b32 s6, s0
	s_cbranch_execz .LBB1_275
; %bb.272:
	v_mov_b32_e32 v10, 0
	s_clause 0x2
	global_load_b64 v[2:3], v10, s[2:3] offset:40
	global_load_b64 v[14:15], v10, s[2:3] offset:24 scope:SCOPE_SYS
	global_load_b64 v[6:7], v10, s[2:3]
	s_wait_loadcnt 0x2
	v_readfirstlane_b32 s10, v2
	v_readfirstlane_b32 s11, v3
	s_add_nc_u64 s[0:1], s[10:11], 1
	s_delay_alu instid0(SALU_CYCLE_1) | instskip(NEXT) | instid1(SALU_CYCLE_1)
	s_add_nc_u64 s[4:5], s[0:1], s[4:5]
	s_cmp_eq_u64 s[4:5], 0
	s_cselect_b32 s1, s1, s5
	s_cselect_b32 s0, s0, s4
	v_mov_b32_e32 v13, s1
	s_and_b64 s[4:5], s[0:1], s[10:11]
	v_mov_b32_e32 v12, s0
	s_mul_u64 s[4:5], s[4:5], 24
	s_wait_loadcnt 0x0
	v_add_nc_u64_e32 v[2:3], s[4:5], v[6:7]
	global_store_b64 v[2:3], v[14:15], off
	global_wb scope:SCOPE_SYS
	s_wait_storecnt 0x0
	s_wait_xcnt 0x0
	global_atomic_cmpswap_b64 v[8:9], v10, v[12:15], s[2:3] offset:24 th:TH_ATOMIC_RETURN scope:SCOPE_SYS
	s_wait_loadcnt 0x0
	v_cmp_ne_u64_e32 vcc_lo, v[8:9], v[14:15]
	s_and_b32 exec_lo, exec_lo, vcc_lo
	s_cbranch_execz .LBB1_275
; %bb.273:
	s_mov_b32 s4, 0
.LBB1_274:                              ; =>This Inner Loop Header: Depth=1
	v_dual_mov_b32 v6, s0 :: v_dual_mov_b32 v7, s1
	s_sleep 1
	global_store_b64 v[2:3], v[8:9], off
	global_wb scope:SCOPE_SYS
	s_wait_storecnt 0x0
	s_wait_xcnt 0x0
	global_atomic_cmpswap_b64 v[6:7], v10, v[6:9], s[2:3] offset:24 th:TH_ATOMIC_RETURN scope:SCOPE_SYS
	s_wait_loadcnt 0x0
	v_cmp_eq_u64_e32 vcc_lo, v[6:7], v[8:9]
	v_mov_b64_e32 v[8:9], v[6:7]
	s_or_b32 s4, vcc_lo, s4
	s_delay_alu instid0(SALU_CYCLE_1)
	s_and_not1_b32 exec_lo, exec_lo, s4
	s_cbranch_execnz .LBB1_274
.LBB1_275:
	s_or_b32 exec_lo, exec_lo, s6
	v_mov_b64_e32 v[2:3], v[4:5]
	s_mov_b32 s0, 0
.LBB1_276:                              ; =>This Inner Loop Header: Depth=1
	global_load_u8 v6, v[2:3], off
	s_wait_xcnt 0x0
	v_add_nc_u64_e32 v[2:3], 1, v[2:3]
	s_wait_loadcnt 0x0
	v_cmp_eq_u16_e32 vcc_lo, 0, v6
	s_or_b32 s0, vcc_lo, s0
	s_delay_alu instid0(SALU_CYCLE_1)
	s_and_not1_b32 exec_lo, exec_lo, s0
	s_cbranch_execnz .LBB1_276
; %bb.277:
	s_or_b32 exec_lo, exec_lo, s0
	s_delay_alu instid0(SALU_CYCLE_1)
	s_mov_b32 s0, exec_lo
	v_cmpx_ne_u64_e32 0, v[4:5]
	s_xor_b32 s6, exec_lo, s0
	s_cbranch_execz .LBB1_363
; %bb.278:
	v_dual_mov_b32 v31, 0 :: v_dual_sub_nc_u32 v26, v2, v4
	v_mov_b64_e32 v[8:9], 0x100000002
	v_and_b32_e32 v28, 2, v0
	s_delay_alu instid0(VALU_DEP_3)
	v_dual_ashrrev_i32 v27, 31, v26 :: v_dual_bitop2_b32 v0, -3, v0 bitop3:0x40
	s_mov_b32 s10, 0
	s_mov_b32 s7, 0
	s_branch .LBB1_280
.LBB1_279:                              ;   in Loop: Header=BB1_280 Depth=1
	s_or_b32 exec_lo, exec_lo, s11
	v_sub_nc_u64_e32 v[26:27], v[26:27], v[32:33]
	v_add_nc_u64_e32 v[4:5], v[4:5], v[32:33]
	s_delay_alu instid0(VALU_DEP_2) | instskip(SKIP_1) | instid1(SALU_CYCLE_1)
	v_cmp_eq_u64_e32 vcc_lo, 0, v[26:27]
	s_or_b32 s7, vcc_lo, s7
	s_and_not1_b32 exec_lo, exec_lo, s7
	s_cbranch_execz .LBB1_362
.LBB1_280:                              ; =>This Loop Header: Depth=1
                                        ;     Child Loop BB1_283 Depth 2
                                        ;     Child Loop BB1_291 Depth 2
	;; [unrolled: 1-line block ×11, first 2 shown]
	s_delay_alu instid0(VALU_DEP_1) | instskip(NEXT) | instid1(VALU_DEP_3)
	v_min_u64 v[32:33], v[26:27], 56
	v_add_nc_u64_e32 v[12:13], 8, v[4:5]
	s_mov_b32 s0, exec_lo
	v_cmpx_gt_u64_e32 8, v[26:27]
	s_xor_b32 s4, exec_lo, s0
	s_cbranch_execz .LBB1_286
; %bb.281:                              ;   in Loop: Header=BB1_280 Depth=1
	v_mov_b64_e32 v[2:3], 0
	s_mov_b32 s5, exec_lo
	v_cmpx_ne_u64_e32 0, v[26:27]
	s_cbranch_execz .LBB1_285
; %bb.282:                              ;   in Loop: Header=BB1_280 Depth=1
	v_mov_b64_e32 v[2:3], 0
	v_mov_b64_e32 v[10:11], v[4:5]
	v_lshlrev_b32_e32 v6, 3, v32
	s_mov_b64 s[0:1], 0
	s_mov_b32 s11, 0
.LBB1_283:                              ;   Parent Loop BB1_280 Depth=1
                                        ; =>  This Inner Loop Header: Depth=2
	global_load_u8 v7, v[10:11], off
	v_mov_b32_e32 v13, s10
	s_wait_xcnt 0x0
	v_add_nc_u64_e32 v[10:11], 1, v[10:11]
	s_wait_loadcnt 0x0
	v_and_b32_e32 v12, 0xffff, v7
	s_delay_alu instid0(VALU_DEP_1) | instskip(SKIP_1) | instid1(SALU_CYCLE_1)
	v_lshlrev_b64_e32 v[12:13], s0, v[12:13]
	s_add_nc_u64 s[0:1], s[0:1], 8
	v_cmp_eq_u32_e32 vcc_lo, s0, v6
	s_delay_alu instid0(VALU_DEP_2) | instskip(NEXT) | instid1(VALU_DEP_3)
	v_or_b32_e32 v3, v13, v3
	v_or_b32_e32 v2, v12, v2
	s_or_b32 s11, vcc_lo, s11
	s_delay_alu instid0(SALU_CYCLE_1)
	s_and_not1_b32 exec_lo, exec_lo, s11
	s_cbranch_execnz .LBB1_283
; %bb.284:                              ;   in Loop: Header=BB1_280 Depth=1
	s_or_b32 exec_lo, exec_lo, s11
.LBB1_285:                              ;   in Loop: Header=BB1_280 Depth=1
	s_delay_alu instid0(SALU_CYCLE_1)
	s_or_b32 exec_lo, exec_lo, s5
	v_mov_b64_e32 v[12:13], v[4:5]
.LBB1_286:                              ;   in Loop: Header=BB1_280 Depth=1
	s_or_saveexec_b32 s0, s4
	v_mov_b32_e32 v14, 0
	s_xor_b32 exec_lo, exec_lo, s0
	s_cbranch_execz .LBB1_288
; %bb.287:                              ;   in Loop: Header=BB1_280 Depth=1
	global_load_b64 v[2:3], v[4:5], off
	v_add_nc_u32_e32 v14, -8, v32
.LBB1_288:                              ;   in Loop: Header=BB1_280 Depth=1
	s_wait_xcnt 0x0
	s_or_b32 exec_lo, exec_lo, s0
	v_add_nc_u64_e32 v[6:7], 8, v[12:13]
                                        ; implicit-def: $vgpr10_vgpr11
	s_mov_b32 s0, exec_lo
	v_cmpx_gt_u32_e32 8, v14
	s_xor_b32 s11, exec_lo, s0
	s_cbranch_execz .LBB1_294
; %bb.289:                              ;   in Loop: Header=BB1_280 Depth=1
	v_mov_b64_e32 v[10:11], 0
	s_mov_b32 s12, exec_lo
	v_cmpx_ne_u32_e32 0, v14
	s_cbranch_execz .LBB1_293
; %bb.290:                              ;   in Loop: Header=BB1_280 Depth=1
	v_mov_b64_e32 v[10:11], 0
	s_mov_b64 s[0:1], 0
	s_mov_b32 s13, 0
	s_mov_b64 s[4:5], 0
.LBB1_291:                              ;   Parent Loop BB1_280 Depth=1
                                        ; =>  This Inner Loop Header: Depth=2
	s_delay_alu instid0(SALU_CYCLE_1) | instskip(SKIP_1) | instid1(SALU_CYCLE_1)
	v_add_nc_u64_e32 v[6:7], s[4:5], v[12:13]
	s_add_nc_u64 s[4:5], s[4:5], 1
	v_cmp_eq_u32_e32 vcc_lo, s4, v14
	global_load_u8 v6, v[6:7], off
	s_wait_xcnt 0x0
	v_mov_b32_e32 v7, s10
	s_or_b32 s13, vcc_lo, s13
	s_wait_loadcnt 0x0
	v_and_b32_e32 v6, 0xffff, v6
	s_delay_alu instid0(VALU_DEP_1) | instskip(SKIP_1) | instid1(VALU_DEP_1)
	v_lshlrev_b64_e32 v[6:7], s0, v[6:7]
	s_add_nc_u64 s[0:1], s[0:1], 8
	v_or_b32_e32 v11, v7, v11
	s_delay_alu instid0(VALU_DEP_2)
	v_or_b32_e32 v10, v6, v10
	s_and_not1_b32 exec_lo, exec_lo, s13
	s_cbranch_execnz .LBB1_291
; %bb.292:                              ;   in Loop: Header=BB1_280 Depth=1
	s_or_b32 exec_lo, exec_lo, s13
.LBB1_293:                              ;   in Loop: Header=BB1_280 Depth=1
	s_delay_alu instid0(SALU_CYCLE_1)
	s_or_b32 exec_lo, exec_lo, s12
	v_mov_b64_e32 v[6:7], v[12:13]
                                        ; implicit-def: $vgpr14
.LBB1_294:                              ;   in Loop: Header=BB1_280 Depth=1
	s_or_saveexec_b32 s0, s11
	v_mov_b32_e32 v15, 0
	s_xor_b32 exec_lo, exec_lo, s0
	s_cbranch_execz .LBB1_296
; %bb.295:                              ;   in Loop: Header=BB1_280 Depth=1
	global_load_b64 v[10:11], v[12:13], off
	v_add_nc_u32_e32 v15, -8, v14
.LBB1_296:                              ;   in Loop: Header=BB1_280 Depth=1
	s_wait_xcnt 0x0
	s_or_b32 exec_lo, exec_lo, s0
	v_add_nc_u64_e32 v[16:17], 8, v[6:7]
	s_mov_b32 s0, exec_lo
	v_cmpx_gt_u32_e32 8, v15
	s_xor_b32 s11, exec_lo, s0
	s_cbranch_execz .LBB1_302
; %bb.297:                              ;   in Loop: Header=BB1_280 Depth=1
	v_mov_b64_e32 v[12:13], 0
	s_mov_b32 s12, exec_lo
	v_cmpx_ne_u32_e32 0, v15
	s_cbranch_execz .LBB1_301
; %bb.298:                              ;   in Loop: Header=BB1_280 Depth=1
	v_mov_b64_e32 v[12:13], 0
	s_mov_b64 s[0:1], 0
	s_mov_b32 s13, 0
	s_mov_b64 s[4:5], 0
.LBB1_299:                              ;   Parent Loop BB1_280 Depth=1
                                        ; =>  This Inner Loop Header: Depth=2
	s_delay_alu instid0(SALU_CYCLE_1) | instskip(SKIP_1) | instid1(SALU_CYCLE_1)
	v_add_nc_u64_e32 v[16:17], s[4:5], v[6:7]
	s_add_nc_u64 s[4:5], s[4:5], 1
	v_cmp_eq_u32_e32 vcc_lo, s4, v15
	global_load_u8 v14, v[16:17], off
	s_wait_xcnt 0x0
	v_mov_b32_e32 v17, s10
	s_or_b32 s13, vcc_lo, s13
	s_wait_loadcnt 0x0
	v_and_b32_e32 v16, 0xffff, v14
	s_delay_alu instid0(VALU_DEP_1) | instskip(SKIP_1) | instid1(VALU_DEP_1)
	v_lshlrev_b64_e32 v[16:17], s0, v[16:17]
	s_add_nc_u64 s[0:1], s[0:1], 8
	v_or_b32_e32 v13, v17, v13
	s_delay_alu instid0(VALU_DEP_2)
	v_or_b32_e32 v12, v16, v12
	s_and_not1_b32 exec_lo, exec_lo, s13
	s_cbranch_execnz .LBB1_299
; %bb.300:                              ;   in Loop: Header=BB1_280 Depth=1
	s_or_b32 exec_lo, exec_lo, s13
.LBB1_301:                              ;   in Loop: Header=BB1_280 Depth=1
	s_delay_alu instid0(SALU_CYCLE_1)
	s_or_b32 exec_lo, exec_lo, s12
	v_mov_b64_e32 v[16:17], v[6:7]
                                        ; implicit-def: $vgpr15
.LBB1_302:                              ;   in Loop: Header=BB1_280 Depth=1
	s_or_saveexec_b32 s0, s11
	v_mov_b32_e32 v18, 0
	s_xor_b32 exec_lo, exec_lo, s0
	s_cbranch_execz .LBB1_304
; %bb.303:                              ;   in Loop: Header=BB1_280 Depth=1
	global_load_b64 v[12:13], v[6:7], off
	v_add_nc_u32_e32 v18, -8, v15
.LBB1_304:                              ;   in Loop: Header=BB1_280 Depth=1
	s_wait_xcnt 0x0
	s_or_b32 exec_lo, exec_lo, s0
	v_add_nc_u64_e32 v[6:7], 8, v[16:17]
                                        ; implicit-def: $vgpr14_vgpr15
	s_mov_b32 s0, exec_lo
	v_cmpx_gt_u32_e32 8, v18
	s_xor_b32 s11, exec_lo, s0
	s_cbranch_execz .LBB1_310
; %bb.305:                              ;   in Loop: Header=BB1_280 Depth=1
	v_mov_b64_e32 v[14:15], 0
	s_mov_b32 s12, exec_lo
	v_cmpx_ne_u32_e32 0, v18
	s_cbranch_execz .LBB1_309
; %bb.306:                              ;   in Loop: Header=BB1_280 Depth=1
	v_mov_b64_e32 v[14:15], 0
	s_mov_b64 s[0:1], 0
	s_mov_b32 s13, 0
	s_mov_b64 s[4:5], 0
.LBB1_307:                              ;   Parent Loop BB1_280 Depth=1
                                        ; =>  This Inner Loop Header: Depth=2
	s_delay_alu instid0(SALU_CYCLE_1) | instskip(SKIP_1) | instid1(SALU_CYCLE_1)
	v_add_nc_u64_e32 v[6:7], s[4:5], v[16:17]
	s_add_nc_u64 s[4:5], s[4:5], 1
	v_cmp_eq_u32_e32 vcc_lo, s4, v18
	global_load_u8 v6, v[6:7], off
	s_wait_xcnt 0x0
	v_mov_b32_e32 v7, s10
	s_or_b32 s13, vcc_lo, s13
	s_wait_loadcnt 0x0
	v_and_b32_e32 v6, 0xffff, v6
	s_delay_alu instid0(VALU_DEP_1) | instskip(SKIP_1) | instid1(VALU_DEP_1)
	v_lshlrev_b64_e32 v[6:7], s0, v[6:7]
	s_add_nc_u64 s[0:1], s[0:1], 8
	v_or_b32_e32 v15, v7, v15
	s_delay_alu instid0(VALU_DEP_2)
	v_or_b32_e32 v14, v6, v14
	s_and_not1_b32 exec_lo, exec_lo, s13
	s_cbranch_execnz .LBB1_307
; %bb.308:                              ;   in Loop: Header=BB1_280 Depth=1
	s_or_b32 exec_lo, exec_lo, s13
.LBB1_309:                              ;   in Loop: Header=BB1_280 Depth=1
	s_delay_alu instid0(SALU_CYCLE_1)
	s_or_b32 exec_lo, exec_lo, s12
	v_mov_b64_e32 v[6:7], v[16:17]
                                        ; implicit-def: $vgpr18
.LBB1_310:                              ;   in Loop: Header=BB1_280 Depth=1
	s_or_saveexec_b32 s0, s11
	v_mov_b32_e32 v19, 0
	s_xor_b32 exec_lo, exec_lo, s0
	s_cbranch_execz .LBB1_312
; %bb.311:                              ;   in Loop: Header=BB1_280 Depth=1
	global_load_b64 v[14:15], v[16:17], off
	v_add_nc_u32_e32 v19, -8, v18
.LBB1_312:                              ;   in Loop: Header=BB1_280 Depth=1
	s_wait_xcnt 0x0
	s_or_b32 exec_lo, exec_lo, s0
	v_add_nc_u64_e32 v[20:21], 8, v[6:7]
	s_mov_b32 s0, exec_lo
	v_cmpx_gt_u32_e32 8, v19
	s_xor_b32 s11, exec_lo, s0
	s_cbranch_execz .LBB1_318
; %bb.313:                              ;   in Loop: Header=BB1_280 Depth=1
	v_mov_b64_e32 v[16:17], 0
	s_mov_b32 s12, exec_lo
	v_cmpx_ne_u32_e32 0, v19
	s_cbranch_execz .LBB1_317
; %bb.314:                              ;   in Loop: Header=BB1_280 Depth=1
	v_mov_b64_e32 v[16:17], 0
	s_mov_b64 s[0:1], 0
	s_mov_b32 s13, 0
	s_mov_b64 s[4:5], 0
.LBB1_315:                              ;   Parent Loop BB1_280 Depth=1
                                        ; =>  This Inner Loop Header: Depth=2
	s_delay_alu instid0(SALU_CYCLE_1) | instskip(SKIP_1) | instid1(SALU_CYCLE_1)
	v_add_nc_u64_e32 v[20:21], s[4:5], v[6:7]
	s_add_nc_u64 s[4:5], s[4:5], 1
	v_cmp_eq_u32_e32 vcc_lo, s4, v19
	global_load_u8 v18, v[20:21], off
	s_wait_xcnt 0x0
	v_mov_b32_e32 v21, s10
	s_or_b32 s13, vcc_lo, s13
	s_wait_loadcnt 0x0
	v_and_b32_e32 v20, 0xffff, v18
	s_delay_alu instid0(VALU_DEP_1) | instskip(SKIP_1) | instid1(VALU_DEP_1)
	v_lshlrev_b64_e32 v[20:21], s0, v[20:21]
	s_add_nc_u64 s[0:1], s[0:1], 8
	v_or_b32_e32 v17, v21, v17
	s_delay_alu instid0(VALU_DEP_2)
	v_or_b32_e32 v16, v20, v16
	s_and_not1_b32 exec_lo, exec_lo, s13
	s_cbranch_execnz .LBB1_315
; %bb.316:                              ;   in Loop: Header=BB1_280 Depth=1
	s_or_b32 exec_lo, exec_lo, s13
.LBB1_317:                              ;   in Loop: Header=BB1_280 Depth=1
	s_delay_alu instid0(SALU_CYCLE_1)
	s_or_b32 exec_lo, exec_lo, s12
	v_mov_b64_e32 v[20:21], v[6:7]
                                        ; implicit-def: $vgpr19
.LBB1_318:                              ;   in Loop: Header=BB1_280 Depth=1
	s_or_saveexec_b32 s0, s11
	v_mov_b32_e32 v22, 0
	s_xor_b32 exec_lo, exec_lo, s0
	s_cbranch_execz .LBB1_320
; %bb.319:                              ;   in Loop: Header=BB1_280 Depth=1
	global_load_b64 v[16:17], v[6:7], off
	v_add_nc_u32_e32 v22, -8, v19
.LBB1_320:                              ;   in Loop: Header=BB1_280 Depth=1
	s_wait_xcnt 0x0
	s_or_b32 exec_lo, exec_lo, s0
	v_add_nc_u64_e32 v[6:7], 8, v[20:21]
                                        ; implicit-def: $vgpr18_vgpr19
	s_mov_b32 s0, exec_lo
	v_cmpx_gt_u32_e32 8, v22
	s_xor_b32 s11, exec_lo, s0
	s_cbranch_execz .LBB1_326
; %bb.321:                              ;   in Loop: Header=BB1_280 Depth=1
	v_mov_b64_e32 v[18:19], 0
	s_mov_b32 s12, exec_lo
	v_cmpx_ne_u32_e32 0, v22
	s_cbranch_execz .LBB1_325
; %bb.322:                              ;   in Loop: Header=BB1_280 Depth=1
	v_mov_b64_e32 v[18:19], 0
	s_mov_b64 s[0:1], 0
	s_mov_b32 s13, 0
	s_mov_b64 s[4:5], 0
.LBB1_323:                              ;   Parent Loop BB1_280 Depth=1
                                        ; =>  This Inner Loop Header: Depth=2
	s_delay_alu instid0(SALU_CYCLE_1) | instskip(SKIP_1) | instid1(SALU_CYCLE_1)
	v_add_nc_u64_e32 v[6:7], s[4:5], v[20:21]
	s_add_nc_u64 s[4:5], s[4:5], 1
	v_cmp_eq_u32_e32 vcc_lo, s4, v22
	global_load_u8 v6, v[6:7], off
	s_wait_xcnt 0x0
	v_mov_b32_e32 v7, s10
	s_or_b32 s13, vcc_lo, s13
	s_wait_loadcnt 0x0
	v_and_b32_e32 v6, 0xffff, v6
	s_delay_alu instid0(VALU_DEP_1) | instskip(SKIP_1) | instid1(VALU_DEP_1)
	v_lshlrev_b64_e32 v[6:7], s0, v[6:7]
	s_add_nc_u64 s[0:1], s[0:1], 8
	v_or_b32_e32 v19, v7, v19
	s_delay_alu instid0(VALU_DEP_2)
	v_or_b32_e32 v18, v6, v18
	s_and_not1_b32 exec_lo, exec_lo, s13
	s_cbranch_execnz .LBB1_323
; %bb.324:                              ;   in Loop: Header=BB1_280 Depth=1
	s_or_b32 exec_lo, exec_lo, s13
.LBB1_325:                              ;   in Loop: Header=BB1_280 Depth=1
	s_delay_alu instid0(SALU_CYCLE_1)
	s_or_b32 exec_lo, exec_lo, s12
	v_mov_b64_e32 v[6:7], v[20:21]
                                        ; implicit-def: $vgpr22
.LBB1_326:                              ;   in Loop: Header=BB1_280 Depth=1
	s_or_saveexec_b32 s0, s11
	v_mov_b32_e32 v23, 0
	s_xor_b32 exec_lo, exec_lo, s0
	s_cbranch_execz .LBB1_328
; %bb.327:                              ;   in Loop: Header=BB1_280 Depth=1
	global_load_b64 v[18:19], v[20:21], off
	v_add_nc_u32_e32 v23, -8, v22
.LBB1_328:                              ;   in Loop: Header=BB1_280 Depth=1
	s_wait_xcnt 0x0
	s_or_b32 exec_lo, exec_lo, s0
	s_delay_alu instid0(SALU_CYCLE_1) | instskip(NEXT) | instid1(VALU_DEP_1)
	s_mov_b32 s0, exec_lo
	v_cmpx_gt_u32_e32 8, v23
	s_xor_b32 s4, exec_lo, s0
	s_cbranch_execz .LBB1_334
; %bb.329:                              ;   in Loop: Header=BB1_280 Depth=1
	v_mov_b64_e32 v[20:21], 0
	s_mov_b32 s5, exec_lo
	v_cmpx_ne_u32_e32 0, v23
	s_cbranch_execz .LBB1_333
; %bb.330:                              ;   in Loop: Header=BB1_280 Depth=1
	v_mov_b64_e32 v[20:21], 0
	s_mov_b64 s[0:1], 0
	s_mov_b32 s11, 0
.LBB1_331:                              ;   Parent Loop BB1_280 Depth=1
                                        ; =>  This Inner Loop Header: Depth=2
	global_load_u8 v22, v[6:7], off
	v_dual_mov_b32 v25, s10 :: v_dual_add_nc_u32 v23, -1, v23
	s_wait_xcnt 0x0
	v_add_nc_u64_e32 v[6:7], 1, v[6:7]
	s_delay_alu instid0(VALU_DEP_2) | instskip(SKIP_3) | instid1(VALU_DEP_1)
	v_cmp_eq_u32_e32 vcc_lo, 0, v23
	s_or_b32 s11, vcc_lo, s11
	s_wait_loadcnt 0x0
	v_and_b32_e32 v24, 0xffff, v22
	v_lshlrev_b64_e32 v[24:25], s0, v[24:25]
	s_add_nc_u64 s[0:1], s[0:1], 8
	s_delay_alu instid0(VALU_DEP_1) | instskip(NEXT) | instid1(VALU_DEP_2)
	v_or_b32_e32 v21, v25, v21
	v_or_b32_e32 v20, v24, v20
	s_and_not1_b32 exec_lo, exec_lo, s11
	s_cbranch_execnz .LBB1_331
; %bb.332:                              ;   in Loop: Header=BB1_280 Depth=1
	s_or_b32 exec_lo, exec_lo, s11
.LBB1_333:                              ;   in Loop: Header=BB1_280 Depth=1
	s_delay_alu instid0(SALU_CYCLE_1)
	s_or_b32 exec_lo, exec_lo, s5
                                        ; implicit-def: $vgpr6_vgpr7
.LBB1_334:                              ;   in Loop: Header=BB1_280 Depth=1
	s_and_not1_saveexec_b32 s0, s4
	s_cbranch_execz .LBB1_336
; %bb.335:                              ;   in Loop: Header=BB1_280 Depth=1
	global_load_b64 v[20:21], v[6:7], off
.LBB1_336:                              ;   in Loop: Header=BB1_280 Depth=1
	s_wait_xcnt 0x0
	s_or_b32 exec_lo, exec_lo, s0
	v_readfirstlane_b32 s0, v48
	v_mov_b64_e32 v[6:7], 0
	s_delay_alu instid0(VALU_DEP_2)
	v_cmp_eq_u32_e64 s0, s0, v48
	s_and_saveexec_b32 s1, s0
	s_cbranch_execz .LBB1_342
; %bb.337:                              ;   in Loop: Header=BB1_280 Depth=1
	global_load_b64 v[24:25], v31, s[2:3] offset:24 scope:SCOPE_SYS
	s_wait_loadcnt 0x0
	global_inv scope:SCOPE_SYS
	s_clause 0x1
	global_load_b64 v[6:7], v31, s[2:3] offset:40
	global_load_b64 v[22:23], v31, s[2:3]
	s_mov_b32 s4, exec_lo
	s_wait_loadcnt 0x1
	v_and_b32_e32 v6, v6, v24
	v_and_b32_e32 v7, v7, v25
	s_delay_alu instid0(VALU_DEP_1) | instskip(SKIP_1) | instid1(VALU_DEP_1)
	v_mul_u64_e32 v[6:7], 24, v[6:7]
	s_wait_loadcnt 0x0
	v_add_nc_u64_e32 v[6:7], v[22:23], v[6:7]
	global_load_b64 v[22:23], v[6:7], off scope:SCOPE_SYS
	s_wait_xcnt 0x0
	s_wait_loadcnt 0x0
	global_atomic_cmpswap_b64 v[6:7], v31, v[22:25], s[2:3] offset:24 th:TH_ATOMIC_RETURN scope:SCOPE_SYS
	s_wait_loadcnt 0x0
	global_inv scope:SCOPE_SYS
	s_wait_xcnt 0x0
	v_cmpx_ne_u64_e64 v[6:7], v[24:25]
	s_cbranch_execz .LBB1_341
; %bb.338:                              ;   in Loop: Header=BB1_280 Depth=1
	s_mov_b32 s5, 0
.LBB1_339:                              ;   Parent Loop BB1_280 Depth=1
                                        ; =>  This Inner Loop Header: Depth=2
	s_sleep 1
	s_clause 0x1
	global_load_b64 v[22:23], v31, s[2:3] offset:40
	global_load_b64 v[34:35], v31, s[2:3]
	v_mov_b64_e32 v[24:25], v[6:7]
	s_wait_loadcnt 0x1
	s_delay_alu instid0(VALU_DEP_1) | instskip(NEXT) | instid1(VALU_DEP_2)
	v_and_b32_e32 v6, v22, v24
	v_and_b32_e32 v22, v23, v25
	s_wait_loadcnt 0x0
	s_delay_alu instid0(VALU_DEP_2) | instskip(NEXT) | instid1(VALU_DEP_1)
	v_mad_nc_u64_u32 v[6:7], v6, 24, v[34:35]
	v_mad_u32 v7, v22, 24, v7
	global_load_b64 v[22:23], v[6:7], off scope:SCOPE_SYS
	s_wait_xcnt 0x0
	s_wait_loadcnt 0x0
	global_atomic_cmpswap_b64 v[6:7], v31, v[22:25], s[2:3] offset:24 th:TH_ATOMIC_RETURN scope:SCOPE_SYS
	s_wait_loadcnt 0x0
	global_inv scope:SCOPE_SYS
	v_cmp_eq_u64_e32 vcc_lo, v[6:7], v[24:25]
	s_or_b32 s5, vcc_lo, s5
	s_wait_xcnt 0x0
	s_and_not1_b32 exec_lo, exec_lo, s5
	s_cbranch_execnz .LBB1_339
; %bb.340:                              ;   in Loop: Header=BB1_280 Depth=1
	s_or_b32 exec_lo, exec_lo, s5
.LBB1_341:                              ;   in Loop: Header=BB1_280 Depth=1
	s_delay_alu instid0(SALU_CYCLE_1)
	s_or_b32 exec_lo, exec_lo, s4
.LBB1_342:                              ;   in Loop: Header=BB1_280 Depth=1
	s_delay_alu instid0(SALU_CYCLE_1)
	s_or_b32 exec_lo, exec_lo, s1
	s_clause 0x1
	global_load_b64 v[34:35], v31, s[2:3] offset:40
	global_load_b128 v[22:25], v31, s[2:3]
	v_readfirstlane_b32 s4, v6
	v_readfirstlane_b32 s5, v7
	s_mov_b32 s1, exec_lo
	s_wait_loadcnt 0x1
	v_and_b32_e32 v36, s4, v34
	v_and_b32_e32 v37, s5, v35
	s_delay_alu instid0(VALU_DEP_1) | instskip(SKIP_1) | instid1(VALU_DEP_1)
	v_mul_u64_e32 v[6:7], 24, v[36:37]
	s_wait_loadcnt 0x0
	v_add_nc_u64_e32 v[34:35], v[22:23], v[6:7]
	s_wait_xcnt 0x0
	s_and_saveexec_b32 s11, s0
	s_cbranch_execz .LBB1_344
; %bb.343:                              ;   in Loop: Header=BB1_280 Depth=1
	v_dual_mov_b32 v6, s1 :: v_dual_mov_b32 v7, v31
	global_store_b128 v[34:35], v[6:9], off offset:8
.LBB1_344:                              ;   in Loop: Header=BB1_280 Depth=1
	s_wait_xcnt 0x0
	s_or_b32 exec_lo, exec_lo, s11
	v_cmp_gt_u64_e32 vcc_lo, 57, v[26:27]
	v_lshlrev_b64_e32 v[6:7], 12, v[36:37]
	v_and_b32_e32 v0, 0xffffff1f, v0
	v_lshl_add_u32 v36, v32, 2, 28
	v_cndmask_b32_e32 v29, 0, v28, vcc_lo
	s_delay_alu instid0(VALU_DEP_4) | instskip(NEXT) | instid1(VALU_DEP_2)
	v_add_nc_u64_e32 v[6:7], v[24:25], v[6:7]
	v_or_b32_e32 v0, v0, v29
	s_delay_alu instid0(VALU_DEP_2) | instskip(NEXT) | instid1(VALU_DEP_3)
	v_readfirstlane_b32 s12, v6
	v_readfirstlane_b32 s13, v7
	s_delay_alu instid0(VALU_DEP_3)
	v_and_or_b32 v0, 0x1e0, v36, v0
	s_clause 0x3
	global_store_b128 v30, v[0:3], s[12:13]
	global_store_b128 v30, v[10:13], s[12:13] offset:16
	global_store_b128 v30, v[14:17], s[12:13] offset:32
	;; [unrolled: 1-line block ×3, first 2 shown]
	s_wait_xcnt 0x0
	s_and_saveexec_b32 s1, s0
	s_cbranch_execz .LBB1_352
; %bb.345:                              ;   in Loop: Header=BB1_280 Depth=1
	s_clause 0x1
	global_load_b64 v[14:15], v31, s[2:3] offset:32 scope:SCOPE_SYS
	global_load_b64 v[0:1], v31, s[2:3] offset:40
	s_mov_b32 s11, exec_lo
	v_dual_mov_b32 v12, s4 :: v_dual_mov_b32 v13, s5
	s_wait_loadcnt 0x0
	v_and_b32_e32 v1, s5, v1
	v_and_b32_e32 v0, s4, v0
	s_delay_alu instid0(VALU_DEP_1) | instskip(NEXT) | instid1(VALU_DEP_1)
	v_mul_u64_e32 v[0:1], 24, v[0:1]
	v_add_nc_u64_e32 v[10:11], v[22:23], v[0:1]
	global_store_b64 v[10:11], v[14:15], off
	global_wb scope:SCOPE_SYS
	s_wait_storecnt 0x0
	s_wait_xcnt 0x0
	global_atomic_cmpswap_b64 v[2:3], v31, v[12:15], s[2:3] offset:32 th:TH_ATOMIC_RETURN scope:SCOPE_SYS
	s_wait_loadcnt 0x0
	v_cmpx_ne_u64_e64 v[2:3], v[14:15]
	s_cbranch_execz .LBB1_348
; %bb.346:                              ;   in Loop: Header=BB1_280 Depth=1
	s_mov_b32 s12, 0
.LBB1_347:                              ;   Parent Loop BB1_280 Depth=1
                                        ; =>  This Inner Loop Header: Depth=2
	v_dual_mov_b32 v0, s4 :: v_dual_mov_b32 v1, s5
	s_sleep 1
	global_store_b64 v[10:11], v[2:3], off
	global_wb scope:SCOPE_SYS
	s_wait_storecnt 0x0
	s_wait_xcnt 0x0
	global_atomic_cmpswap_b64 v[0:1], v31, v[0:3], s[2:3] offset:32 th:TH_ATOMIC_RETURN scope:SCOPE_SYS
	s_wait_loadcnt 0x0
	v_cmp_eq_u64_e32 vcc_lo, v[0:1], v[2:3]
	v_mov_b64_e32 v[2:3], v[0:1]
	s_or_b32 s12, vcc_lo, s12
	s_delay_alu instid0(SALU_CYCLE_1)
	s_and_not1_b32 exec_lo, exec_lo, s12
	s_cbranch_execnz .LBB1_347
.LBB1_348:                              ;   in Loop: Header=BB1_280 Depth=1
	s_or_b32 exec_lo, exec_lo, s11
	global_load_b64 v[0:1], v31, s[2:3] offset:16
	s_mov_b32 s12, exec_lo
	s_mov_b32 s11, exec_lo
	v_mbcnt_lo_u32_b32 v2, s12, 0
	s_wait_xcnt 0x0
	s_delay_alu instid0(VALU_DEP_1)
	v_cmpx_eq_u32_e32 0, v2
	s_cbranch_execz .LBB1_350
; %bb.349:                              ;   in Loop: Header=BB1_280 Depth=1
	s_bcnt1_i32_b32 s12, s12
	s_delay_alu instid0(SALU_CYCLE_1)
	v_dual_mov_b32 v3, v31 :: v_dual_mov_b32 v2, s12
	global_wb scope:SCOPE_SYS
	s_wait_loadcnt 0x0
	s_wait_storecnt 0x0
	global_atomic_add_u64 v[0:1], v[2:3], off offset:8 scope:SCOPE_SYS
.LBB1_350:                              ;   in Loop: Header=BB1_280 Depth=1
	s_wait_xcnt 0x0
	s_or_b32 exec_lo, exec_lo, s11
	s_wait_loadcnt 0x0
	global_load_b64 v[2:3], v[0:1], off offset:16
	s_wait_loadcnt 0x0
	v_cmp_eq_u64_e32 vcc_lo, 0, v[2:3]
	s_cbranch_vccnz .LBB1_352
; %bb.351:                              ;   in Loop: Header=BB1_280 Depth=1
	global_load_b32 v0, v[0:1], off offset:24
	s_wait_xcnt 0x0
	v_mov_b32_e32 v1, v31
	s_wait_loadcnt 0x0
	v_readfirstlane_b32 s11, v0
	global_wb scope:SCOPE_SYS
	s_wait_storecnt 0x0
	global_store_b64 v[2:3], v[0:1], off scope:SCOPE_SYS
	s_and_b32 m0, s11, 0xffffff
	s_sendmsg sendmsg(MSG_INTERRUPT)
.LBB1_352:                              ;   in Loop: Header=BB1_280 Depth=1
	s_wait_xcnt 0x0
	s_or_b32 exec_lo, exec_lo, s1
	v_add_nc_u64_e32 v[0:1], v[6:7], v[30:31]
	s_branch .LBB1_356
.LBB1_353:                              ;   in Loop: Header=BB1_356 Depth=2
	s_wait_xcnt 0x0
	s_or_b32 exec_lo, exec_lo, s1
	s_delay_alu instid0(VALU_DEP_1)
	v_readfirstlane_b32 s1, v2
	s_cmp_eq_u32 s1, 0
	s_cbranch_scc1 .LBB1_355
; %bb.354:                              ;   in Loop: Header=BB1_356 Depth=2
	s_sleep 1
	s_cbranch_execnz .LBB1_356
	s_branch .LBB1_358
.LBB1_355:                              ;   in Loop: Header=BB1_280 Depth=1
	s_branch .LBB1_358
.LBB1_356:                              ;   Parent Loop BB1_280 Depth=1
                                        ; =>  This Inner Loop Header: Depth=2
	v_mov_b32_e32 v2, 1
	s_and_saveexec_b32 s1, s0
	s_cbranch_execz .LBB1_353
; %bb.357:                              ;   in Loop: Header=BB1_356 Depth=2
	global_load_b32 v2, v[34:35], off offset:20 scope:SCOPE_SYS
	s_wait_loadcnt 0x0
	global_inv scope:SCOPE_SYS
	v_and_b32_e32 v2, 1, v2
	s_branch .LBB1_353
.LBB1_358:                              ;   in Loop: Header=BB1_280 Depth=1
	global_load_b64 v[0:1], v[0:1], off
	s_wait_xcnt 0x0
	s_and_saveexec_b32 s11, s0
	s_cbranch_execz .LBB1_279
; %bb.359:                              ;   in Loop: Header=BB1_280 Depth=1
	s_clause 0x2
	global_load_b64 v[2:3], v31, s[2:3] offset:40
	global_load_b64 v[14:15], v31, s[2:3] offset:24 scope:SCOPE_SYS
	global_load_b64 v[6:7], v31, s[2:3]
	s_wait_loadcnt 0x2
	v_readfirstlane_b32 s12, v2
	v_readfirstlane_b32 s13, v3
	s_add_nc_u64 s[0:1], s[12:13], 1
	s_delay_alu instid0(SALU_CYCLE_1) | instskip(NEXT) | instid1(SALU_CYCLE_1)
	s_add_nc_u64 s[4:5], s[0:1], s[4:5]
	s_cmp_eq_u64 s[4:5], 0
	s_cselect_b32 s1, s1, s5
	s_cselect_b32 s0, s0, s4
	s_delay_alu instid0(SALU_CYCLE_1) | instskip(SKIP_1) | instid1(SALU_CYCLE_1)
	v_dual_mov_b32 v13, s1 :: v_dual_mov_b32 v12, s0
	s_and_b64 s[4:5], s[0:1], s[12:13]
	s_mul_u64 s[4:5], s[4:5], 24
	s_wait_loadcnt 0x0
	v_add_nc_u64_e32 v[2:3], s[4:5], v[6:7]
	global_store_b64 v[2:3], v[14:15], off
	global_wb scope:SCOPE_SYS
	s_wait_storecnt 0x0
	s_wait_xcnt 0x0
	global_atomic_cmpswap_b64 v[12:13], v31, v[12:15], s[2:3] offset:24 th:TH_ATOMIC_RETURN scope:SCOPE_SYS
	s_wait_loadcnt 0x0
	v_cmp_ne_u64_e32 vcc_lo, v[12:13], v[14:15]
	s_and_b32 exec_lo, exec_lo, vcc_lo
	s_cbranch_execz .LBB1_279
; %bb.360:                              ;   in Loop: Header=BB1_280 Depth=1
	s_mov_b32 s4, 0
.LBB1_361:                              ;   Parent Loop BB1_280 Depth=1
                                        ; =>  This Inner Loop Header: Depth=2
	v_dual_mov_b32 v10, s0 :: v_dual_mov_b32 v11, s1
	s_sleep 1
	global_store_b64 v[2:3], v[12:13], off
	global_wb scope:SCOPE_SYS
	s_wait_storecnt 0x0
	s_wait_xcnt 0x0
	global_atomic_cmpswap_b64 v[6:7], v31, v[10:13], s[2:3] offset:24 th:TH_ATOMIC_RETURN scope:SCOPE_SYS
	s_wait_loadcnt 0x0
	v_cmp_eq_u64_e32 vcc_lo, v[6:7], v[12:13]
	v_mov_b64_e32 v[12:13], v[6:7]
	s_or_b32 s4, vcc_lo, s4
	s_delay_alu instid0(SALU_CYCLE_1)
	s_and_not1_b32 exec_lo, exec_lo, s4
	s_cbranch_execnz .LBB1_361
	s_branch .LBB1_279
.LBB1_362:
	s_or_b32 exec_lo, exec_lo, s7
                                        ; implicit-def: $vgpr30
                                        ; implicit-def: $vgpr48
.LBB1_363:
	s_and_not1_saveexec_b32 s6, s6
	s_cbranch_execz .LBB1_391
; %bb.364:
	v_readfirstlane_b32 s0, v48
	v_mov_b64_e32 v[2:3], 0
	s_delay_alu instid0(VALU_DEP_2)
	v_cmp_eq_u32_e64 s0, s0, v48
	s_and_saveexec_b32 s1, s0
	s_cbranch_execz .LBB1_370
; %bb.365:
	v_mov_b32_e32 v4, 0
	s_mov_b32 s4, exec_lo
	global_load_b64 v[8:9], v4, s[2:3] offset:24 scope:SCOPE_SYS
	s_wait_loadcnt 0x0
	global_inv scope:SCOPE_SYS
	s_clause 0x1
	global_load_b64 v[2:3], v4, s[2:3] offset:40
	global_load_b64 v[6:7], v4, s[2:3]
	s_wait_loadcnt 0x1
	v_and_b32_e32 v2, v2, v8
	v_and_b32_e32 v3, v3, v9
	s_delay_alu instid0(VALU_DEP_1) | instskip(SKIP_1) | instid1(VALU_DEP_1)
	v_mul_u64_e32 v[2:3], 24, v[2:3]
	s_wait_loadcnt 0x0
	v_add_nc_u64_e32 v[2:3], v[6:7], v[2:3]
	global_load_b64 v[6:7], v[2:3], off scope:SCOPE_SYS
	s_wait_xcnt 0x0
	s_wait_loadcnt 0x0
	global_atomic_cmpswap_b64 v[2:3], v4, v[6:9], s[2:3] offset:24 th:TH_ATOMIC_RETURN scope:SCOPE_SYS
	s_wait_loadcnt 0x0
	global_inv scope:SCOPE_SYS
	s_wait_xcnt 0x0
	v_cmpx_ne_u64_e64 v[2:3], v[8:9]
	s_cbranch_execz .LBB1_369
; %bb.366:
	s_mov_b32 s5, 0
.LBB1_367:                              ; =>This Inner Loop Header: Depth=1
	s_sleep 1
	s_clause 0x1
	global_load_b64 v[6:7], v4, s[2:3] offset:40
	global_load_b64 v[10:11], v4, s[2:3]
	v_mov_b64_e32 v[8:9], v[2:3]
	s_wait_loadcnt 0x1
	s_delay_alu instid0(VALU_DEP_1) | instskip(NEXT) | instid1(VALU_DEP_2)
	v_and_b32_e32 v2, v6, v8
	v_and_b32_e32 v5, v7, v9
	s_wait_loadcnt 0x0
	s_delay_alu instid0(VALU_DEP_2) | instskip(NEXT) | instid1(VALU_DEP_1)
	v_mad_nc_u64_u32 v[2:3], v2, 24, v[10:11]
	v_mad_u32 v3, v5, 24, v3
	global_load_b64 v[6:7], v[2:3], off scope:SCOPE_SYS
	s_wait_xcnt 0x0
	s_wait_loadcnt 0x0
	global_atomic_cmpswap_b64 v[2:3], v4, v[6:9], s[2:3] offset:24 th:TH_ATOMIC_RETURN scope:SCOPE_SYS
	s_wait_loadcnt 0x0
	global_inv scope:SCOPE_SYS
	v_cmp_eq_u64_e32 vcc_lo, v[2:3], v[8:9]
	s_or_b32 s5, vcc_lo, s5
	s_wait_xcnt 0x0
	s_and_not1_b32 exec_lo, exec_lo, s5
	s_cbranch_execnz .LBB1_367
; %bb.368:
	s_or_b32 exec_lo, exec_lo, s5
.LBB1_369:
	s_delay_alu instid0(SALU_CYCLE_1)
	s_or_b32 exec_lo, exec_lo, s4
.LBB1_370:
	s_delay_alu instid0(SALU_CYCLE_1)
	s_or_b32 exec_lo, exec_lo, s1
	v_readfirstlane_b32 s4, v2
	v_mov_b32_e32 v31, 0
	v_readfirstlane_b32 s5, v3
	s_mov_b32 s1, exec_lo
	s_clause 0x1
	global_load_b64 v[8:9], v31, s[2:3] offset:40
	global_load_b128 v[4:7], v31, s[2:3]
	s_wait_loadcnt 0x1
	v_and_b32_e32 v2, s4, v8
	v_and_b32_e32 v3, s5, v9
	s_delay_alu instid0(VALU_DEP_1) | instskip(SKIP_1) | instid1(VALU_DEP_1)
	v_mul_u64_e32 v[8:9], 24, v[2:3]
	s_wait_loadcnt 0x0
	v_add_nc_u64_e32 v[8:9], v[4:5], v[8:9]
	s_wait_xcnt 0x0
	s_and_saveexec_b32 s7, s0
	s_cbranch_execz .LBB1_372
; %bb.371:
	v_mov_b64_e32 v[12:13], 0x100000002
	v_dual_mov_b32 v10, s1 :: v_dual_mov_b32 v11, v31
	global_store_b128 v[8:9], v[10:13], off offset:8
.LBB1_372:
	s_wait_xcnt 0x0
	s_or_b32 exec_lo, exec_lo, s7
	v_lshlrev_b64_e32 v[2:3], 12, v[2:3]
	s_mov_b32 s12, 0
	v_and_or_b32 v0, 0xffffff1f, v0, 32
	s_mov_b32 s13, s12
	s_mov_b32 s14, s12
	;; [unrolled: 1-line block ×3, first 2 shown]
	v_mov_b64_e32 v[10:11], s[12:13]
	v_add_nc_u64_e32 v[6:7], v[6:7], v[2:3]
	v_mov_b64_e32 v[12:13], s[14:15]
	v_dual_mov_b32 v2, v31 :: v_dual_mov_b32 v3, v31
	s_delay_alu instid0(VALU_DEP_3) | instskip(NEXT) | instid1(VALU_DEP_4)
	v_readfirstlane_b32 s10, v6
	v_readfirstlane_b32 s11, v7
	s_clause 0x3
	global_store_b128 v30, v[0:3], s[10:11]
	global_store_b128 v30, v[10:13], s[10:11] offset:16
	global_store_b128 v30, v[10:13], s[10:11] offset:32
	global_store_b128 v30, v[10:13], s[10:11] offset:48
	s_wait_xcnt 0x0
	s_and_saveexec_b32 s1, s0
	s_cbranch_execz .LBB1_380
; %bb.373:
	v_dual_mov_b32 v10, 0 :: v_dual_mov_b32 v13, s5
	s_mov_b32 s7, exec_lo
	s_clause 0x1
	global_load_b64 v[14:15], v10, s[2:3] offset:32 scope:SCOPE_SYS
	global_load_b64 v[0:1], v10, s[2:3] offset:40
	s_wait_loadcnt 0x0
	v_dual_mov_b32 v12, s4 :: v_dual_bitop2_b32 v1, s5, v1 bitop3:0x40
	v_and_b32_e32 v0, s4, v0
	s_delay_alu instid0(VALU_DEP_1) | instskip(NEXT) | instid1(VALU_DEP_1)
	v_mul_u64_e32 v[0:1], 24, v[0:1]
	v_add_nc_u64_e32 v[4:5], v[4:5], v[0:1]
	global_store_b64 v[4:5], v[14:15], off
	global_wb scope:SCOPE_SYS
	s_wait_storecnt 0x0
	s_wait_xcnt 0x0
	global_atomic_cmpswap_b64 v[2:3], v10, v[12:15], s[2:3] offset:32 th:TH_ATOMIC_RETURN scope:SCOPE_SYS
	s_wait_loadcnt 0x0
	v_cmpx_ne_u64_e64 v[2:3], v[14:15]
	s_cbranch_execz .LBB1_376
; %bb.374:
	s_mov_b32 s10, 0
.LBB1_375:                              ; =>This Inner Loop Header: Depth=1
	v_dual_mov_b32 v0, s4 :: v_dual_mov_b32 v1, s5
	s_sleep 1
	global_store_b64 v[4:5], v[2:3], off
	global_wb scope:SCOPE_SYS
	s_wait_storecnt 0x0
	s_wait_xcnt 0x0
	global_atomic_cmpswap_b64 v[0:1], v10, v[0:3], s[2:3] offset:32 th:TH_ATOMIC_RETURN scope:SCOPE_SYS
	s_wait_loadcnt 0x0
	v_cmp_eq_u64_e32 vcc_lo, v[0:1], v[2:3]
	v_mov_b64_e32 v[2:3], v[0:1]
	s_or_b32 s10, vcc_lo, s10
	s_delay_alu instid0(SALU_CYCLE_1)
	s_and_not1_b32 exec_lo, exec_lo, s10
	s_cbranch_execnz .LBB1_375
.LBB1_376:
	s_or_b32 exec_lo, exec_lo, s7
	v_mov_b32_e32 v3, 0
	s_mov_b32 s10, exec_lo
	s_mov_b32 s7, exec_lo
	v_mbcnt_lo_u32_b32 v2, s10, 0
	global_load_b64 v[0:1], v3, s[2:3] offset:16
	s_wait_xcnt 0x0
	v_cmpx_eq_u32_e32 0, v2
	s_cbranch_execz .LBB1_378
; %bb.377:
	s_bcnt1_i32_b32 s10, s10
	s_delay_alu instid0(SALU_CYCLE_1)
	v_mov_b32_e32 v2, s10
	global_wb scope:SCOPE_SYS
	s_wait_loadcnt 0x0
	s_wait_storecnt 0x0
	global_atomic_add_u64 v[0:1], v[2:3], off offset:8 scope:SCOPE_SYS
.LBB1_378:
	s_wait_xcnt 0x0
	s_or_b32 exec_lo, exec_lo, s7
	s_wait_loadcnt 0x0
	global_load_b64 v[2:3], v[0:1], off offset:16
	s_wait_loadcnt 0x0
	v_cmp_eq_u64_e32 vcc_lo, 0, v[2:3]
	s_cbranch_vccnz .LBB1_380
; %bb.379:
	global_load_b32 v0, v[0:1], off offset:24
	s_wait_xcnt 0x0
	v_mov_b32_e32 v1, 0
	s_wait_loadcnt 0x0
	v_readfirstlane_b32 s7, v0
	global_wb scope:SCOPE_SYS
	s_wait_storecnt 0x0
	global_store_b64 v[2:3], v[0:1], off scope:SCOPE_SYS
	s_and_b32 m0, s7, 0xffffff
	s_sendmsg sendmsg(MSG_INTERRUPT)
.LBB1_380:
	s_wait_xcnt 0x0
	s_or_b32 exec_lo, exec_lo, s1
	v_add_nc_u64_e32 v[0:1], v[6:7], v[30:31]
	s_branch .LBB1_384
.LBB1_381:                              ;   in Loop: Header=BB1_384 Depth=1
	s_wait_xcnt 0x0
	s_or_b32 exec_lo, exec_lo, s1
	s_delay_alu instid0(VALU_DEP_1)
	v_readfirstlane_b32 s1, v2
	s_cmp_eq_u32 s1, 0
	s_cbranch_scc1 .LBB1_383
; %bb.382:                              ;   in Loop: Header=BB1_384 Depth=1
	s_sleep 1
	s_cbranch_execnz .LBB1_384
	s_branch .LBB1_386
.LBB1_383:
	s_branch .LBB1_386
.LBB1_384:                              ; =>This Inner Loop Header: Depth=1
	v_mov_b32_e32 v2, 1
	s_and_saveexec_b32 s1, s0
	s_cbranch_execz .LBB1_381
; %bb.385:                              ;   in Loop: Header=BB1_384 Depth=1
	global_load_b32 v2, v[8:9], off offset:20 scope:SCOPE_SYS
	s_wait_loadcnt 0x0
	global_inv scope:SCOPE_SYS
	v_and_b32_e32 v2, 1, v2
	s_branch .LBB1_381
.LBB1_386:
	global_load_b64 v[0:1], v[0:1], off
	s_wait_xcnt 0x0
	s_and_saveexec_b32 s7, s0
	s_cbranch_execz .LBB1_390
; %bb.387:
	v_mov_b32_e32 v8, 0
	s_clause 0x2
	global_load_b64 v[2:3], v8, s[2:3] offset:40
	global_load_b64 v[12:13], v8, s[2:3] offset:24 scope:SCOPE_SYS
	global_load_b64 v[4:5], v8, s[2:3]
	s_wait_loadcnt 0x2
	v_readfirstlane_b32 s10, v2
	v_readfirstlane_b32 s11, v3
	s_add_nc_u64 s[0:1], s[10:11], 1
	s_delay_alu instid0(SALU_CYCLE_1) | instskip(NEXT) | instid1(SALU_CYCLE_1)
	s_add_nc_u64 s[4:5], s[0:1], s[4:5]
	s_cmp_eq_u64 s[4:5], 0
	s_cselect_b32 s1, s1, s5
	s_cselect_b32 s0, s0, s4
	v_mov_b32_e32 v11, s1
	s_and_b64 s[4:5], s[0:1], s[10:11]
	v_mov_b32_e32 v10, s0
	s_mul_u64 s[4:5], s[4:5], 24
	s_wait_loadcnt 0x0
	v_add_nc_u64_e32 v[6:7], s[4:5], v[4:5]
	global_store_b64 v[6:7], v[12:13], off
	global_wb scope:SCOPE_SYS
	s_wait_storecnt 0x0
	s_wait_xcnt 0x0
	global_atomic_cmpswap_b64 v[4:5], v8, v[10:13], s[2:3] offset:24 th:TH_ATOMIC_RETURN scope:SCOPE_SYS
	s_wait_loadcnt 0x0
	v_cmp_ne_u64_e32 vcc_lo, v[4:5], v[12:13]
	s_and_b32 exec_lo, exec_lo, vcc_lo
	s_cbranch_execz .LBB1_390
; %bb.388:
	s_mov_b32 s4, 0
.LBB1_389:                              ; =>This Inner Loop Header: Depth=1
	v_dual_mov_b32 v2, s0 :: v_dual_mov_b32 v3, s1
	s_sleep 1
	global_store_b64 v[6:7], v[4:5], off
	global_wb scope:SCOPE_SYS
	s_wait_storecnt 0x0
	s_wait_xcnt 0x0
	global_atomic_cmpswap_b64 v[2:3], v8, v[2:5], s[2:3] offset:24 th:TH_ATOMIC_RETURN scope:SCOPE_SYS
	s_wait_loadcnt 0x0
	v_cmp_eq_u64_e32 vcc_lo, v[2:3], v[4:5]
	v_mov_b64_e32 v[4:5], v[2:3]
	s_or_b32 s4, vcc_lo, s4
	s_delay_alu instid0(SALU_CYCLE_1)
	s_and_not1_b32 exec_lo, exec_lo, s4
	s_cbranch_execnz .LBB1_389
.LBB1_390:
	s_or_b32 exec_lo, exec_lo, s7
.LBB1_391:
	s_delay_alu instid0(SALU_CYCLE_1)
	s_or_b32 exec_lo, exec_lo, s6
	s_get_pc_i64 s[0:1]
	s_add_nc_u64 s[0:1], s[0:1], .str.3@rel64+4
	s_get_pc_i64 s[2:3]
	s_add_nc_u64 s[2:3], s[2:3], .str.3@rel64+32
	v_dual_mov_b32 v2, s0 :: v_dual_mov_b32 v3, s1
	s_sub_co_i32 s4, s2, s0
	v_mov_b32_e32 v6, 1
	s_ashr_i32 s5, s4, 31
	s_delay_alu instid0(SALU_CYCLE_1) | instskip(SKIP_2) | instid1(SALU_CYCLE_1)
	v_dual_mov_b32 v4, s4 :: v_dual_mov_b32 v5, s5
	s_get_pc_i64 s[2:3]
	s_add_nc_u64 s[2:3], s[2:3], __ockl_fprintf_append_string_n@rel64+4
	s_swap_pc_i64 s[30:31], s[2:3]
	s_trap 2
.Lfunc_end1:
	.size	__assert_fail, .Lfunc_end1-__assert_fail
                                        ; -- End function
	.set .L__assert_fail.num_vgpr, max(49, .L__ockl_fprintf_append_string_n.num_vgpr)
	.set .L__assert_fail.num_agpr, max(0, .L__ockl_fprintf_append_string_n.num_agpr)
	.set .L__assert_fail.numbered_sgpr, max(34, .L__ockl_fprintf_append_string_n.numbered_sgpr)
	.set .L__assert_fail.num_named_barrier, max(0, .L__ockl_fprintf_append_string_n.num_named_barrier)
	.set .L__assert_fail.private_seg_size, 64+max(.L__ockl_fprintf_append_string_n.private_seg_size)
	.set .L__assert_fail.uses_vcc, or(1, .L__ockl_fprintf_append_string_n.uses_vcc)
	.set .L__assert_fail.uses_flat_scratch, or(1, .L__ockl_fprintf_append_string_n.uses_flat_scratch)
	.set .L__assert_fail.has_dyn_sized_stack, or(0, .L__ockl_fprintf_append_string_n.has_dyn_sized_stack)
	.set .L__assert_fail.has_recursion, or(0, .L__ockl_fprintf_append_string_n.has_recursion)
	.set .L__assert_fail.has_indirect_call, or(0, .L__ockl_fprintf_append_string_n.has_indirect_call)
	.section	.AMDGPU.csdata,"",@progbits
; Function info:
; codeLenInByte = 15740
; TotalNumSgprs: 36
; NumVgprs: 49
; ScratchSize: 64
; MemoryBound: 0
	.text
	.p2align	2                               ; -- Begin function _ZN12_GLOBAL__N_17runRingI12hip_bfloat1613FuncPreMulSumIS1_E11ProtoSimpleILi1ELi1ELi0ELi1ELi0ELi0EELi0ELi1ELi0EEEviiP15ncclDevWorkColl
	.type	_ZN12_GLOBAL__N_17runRingI12hip_bfloat1613FuncPreMulSumIS1_E11ProtoSimpleILi1ELi1ELi0ELi1ELi0ELi0EELi0ELi1ELi0EEEviiP15ncclDevWorkColl,@function
_ZN12_GLOBAL__N_17runRingI12hip_bfloat1613FuncPreMulSumIS1_E11ProtoSimpleILi1ELi1ELi0ELi1ELi0ELi0EELi0ELi1ELi0EEEviiP15ncclDevWorkColl: ; @_ZN12_GLOBAL__N_17runRingI12hip_bfloat1613FuncPreMulSumIS1_E11ProtoSimpleILi1ELi1ELi0ELi1ELi0ELi0EELi0ELi1ELi0EEEviiP15ncclDevWorkColl
; %bb.0:
	s_wait_loadcnt_dscnt 0x0
	s_wait_kmcnt 0x0
	s_mov_b32 s43, s33
	s_mov_b32 s33, s32
	s_or_saveexec_b32 s0, -1
	scratch_store_b32 off, v45, s33 offset:20 ; 4-byte Folded Spill
	s_wait_xcnt 0x0
	s_mov_b32 exec_lo, s0
	s_add_co_i32 s32, s32, 32
	s_clause 0x4
	scratch_store_b32 off, v40, s33 offset:16
	; meta instruction
	scratch_store_b32 off, v41, s33 offset:12
	; meta instruction
	;; [unrolled: 2-line block ×4, first 2 shown]
	scratch_store_b32 off, v44, s33
	v_writelane_b32 v45, s30, 0
	v_writelane_b32 v45, s31, 1
	s_trap 2
	ds_load_b64 v[34:35], v0
	ds_load_b32 v9, v0
	flat_load_b64 v[6:7], v[2:3]
                                        ; implicit-def: $vgpr28_vgpr29
                                        ; implicit-def: $vgpr4_vgpr5
                                        ; implicit-def: $vgpr14_vgpr15
	s_wait_dscnt 0x2
	v_readfirstlane_b32 s0, v34
	v_readfirstlane_b32 s1, v35
	flat_load_u16 v25, v[2:3] offset:8
	flat_load_b32 v21, v35, s[0:1] offset:-4 scale_offset
	s_wait_xcnt 0x0
	s_mov_b32 s0, exec_lo
	s_wait_loadcnt_dscnt 0x202
	v_and_b32_e32 v8, 0xff, v6
	v_mov_b32_e32 v24, v7
	s_delay_alu instid0(VALU_DEP_2)
	v_cmpx_ne_u32_e64 v9, v8
	s_xor_b32 s0, exec_lo, s0
	s_cbranch_execz .LBB2_6
; %bb.1:
	v_bfe_u32 v10, v6, 8, 8
	v_not_b32_e32 v8, v8
	s_mov_b32 s1, exec_lo
                                        ; implicit-def: $vgpr28_vgpr29
                                        ; implicit-def: $vgpr4_vgpr5
                                        ; implicit-def: $vgpr14_vgpr15
	s_delay_alu instid0(VALU_DEP_2)
	v_cmpx_ne_u32_e64 v9, v10
	s_xor_b32 s1, exec_lo, s1
	s_cbranch_execz .LBB2_3
; %bb.2:
	s_clause 0x1
	flat_load_b128 v[4:7], v[2:3] offset:72
	flat_load_b64 v[10:11], v[2:3] offset:96
	v_add_nc_u32_e32 v8, v9, v8
	s_wait_loadcnt_dscnt 0x101
	s_delay_alu instid0(VALU_DEP_1) | instskip(SKIP_3) | instid1(VALU_DEP_3)
	v_mad_nc_u64_u32 v[14:15], v6, v8, v[4:5]
	v_ashrrev_i32_e32 v5, 31, v8
	s_wait_loadcnt_dscnt 0x0
	v_lshrrev_b64 v[28:29], 13, v[10:11]
                                        ; implicit-def: $vgpr10
	v_mad_u32 v4, v7, v8, v15
                                        ; implicit-def: $vgpr8
	s_delay_alu instid0(VALU_DEP_1)
	v_mad_u32 v15, v6, v5, v4
	v_mov_b64_e32 v[4:5], v[6:7]
.LBB2_3:
	s_wait_xcnt 0x0
	s_and_not1_saveexec_b32 s1, s1
	s_cbranch_execz .LBB2_5
; %bb.4:
	s_clause 0x1
	flat_load_b128 v[14:17], v[2:3] offset:72
	flat_load_b128 v[4:7], v[2:3] offset:88
	s_wait_loadcnt_dscnt 0x0
	v_dual_add_nc_u32 v6, v10, v8 :: v_dual_lshrrev_b32 v28, 2, v7
	s_delay_alu instid0(VALU_DEP_1) | instskip(NEXT) | instid1(VALU_DEP_1)
	v_mad_nc_u64_u32 v[14:15], v16, v6, v[14:15]
	v_mad_u32 v8, v17, v6, v15
	v_ashrrev_i32_e32 v6, 31, v6
	s_delay_alu instid0(VALU_DEP_1)
	v_mad_u32 v15, v16, v6, v8
.LBB2_5:
	s_wait_xcnt 0x0
	s_or_b32 exec_lo, exec_lo, s1
.LBB2_6:
	s_and_not1_saveexec_b32 s0, s0
	s_cbranch_execz .LBB2_8
; %bb.7:
	s_clause 0x1
	flat_load_b64 v[6:7], v[2:3] offset:96
	flat_load_b64 v[4:5], v[2:3] offset:72
	v_mov_b64_e32 v[14:15], 0
	s_wait_loadcnt_dscnt 0x101
	v_lshlrev_b64_e32 v[28:29], 8, v[6:7]
.LBB2_8:
	s_wait_xcnt 0x0
	s_or_b32 exec_lo, exec_lo, s0
	s_trap 2
	ds_load_b64 v[6:7], v0
	s_mov_b32 s1, 0
	s_mov_b32 s2, exec_lo
	s_wait_dscnt 0x0
	v_cmp_ne_u32_e32 vcc_lo, -1, v6
	v_cndmask_b32_e64 v38, 0, 1, vcc_lo
	v_cmp_ne_u32_e32 vcc_lo, -1, v7
	s_delay_alu instid0(VALU_DEP_2) | instskip(NEXT) | instid1(VALU_DEP_1)
	v_add_co_ci_u32_e64 v6, null, 0, v38, vcc_lo
	v_lshlrev_b32_e32 v7, 1, v6
	s_delay_alu instid0(VALU_DEP_1)
	v_cmpx_le_u32_e64 v7, v1
	s_xor_b32 s11, exec_lo, s2
	s_cbranch_execz .LBB2_1053
; %bb.9:
	s_clause 0x1
	flat_load_b128 v[10:13], v[2:3] offset:16
	flat_load_b64 v[36:37], v[2:3] offset:104
	s_trap 2
	s_load_b32 s0, s[8:9], 0x0
	s_bfe_u32 s2, ttmp6, 0x4000c
	s_and_b32 s3, ttmp6, 15
	s_add_co_i32 s2, s2, 1
	s_getreg_b32 s4, hwreg(HW_REG_IB_STS2, 6, 4)
	s_mul_i32 s2, ttmp9, s2
	v_dual_mov_b32 v2, 0 :: v_dual_mov_b32 v30, 4
	s_add_co_i32 s3, s3, s2
	s_cmp_eq_u32 s4, 0
	s_cselect_b32 s2, ttmp9, s3
	s_wait_kmcnt 0x0
	s_cmp_lt_u32 s2, s0
	s_mov_b32 s2, exec_lo
	s_cselect_b32 s0, 12, 18
	s_delay_alu instid0(SALU_CYCLE_1)
	s_add_nc_u64 s[0:1], s[8:9], s[0:1]
	global_load_u16 v35, v2, s[0:1]
	s_wait_xcnt 0x0
	ds_load_b32 v2, v0
	s_wait_dscnt 0x0
	v_readfirstlane_b32 s1, v2
	v_cmpx_ge_u32_e64 v0, v38
	s_cbranch_execz .LBB2_19
; %bb.10:
	v_cmp_ge_u32_e64 s0, v0, v6
                                        ; implicit-def: $vgpr30
	s_and_saveexec_b32 s3, s0
	s_delay_alu instid0(SALU_CYCLE_1)
	s_xor_b32 s0, exec_lo, s3
	s_cbranch_execz .LBB2_16
; %bb.11:
	v_cndmask_b32_e64 v2, 0, 1, vcc_lo
	s_mov_b32 s3, exec_lo
	s_delay_alu instid0(VALU_DEP_1) | instskip(NEXT) | instid1(VALU_DEP_1)
	v_sub_nc_u32_e32 v2, v1, v2
	v_cmpx_ge_u32_e64 v0, v2
	s_xor_b32 s3, exec_lo, s3
; %bb.12:
                                        ; implicit-def: $vgpr6
; %bb.13:
	s_delay_alu instid0(SALU_CYCLE_1)
	s_or_saveexec_b32 s3, s3
	v_mov_b32_e32 v30, 16
	s_xor_b32 exec_lo, exec_lo, s3
; %bb.14:
	v_sub_nc_u32_e32 v2, v1, v6
	s_delay_alu instid0(VALU_DEP_1)
	v_cmp_lt_i32_e32 vcc_lo, v0, v2
	v_cndmask_b32_e64 v30, 32, 0, vcc_lo
; %bb.15:
	s_or_b32 exec_lo, exec_lo, s3
.LBB2_16:
	s_and_not1_saveexec_b32 s0, s0
; %bb.17:
	v_mov_b32_e32 v30, 8
; %bb.18:
	s_or_b32 exec_lo, exec_lo, s0
.LBB2_19:
	s_delay_alu instid0(SALU_CYCLE_1) | instskip(NEXT) | instid1(VALU_DEP_1)
	s_or_b32 exec_lo, exec_lo, s2
	v_dual_mov_b32 v29, -1 :: v_dual_bitop2_b32 v2, 36, v30 bitop3:0x40
	s_delay_alu instid0(VALU_DEP_1)
	v_cmp_ne_u32_e32 vcc_lo, 0, v2
	s_and_saveexec_b32 s0, vcc_lo
	s_cbranch_execz .LBB2_21
; %bb.20:
	s_trap 2
	ds_load_b32 v29, v0
.LBB2_21:
	s_or_b32 exec_lo, exec_lo, s0
	v_and_b32_e32 v2, 24, v30
	s_mov_b32 s2, exec_lo
	s_delay_alu instid0(VALU_DEP_1)
	v_cmpx_ne_u32_e32 0, v2
	s_cbranch_execz .LBB2_23
; %bb.22:
	s_trap 2
	s_wait_dscnt 0x0
	ds_load_b32 v29, v0
.LBB2_23:
	s_or_b32 exec_lo, exec_lo, s2
	s_wait_loadcnt 0x4
	v_lshrrev_b64 v[2:3], 31, v[24:25]
	v_mov_b64_e32 v[16:17], 0
	v_mov_b64_e32 v[6:7], 0
                                        ; implicit-def: $vgpr20
                                        ; implicit-def: $vgpr26_vgpr27
                                        ; implicit-def: $vgpr22_vgpr23
                                        ; implicit-def: $vgpr18_vgpr19
	s_delay_alu instid0(VALU_DEP_3) | instskip(NEXT) | instid1(VALU_DEP_1)
	v_and_b32_e32 v2, 3, v2
	v_and_b32_e32 v25, 0xffff, v2
                                        ; implicit-def: $vgpr2_vgpr3
	s_and_saveexec_b32 s0, vcc_lo
	s_cbranch_execz .LBB2_33
; %bb.24:
	s_trap 2
	ds_load_b64 v[2:3], v0
	s_wait_dscnt 0x0
	v_readfirstlane_b32 s2, v2
	v_readfirstlane_b32 s3, v3
	flat_load_b64 v[2:3], v29, s[2:3] scale_offset
	s_wait_loadcnt_dscnt 0x0
	v_mad_nc_u64_u32 v[32:33], 0xa8, v25, v[2:3]
	flat_load_b32 v2, v[32:33] offset:640
	s_wait_loadcnt_dscnt 0x0
	v_cmp_eq_u32_e32 vcc_lo, 1, v2
                                        ; implicit-def: $vgpr2_vgpr3
	s_wait_xcnt 0x0
	s_and_saveexec_b32 s2, vcc_lo
	s_cbranch_execz .LBB2_26
; %bb.25:
	flat_load_b64 v[2:3], v[32:33] offset:648
	v_or_b32_e32 v30, 0x2000, v30
	s_wait_loadcnt_dscnt 0x0
	flat_load_b64 v[6:7], v[2:3]
	s_trap 2
	s_wait_loadcnt_dscnt 0x0
	ds_store_b64 v0, v[6:7]
	flat_load_b64 v[6:7], v[2:3] offset:8
	s_wait_loadcnt_dscnt 0x0
	ds_store_b64 v0, v[6:7]
	flat_load_b64 v[6:7], v[2:3] offset:16
	s_wait_loadcnt_dscnt 0x0
	ds_store_b64 v0, v[6:7]
.LBB2_26:
	s_wait_xcnt 0x0
	s_or_b32 exec_lo, exec_lo, s2
	flat_load_b64 v[8:9], v[32:33] offset:608
	v_and_b32_e32 v6, 32, v30
	s_mov_b32 s2, exec_lo
                                        ; implicit-def: $vgpr18_vgpr19
	s_wait_xcnt 0x0
	s_delay_alu instid0(VALU_DEP_1)
	v_cmpx_ne_u32_e32 0, v6
	s_cbranch_execz .LBB2_28
; %bb.27:
	flat_load_b64 v[18:19], v[32:33] offset:560
	global_wb scope:SCOPE_SYS
	s_wait_storecnt 0x0
	s_wait_xcnt 0x0
	s_wait_loadcnt_dscnt 0x0
	flat_store_b64 v[18:19], v[8:9] scope:SCOPE_SYS
.LBB2_28:
	s_wait_xcnt 0x0
	s_or_b32 exec_lo, exec_lo, s2
	v_and_b32_e32 v20, 4, v30
	v_add_nc_u64_e32 v[16:17], 0x1f8, v[32:33]
	v_mov_b64_e32 v[6:7], 0
                                        ; implicit-def: $vgpr26_vgpr27
                                        ; implicit-def: $vgpr22_vgpr23
	s_delay_alu instid0(VALU_DEP_3)
	v_cmp_ne_u32_e32 vcc_lo, 0, v20
                                        ; implicit-def: $vgpr20
	s_and_saveexec_b32 s2, vcc_lo
	s_cbranch_execz .LBB2_32
; %bb.29:
	v_and_b32_e32 v6, 0x800, v30
	s_mov_b32 s3, exec_lo
	s_delay_alu instid0(VALU_DEP_1)
	v_cmpx_eq_u32_e32 0, v6
	s_cbranch_execz .LBB2_31
; %bb.30:
	s_trap 2
	ds_store_b64 v0, v[16:17]
.LBB2_31:
	s_or_b32 exec_lo, exec_lo, s3
	flat_load_b64 v[18:19], v[32:33] offset:552
	s_wait_loadcnt_dscnt 0x0
	flat_load_b64 v[26:27], v[18:19] scope:SCOPE_SYS
	s_clause 0x2
	flat_load_b32 v20, v[32:33] offset:576
	flat_load_b64 v[6:7], v[32:33] offset:600
	flat_load_b64 v[22:23], v[32:33] offset:520
	s_wait_xcnt 0x0
	v_or_b32_e32 v32, 0x100, v30
	s_wait_loadcnt_dscnt 0x101
	v_cmp_eq_u64_e32 vcc_lo, 0, v[6:7]
	s_delay_alu instid0(VALU_DEP_2)
	v_dual_ashrrev_i32 v20, 1, v20 :: v_dual_cndmask_b32 v30, v32, v30, vcc_lo
.LBB2_32:
	s_or_b32 exec_lo, exec_lo, s2
.LBB2_33:
	s_delay_alu instid0(SALU_CYCLE_1) | instskip(NEXT) | instid1(VALU_DEP_1)
	s_or_b32 exec_lo, exec_lo, s0
	v_and_b32_e32 v32, 24, v30
	s_delay_alu instid0(VALU_DEP_1)
	v_cmp_ne_u32_e32 vcc_lo, 0, v32
                                        ; implicit-def: $vgpr32_vgpr33
	s_and_saveexec_b32 s0, vcc_lo
	s_cbranch_execz .LBB2_41
; %bb.34:
	s_trap 2
	ds_load_b64 v[6:7], v0
                                        ; implicit-def: $vgpr32_vgpr33
	s_wait_dscnt 0x0
	v_readfirstlane_b32 s2, v6
	v_readfirstlane_b32 s3, v7
	flat_load_b64 v[6:7], v29, s[2:3] scale_offset
	s_wait_xcnt 0x0
	s_mov_b32 s2, exec_lo
	s_wait_loadcnt_dscnt 0x0
	v_mad_nc_u64_u32 v[16:17], 0xa8, v25, v[6:7]
	v_or_b32_e32 v25, 0x100, v30
	flat_load_b128 v[6:9], v[16:17] offset:96
	s_wait_loadcnt_dscnt 0x0
	v_cmp_eq_u64_e32 vcc_lo, 0, v[6:7]
	v_cndmask_b32_e32 v30, v25, v30, vcc_lo
	s_delay_alu instid0(VALU_DEP_1) | instskip(SKIP_1) | instid1(VALU_DEP_1)
	v_and_b32_e32 v25, 16, v30
	s_wait_xcnt 0x0
	v_cmpx_ne_u32_e32 0, v25
	s_cbranch_execz .LBB2_36
; %bb.35:
	s_clause 0x2
	flat_load_b64 v[18:19], v[16:17] offset:48
	flat_load_b64 v[32:33], v[16:17] offset:120
	flat_load_b64 v[22:23], v[16:17] offset:16
.LBB2_36:
	s_wait_xcnt 0x0
	s_or_b32 exec_lo, exec_lo, s2
	v_and_b32_e32 v25, 8, v30
	s_mov_b32 s2, exec_lo
	s_delay_alu instid0(VALU_DEP_1)
	v_cmpx_ne_u32_e32 0, v25
	s_cbranch_execz .LBB2_40
; %bb.37:
	s_wait_loadcnt_dscnt 0x202
	v_and_b32_e32 v18, 0x800, v30
	s_mov_b32 s3, exec_lo
	s_delay_alu instid0(VALU_DEP_1)
	v_cmpx_eq_u32_e32 0, v18
	s_cbranch_execz .LBB2_39
; %bb.38:
	s_trap 2
	ds_store_b64 v0, v[16:17]
.LBB2_39:
	s_or_b32 exec_lo, exec_lo, s3
	flat_load_b64 v[18:19], v[16:17] offset:56
	s_wait_loadcnt_dscnt 0x0
	flat_load_b64 v[26:27], v[18:19] scope:SCOPE_SYS
	s_clause 0x1
	flat_load_b32 v20, v[16:17] offset:72
	flat_load_b64 v[22:23], v[16:17] offset:16
	s_wait_loadcnt_dscnt 0x101
	v_ashrrev_i32_e32 v20, 1, v20
.LBB2_40:
	s_wait_xcnt 0x0
	s_or_b32 exec_lo, exec_lo, s2
.LBB2_41:
	s_delay_alu instid0(SALU_CYCLE_1)
	s_or_b32 exec_lo, exec_lo, s0
	v_cmp_eq_u32_e64 s0, 0, v0
	s_and_saveexec_b32 s2, s0
	s_cbranch_execz .LBB2_43
; %bb.42:
	v_mov_b64_e32 v[48:49], 0
	s_wait_loadcnt 0x2
	ds_store_2addr_b64 v0, v[12:13], v[10:11] offset1:1
	s_trap 2
	ds_store_b64 v0, v[48:49]
	s_wait_loadcnt 0x1
	ds_store_b64 v0, v[36:37]
.LBB2_43:
	s_or_b32 exec_lo, exec_lo, s2
	s_ashr_i32 s2, s1, 31
	v_and_b32_e32 v28, 0x1fffff00, v28
	s_lshr_b32 s2, s2, 29
	s_wait_loadcnt 0x2
	v_bfe_u32 v10, v24, 1, 30
	s_wait_dscnt 0x0
	v_mov_b32_e32 v29, 0
	s_wait_loadcnt 0x0
	v_and_b32_e32 v86, 0xffff, v35
	s_add_co_i32 s1, s1, s2
                                        ; implicit-def: $vgpr24_vgpr25
	s_delay_alu instid0(SALU_CYCLE_1)
	s_ashr_i32 s10, s1, 4
	s_mov_b32 s1, exec_lo
	v_cmpx_ne_u32_e64 v21, v10
	s_xor_b32 s12, exec_lo, s1
	s_cbranch_execz .LBB2_729
; %bb.44:
                                        ; implicit-def: $vgpr24_vgpr25
	s_mov_b32 s1, exec_lo
	v_cmpx_ne_u32_e64 v34, v10
	s_xor_b32 s13, exec_lo, s1
	s_cbranch_execz .LBB2_392
; %bb.45:
	v_mov_b64_e32 v[24:25], 0
	s_mov_b32 s14, exec_lo
	v_cmpx_ne_u64_e32 0, v[4:5]
	s_cbranch_execz .LBB2_391
; %bb.46:
	v_dual_ashrrev_i32 v21, 31, v20 :: v_dual_bitop2_b32 v10, 31, v31 bitop3:0x40
	v_dual_mov_b32 v35, 0 :: v_dual_bitop2_b32 v87, 31, v0 bitop3:0x40
	v_lshrrev_b32_e32 v36, 5, v1
	s_lshr_b32 s2, s10, 27
	s_delay_alu instid0(VALU_DEP_3) | instskip(NEXT) | instid1(VALU_DEP_3)
	v_cmp_eq_u32_e64 s4, 0, v10
	v_dual_mov_b32 v39, v35 :: v_dual_lshlrev_b32 v10, 1, v1
	v_cmp_eq_u64_e64 s7, 0, v[32:33]
	s_add_co_i32 s2, s10, s2
	v_cmp_eq_u32_e32 vcc_lo, 32, v1
	v_mov_b64_e32 v[54:55], 0
	v_mov_b64_e32 v[64:65], 0
	;; [unrolled: 1-line block ×3, first 2 shown]
	v_cmp_ge_u32_e64 s1, v0, v1
	s_ashr_i32 s15, s2, 5
	v_cmp_ne_u32_e64 s2, 32, v1
	v_cmp_ne_u32_e64 s3, v1, v86
	v_mov_b32_e32 v37, v35
	v_cmp_le_u32_e64 s5, v87, v38
	v_cmp_lt_u32_e64 s6, v87, v38
	v_dual_lshrrev_b32 v96, 5, v0 :: v_dual_lshlrev_b32 v38, 4, v0
	v_dual_mov_b32 v49, v35 :: v_dual_lshlrev_b32 v48, 9, v36
	v_dual_mov_b32 v51, v35 :: v_dual_lshlrev_b32 v50, 8, v36
	v_and_b32_e32 v52, 0x3fc0, v10
	v_dual_mov_b32 v53, v35 :: v_dual_mov_b32 v97, 1
	v_mov_b32_e32 v98, 0x90
	s_mov_b32 s16, 0
	s_xor_b32 s17, vcc_lo, -1
	s_xor_b32 s18, s7, -1
	s_trap 2
	s_branch .LBB2_49
.LBB2_47:                               ;   in Loop: Header=BB2_49 Depth=1
	s_wait_xcnt 0x0
	s_or_b32 exec_lo, exec_lo, s7
.LBB2_48:                               ;   in Loop: Header=BB2_49 Depth=1
	s_delay_alu instid0(SALU_CYCLE_1) | instskip(SKIP_1) | instid1(VALU_DEP_1)
	s_or_b32 exec_lo, exec_lo, s20
	v_add_nc_u64_e32 v[64:65], v[64:65], v[28:29]
	v_cmp_ge_u64_e32 vcc_lo, v[64:65], v[4:5]
	s_or_b32 s16, vcc_lo, s16
	s_delay_alu instid0(SALU_CYCLE_1)
	s_and_not1_b32 exec_lo, exec_lo, s16
	s_cbranch_execz .LBB2_390
.LBB2_49:                               ; =>This Loop Header: Depth=1
                                        ;     Child Loop BB2_58 Depth 2
                                        ;     Child Loop BB2_86 Depth 2
	;; [unrolled: 1-line block ×10, first 2 shown]
	v_sub_nc_u64_e32 v[10:11], v[4:5], v[64:65]
	s_delay_alu instid0(VALU_DEP_1) | instskip(NEXT) | instid1(VALU_DEP_1)
	v_min_u64 v[66:67], v[28:29], v[10:11]
	v_add_nc_u32_e32 v10, 15, v66
	s_delay_alu instid0(VALU_DEP_2) | instskip(NEXT) | instid1(VALU_DEP_2)
	v_cmp_eq_u64_e32 vcc_lo, 0, v[66:67]
	v_and_b32_e32 v10, 0x3ffffff0, v10
	s_or_b32 s19, s1, vcc_lo
	s_delay_alu instid0(SALU_CYCLE_1) | instskip(NEXT) | instid1(VALU_DEP_1)
	s_xor_b32 s7, s19, -1
	v_dual_mov_b32 v10, 0 :: v_dual_max_i32 v67, s15, v10
	s_and_saveexec_b32 s20, s7
	s_cbranch_execz .LBB2_338
; %bb.50:                               ;   in Loop: Header=BB2_49 Depth=1
	s_and_saveexec_b32 s7, s0
	s_cbranch_execz .LBB2_52
; %bb.51:                               ;   in Loop: Header=BB2_49 Depth=1
	s_trap 2
	ds_load_b64 v[10:11], v0
	s_wait_dscnt 0x0
	v_lshl_add_u64 v[10:11], v[14:15], 1, v[10:11]
	s_delay_alu instid0(VALU_DEP_1)
	v_lshl_add_u64 v[10:11], v[64:65], 1, v[10:11]
	ds_store_b64 v0, v[10:11]
	ds_store_b64 v0, v[54:55]
.LBB2_52:                               ;   in Loop: Header=BB2_49 Depth=1
	s_or_b32 exec_lo, exec_lo, s7
	v_and_b32_e32 v10, 12, v30
	v_min_u32_e32 v67, v67, v66
	s_mov_b32 s21, exec_lo
	s_delay_alu instid0(VALU_DEP_2)
	v_cmpx_ne_u32_e32 0, v10
	s_cbranch_execz .LBB2_78
; %bb.53:                               ;   in Loop: Header=BB2_49 Depth=1
	v_and_b32_e32 v34, 8, v30
	v_add_nc_u64_e32 v[10:11], 1, v[8:9]
	s_mov_b32 s22, exec_lo
	s_wait_loadcnt 0x0
	s_delay_alu instid0(VALU_DEP_2) | instskip(NEXT) | instid1(VALU_DEP_1)
	v_add_nc_u64_e32 v[12:13], v[26:27], v[34:35]
	v_cmpx_lt_u64_e64 v[12:13], v[10:11]
	s_cbranch_execz .LBB2_65
; %bb.54:                               ;   in Loop: Header=BB2_49 Depth=1
	v_and_b32_e32 v9, 64, v30
	s_mov_b32 s23, 0
	s_mov_b32 s27, 0
                                        ; implicit-def: $sgpr24
                                        ; implicit-def: $sgpr25
                                        ; implicit-def: $sgpr26
	s_delay_alu instid0(VALU_DEP_1)
	v_cmp_eq_u32_e32 vcc_lo, 0, v9
	s_branch .LBB2_58
.LBB2_55:                               ;   in Loop: Header=BB2_58 Depth=2
	s_wait_loadcnt_dscnt 0x0
	v_add_nc_u64_e32 v[12:13], v[26:27], v[34:35]
	s_or_b32 s40, s40, exec_lo
	s_delay_alu instid0(VALU_DEP_1)
	v_cmp_ge_u64_e64 s7, v[12:13], v[10:11]
	s_or_not1_b32 s29, s7, exec_lo
.LBB2_56:                               ;   in Loop: Header=BB2_58 Depth=2
	s_or_b32 exec_lo, exec_lo, s42
	s_delay_alu instid0(SALU_CYCLE_1)
	s_and_not1_b32 s7, s26, exec_lo
	s_and_b32 s26, s40, exec_lo
	s_and_not1_b32 s25, s25, exec_lo
	s_and_b32 s29, s29, exec_lo
	s_or_b32 s26, s7, s26
	s_or_b32 s25, s25, s29
.LBB2_57:                               ;   in Loop: Header=BB2_58 Depth=2
	s_or_b32 exec_lo, exec_lo, s28
	s_delay_alu instid0(SALU_CYCLE_1) | instskip(NEXT) | instid1(SALU_CYCLE_1)
	s_and_b32 s7, exec_lo, s25
	s_or_b32 s23, s7, s23
	s_and_not1_b32 s7, s24, exec_lo
	s_and_b32 s24, s26, exec_lo
	s_delay_alu instid0(SALU_CYCLE_1)
	s_or_b32 s24, s7, s24
	s_and_not1_b32 exec_lo, exec_lo, s23
	s_cbranch_execz .LBB2_62
.LBB2_58:                               ;   Parent Loop BB2_49 Depth=1
                                        ; =>  This Inner Loop Header: Depth=2
	s_sleep 1
	s_wait_loadcnt_dscnt 0x0
	flat_load_b64 v[26:27], v[18:19] scope:SCOPE_SYS
	s_or_b32 s26, s26, exec_lo
	s_or_b32 s25, s25, exec_lo
                                        ; implicit-def: $vgpr9
	s_wait_xcnt 0x0
	s_and_saveexec_b32 s28, vcc_lo
	s_cbranch_execz .LBB2_57
; %bb.59:                               ;   in Loop: Header=BB2_58 Depth=2
	s_cmp_lt_i32 s27, 0x270f
	s_mov_b32 s29, -1
	s_cselect_b32 s41, -1, 0
	s_cmp_gt_i32 s27, 0x270e
	s_cbranch_scc0 .LBB2_61
; %bb.60:                               ;   in Loop: Header=BB2_58 Depth=2
	s_trap 2
	ds_load_b64 v[12:13], v0
	s_and_not1_b32 s27, s41, exec_lo
	s_mov_b32 s40, 0
	s_wait_storecnt 0x0
	s_wait_loadcnt_dscnt 0x0
	flat_load_b32 v9, v[12:13] scope:SCOPE_SYS
	s_wait_loadcnt_dscnt 0x0
	global_inv scope:SCOPE_SYS
	v_cmp_eq_u32_e64 s7, 0, v9
	s_and_b32 s7, s7, exec_lo
	s_delay_alu instid0(SALU_CYCLE_1)
	s_or_b32 s41, s27, s7
	s_mov_b32 s27, 0
	s_and_saveexec_b32 s42, s41
	s_cbranch_execz .LBB2_56
	s_branch .LBB2_55
.LBB2_61:                               ;   in Loop: Header=BB2_58 Depth=2
	s_add_co_i32 s27, s27, 1
	s_mov_b32 s40, -1
                                        ; implicit-def: $vgpr9
	s_and_saveexec_b32 s42, s41
	s_cbranch_execz .LBB2_56
	s_branch .LBB2_55
.LBB2_62:                               ;   in Loop: Header=BB2_49 Depth=1
	s_or_b32 exec_lo, exec_lo, s23
	s_xor_b32 s7, s24, -1
	s_delay_alu instid0(SALU_CYCLE_1) | instskip(NEXT) | instid1(SALU_CYCLE_1)
	s_and_saveexec_b32 s23, s7
	s_xor_b32 s7, exec_lo, s23
	s_cbranch_execz .LBB2_64
; %bb.63:                               ;   in Loop: Header=BB2_49 Depth=1
	v_or_b32_e32 v30, 64, v30
	s_wait_storecnt 0x0
	s_wait_loadcnt_dscnt 0x0
	ds_store_b32 v0, v9
	s_trap 2
.LBB2_64:                               ;   in Loop: Header=BB2_49 Depth=1
	s_or_b32 exec_lo, exec_lo, s7
.LBB2_65:                               ;   in Loop: Header=BB2_49 Depth=1
	s_delay_alu instid0(SALU_CYCLE_1) | instskip(SKIP_2) | instid1(VALU_DEP_1)
	s_or_b32 exec_lo, exec_lo, s22
	v_and_b32_e32 v9, 0x108, v30
	;;#ASMSTART
	s_wakeup
	;;#ASMEND
	v_cmp_ne_u32_e32 vcc_lo, 0x108, v9
	v_and_b32_e32 v8, 7, v8
	s_and_saveexec_b32 s7, vcc_lo
	s_delay_alu instid0(SALU_CYCLE_1)
	s_xor_b32 s7, exec_lo, s7
; %bb.66:                               ;   in Loop: Header=BB2_49 Depth=1
	v_mov_b32_e32 v9, v35
; %bb.67:                               ;   in Loop: Header=BB2_49 Depth=1
	s_and_not1_saveexec_b32 s7, s7
	s_cbranch_execz .LBB2_69
; %bb.68:                               ;   in Loop: Header=BB2_49 Depth=1
	v_mad_nc_u64_u32 v[12:13], v8, 24, v[6:7]
	v_dual_mov_b32 v69, v35 :: v_dual_lshlrev_b32 v68, 1, v67
	v_mov_b32_e32 v9, v35
	flat_store_b64 v[12:13], v[68:69] offset:8
.LBB2_69:                               ;   in Loop: Header=BB2_49 Depth=1
	s_wait_xcnt 0x0
	s_or_b32 exec_lo, exec_lo, s7
	v_and_b32_e32 v12, 0x100, v30
	s_mov_b32 s7, -1
	s_delay_alu instid0(VALU_DEP_1)
	v_cmp_ne_u32_e32 vcc_lo, 0, v12
                                        ; implicit-def: $vgpr12_vgpr13
	s_and_saveexec_b32 s22, vcc_lo
	s_cbranch_execz .LBB2_73
; %bb.70:                               ;   in Loop: Header=BB2_49 Depth=1
	v_mad_nc_u64_u32 v[68:69], v8, 24, v[6:7]
	s_delay_alu instid0(VALU_DEP_1)
	v_mad_u32 v69, v9, 24, v69
	flat_load_b32 v12, v[68:69]
	s_wait_loadcnt_dscnt 0x0
	v_cmp_eq_u32_e64 s7, 1, v12
	v_cmp_ne_u32_e32 vcc_lo, 1, v12
                                        ; implicit-def: $vgpr12_vgpr13
	s_wait_xcnt 0x0
	s_and_saveexec_b32 s23, s7
	s_cbranch_execz .LBB2_72
; %bb.71:                               ;   in Loop: Header=BB2_49 Depth=1
	flat_load_b32 v12, v[68:69] offset:4 scope:SCOPE_SYS
	s_wait_loadcnt_dscnt 0x0
	v_ashrrev_i32_e32 v13, 31, v12
	s_delay_alu instid0(VALU_DEP_1)
	v_lshrrev_b64 v[12:13], 1, v[12:13]
.LBB2_72:                               ;   in Loop: Header=BB2_49 Depth=1
	s_wait_xcnt 0x0
	s_or_b32 exec_lo, exec_lo, s23
	s_delay_alu instid0(SALU_CYCLE_1)
	s_or_not1_b32 s7, vcc_lo, exec_lo
.LBB2_73:                               ;   in Loop: Header=BB2_49 Depth=1
	s_or_b32 exec_lo, exec_lo, s22
	s_and_saveexec_b32 s22, s7
; %bb.74:                               ;   in Loop: Header=BB2_49 Depth=1
	v_mul_u64_e32 v[12:13], v[8:9], v[20:21]
; %bb.75:                               ;   in Loop: Header=BB2_49 Depth=1
	s_or_b32 exec_lo, exec_lo, s22
	v_cmp_eq_u32_e32 vcc_lo, 0, v34
	v_and_b32_e32 v68, 0x2000, v30
	s_delay_alu instid0(VALU_DEP_3) | instskip(SKIP_2) | instid1(VALU_DEP_1)
	v_lshl_add_u64 v[8:9], v[12:13], 1, v[22:23]
	s_mov_b32 s7, exec_lo
	v_cndmask_b32_e32 v34, 0xc8, v98, vcc_lo
	v_add_nc_u32_e32 v12, v0, v34
	ds_store_b64 v12, v[8:9] offset:584
	v_cmpx_ne_u32_e32 0, v68
	s_cbranch_execz .LBB2_77
; %bb.76:                               ;   in Loop: Header=BB2_49 Depth=1
	ds_load_b64 v[8:9], v0 offset:872
	s_wait_dscnt 0x0
	v_add_nc_u64_e32 v[8:9], 1, v[8:9]
	ds_store_b64 v0, v[8:9] offset:872
.LBB2_77:                               ;   in Loop: Header=BB2_49 Depth=1
	s_or_b32 exec_lo, exec_lo, s7
	v_mov_b64_e32 v[8:9], v[10:11]
.LBB2_78:                               ;   in Loop: Header=BB2_49 Depth=1
	s_or_b32 exec_lo, exec_lo, s21
	s_and_saveexec_b32 s7, s2
	s_cbranch_execz .LBB2_97
; %bb.79:                               ;   in Loop: Header=BB2_49 Depth=1
	s_and_saveexec_b32 s21, s3
	s_delay_alu instid0(SALU_CYCLE_1)
	s_xor_b32 s21, exec_lo, s21
	s_cbranch_execz .LBB2_94
; %bb.80:                               ;   in Loop: Header=BB2_49 Depth=1
	s_and_saveexec_b32 s22, s4
	s_cbranch_execz .LBB2_93
; %bb.81:                               ;   in Loop: Header=BB2_49 Depth=1
	s_mov_b32 s24, exec_lo
	s_mov_b32 s23, exec_lo
	v_mbcnt_lo_u32_b32 v10, s24, 0
	global_wb scope:SCOPE_DEV
	s_wait_storecnt 0x0
	s_wait_loadcnt_dscnt 0x0
	global_inv scope:SCOPE_DEV
	v_cmpx_eq_u32_e32 0, v10
	s_cbranch_execz .LBB2_83
; %bb.82:                               ;   in Loop: Header=BB2_49 Depth=1
	s_bcnt1_i32_b32 s24, s24
	s_delay_alu instid0(SALU_CYCLE_1)
	v_mov_b32_e32 v34, s24
	s_wait_loadcnt 0x0
	ds_add_u64 v0, v[34:35]
	s_trap 2
.LBB2_83:                               ;   in Loop: Header=BB2_49 Depth=1
	s_or_b32 exec_lo, exec_lo, s23
	s_trap 2
	ds_load_b64 v[10:11], v0
	s_wait_dscnt 0x0
	v_add_nc_u64_e32 v[24:25], v[24:25], v[36:37]
	s_mov_b32 s23, exec_lo
	s_delay_alu instid0(VALU_DEP_1)
	v_cmpx_lt_u64_e64 v[10:11], v[24:25]
	s_cbranch_execz .LBB2_92
; %bb.84:                               ;   in Loop: Header=BB2_49 Depth=1
	s_mov_b32 s24, 0
	s_mov_b32 s27, 0
                                        ; implicit-def: $sgpr25
                                        ; implicit-def: $sgpr26
	s_branch .LBB2_86
.LBB2_85:                               ;   in Loop: Header=BB2_86 Depth=2
	s_or_b32 exec_lo, exec_lo, s29
	s_delay_alu instid0(SALU_CYCLE_1) | instskip(NEXT) | instid1(SALU_CYCLE_1)
	s_and_b32 s28, exec_lo, s40
	s_or_b32 s24, s28, s24
	s_and_not1_b32 s25, s25, exec_lo
	s_and_b32 s28, s26, exec_lo
	s_delay_alu instid0(SALU_CYCLE_1)
	s_or_b32 s25, s25, s28
	s_and_not1_b32 exec_lo, exec_lo, s24
	s_cbranch_execz .LBB2_90
.LBB2_86:                               ;   Parent Loop BB2_49 Depth=1
                                        ; =>  This Inner Loop Header: Depth=2
	s_add_co_i32 s27, s27, 1
	s_delay_alu instid0(SALU_CYCLE_1) | instskip(SKIP_1) | instid1(SALU_CYCLE_1)
	s_cmp_lg_u32 s27, 0x2710
	s_cselect_b32 s28, -1, 0
	s_and_b32 vcc_lo, exec_lo, s28
	s_cbranch_vccz .LBB2_88
; %bb.87:                               ;   in Loop: Header=BB2_86 Depth=2
	s_mov_b32 s40, -1
	s_or_b32 s26, s26, exec_lo
	s_and_saveexec_b32 s29, s28
	s_cbranch_execz .LBB2_85
	s_branch .LBB2_89
.LBB2_88:                               ;   in Loop: Header=BB2_86 Depth=2
	s_trap 2
	ds_load_b64 v[10:11], v0
	s_and_not1_b32 s28, s28, exec_lo
	s_mov_b32 s27, 0
	s_wait_loadcnt_dscnt 0x0
	flat_load_b32 v10, v[10:11] scope:SCOPE_SYS
	s_wait_loadcnt_dscnt 0x0
	global_inv scope:SCOPE_SYS
	v_cmp_eq_u32_e32 vcc_lo, 0, v10
	s_and_b32 s29, vcc_lo, exec_lo
	s_delay_alu instid0(SALU_CYCLE_1)
	s_or_b32 s28, s28, s29
	s_mov_b32 s40, -1
	s_or_b32 s26, s26, exec_lo
	s_and_saveexec_b32 s29, s28
	s_cbranch_execz .LBB2_85
.LBB2_89:                               ;   in Loop: Header=BB2_86 Depth=2
	s_sleep 1
	s_trap 2
	ds_load_b64 v[10:11], v0
	s_wait_dscnt 0x0
	s_and_not1_b32 s26, s26, exec_lo
	v_cmp_ge_u64_e32 vcc_lo, v[10:11], v[24:25]
	s_or_not1_b32 s40, vcc_lo, exec_lo
	s_branch .LBB2_85
.LBB2_90:                               ;   in Loop: Header=BB2_49 Depth=1
	s_or_b32 exec_lo, exec_lo, s24
	s_and_saveexec_b32 s24, s25
	s_delay_alu instid0(SALU_CYCLE_1)
	s_xor_b32 s24, exec_lo, s24
	s_cbranch_execz .LBB2_92
; %bb.91:                               ;   in Loop: Header=BB2_49 Depth=1
	ds_store_b32 v0, v97
	s_trap 2
.LBB2_92:                               ;   in Loop: Header=BB2_49 Depth=1
	s_or_b32 exec_lo, exec_lo, s23
	;;#ASMSTART
	s_wakeup
	;;#ASMEND
.LBB2_93:                               ;   in Loop: Header=BB2_49 Depth=1
	s_or_b32 exec_lo, exec_lo, s22
.LBB2_94:                               ;   in Loop: Header=BB2_49 Depth=1
	s_and_not1_saveexec_b32 s21, s21
	s_cbranch_execz .LBB2_96
; %bb.95:                               ;   in Loop: Header=BB2_49 Depth=1
	global_wb scope:SCOPE_DEV
	s_wait_storecnt 0x0
	s_wait_loadcnt_dscnt 0x0
	global_inv scope:SCOPE_DEV
	s_barrier_signal -1
	s_barrier_wait -1
.LBB2_96:                               ;   in Loop: Header=BB2_49 Depth=1
	s_or_b32 exec_lo, exec_lo, s21
.LBB2_97:                               ;   in Loop: Header=BB2_49 Depth=1
	s_delay_alu instid0(SALU_CYCLE_1) | instskip(SKIP_3) | instid1(VALU_DEP_1)
	s_or_b32 exec_lo, exec_lo, s7
	s_trap 2
	ds_load_b32 v10, v0
	v_and_b32_e32 v11, 0x4000, v30
	v_cmp_ne_u32_e32 vcc_lo, 0, v11
	s_and_b32 s21, s17, vcc_lo
	s_delay_alu instid0(SALU_CYCLE_1)
	s_and_saveexec_b32 s7, s21
	s_cbranch_execz .LBB2_116
; %bb.98:                               ;   in Loop: Header=BB2_49 Depth=1
	s_and_saveexec_b32 s21, s3
	s_delay_alu instid0(SALU_CYCLE_1)
	s_xor_b32 s21, exec_lo, s21
	s_cbranch_execz .LBB2_113
; %bb.99:                               ;   in Loop: Header=BB2_49 Depth=1
	s_and_saveexec_b32 s22, s4
	s_cbranch_execz .LBB2_112
; %bb.100:                              ;   in Loop: Header=BB2_49 Depth=1
	s_mov_b32 s24, exec_lo
	s_mov_b32 s23, exec_lo
	v_mbcnt_lo_u32_b32 v11, s24, 0
	global_wb scope:SCOPE_DEV
	s_wait_storecnt 0x0
	s_wait_loadcnt_dscnt 0x0
	global_inv scope:SCOPE_DEV
	v_cmpx_eq_u32_e32 0, v11
	s_cbranch_execz .LBB2_102
; %bb.101:                              ;   in Loop: Header=BB2_49 Depth=1
	s_bcnt1_i32_b32 s24, s24
	s_delay_alu instid0(SALU_CYCLE_1)
	v_mov_b32_e32 v34, s24
	s_wait_loadcnt 0x0
	ds_add_u64 v0, v[34:35]
	s_trap 2
.LBB2_102:                              ;   in Loop: Header=BB2_49 Depth=1
	s_or_b32 exec_lo, exec_lo, s23
	s_trap 2
	ds_load_b64 v[12:13], v0
	s_wait_dscnt 0x0
	v_add_nc_u64_e32 v[24:25], v[24:25], v[36:37]
	s_mov_b32 s23, exec_lo
	s_delay_alu instid0(VALU_DEP_1)
	v_cmpx_lt_u64_e64 v[12:13], v[24:25]
	s_cbranch_execz .LBB2_111
; %bb.103:                              ;   in Loop: Header=BB2_49 Depth=1
	s_mov_b32 s24, 0
	s_mov_b32 s27, 0
                                        ; implicit-def: $sgpr25
                                        ; implicit-def: $sgpr26
	s_branch .LBB2_105
.LBB2_104:                              ;   in Loop: Header=BB2_105 Depth=2
	s_or_b32 exec_lo, exec_lo, s29
	s_delay_alu instid0(SALU_CYCLE_1) | instskip(NEXT) | instid1(SALU_CYCLE_1)
	s_and_b32 s28, exec_lo, s40
	s_or_b32 s24, s28, s24
	s_and_not1_b32 s25, s25, exec_lo
	s_and_b32 s28, s26, exec_lo
	s_delay_alu instid0(SALU_CYCLE_1)
	s_or_b32 s25, s25, s28
	s_and_not1_b32 exec_lo, exec_lo, s24
	s_cbranch_execz .LBB2_109
.LBB2_105:                              ;   Parent Loop BB2_49 Depth=1
                                        ; =>  This Inner Loop Header: Depth=2
	s_add_co_i32 s27, s27, 1
	s_delay_alu instid0(SALU_CYCLE_1) | instskip(SKIP_1) | instid1(SALU_CYCLE_1)
	s_cmp_lg_u32 s27, 0x2710
	s_cselect_b32 s28, -1, 0
	s_and_b32 vcc_lo, exec_lo, s28
	s_cbranch_vccz .LBB2_107
; %bb.106:                              ;   in Loop: Header=BB2_105 Depth=2
	s_mov_b32 s40, -1
	s_or_b32 s26, s26, exec_lo
	s_and_saveexec_b32 s29, s28
	s_cbranch_execz .LBB2_104
	s_branch .LBB2_108
.LBB2_107:                              ;   in Loop: Header=BB2_105 Depth=2
	s_trap 2
	ds_load_b64 v[12:13], v0
	s_and_not1_b32 s28, s28, exec_lo
	s_mov_b32 s27, 0
	s_wait_loadcnt_dscnt 0x0
	flat_load_b32 v11, v[12:13] scope:SCOPE_SYS
	s_wait_loadcnt_dscnt 0x0
	global_inv scope:SCOPE_SYS
	v_cmp_eq_u32_e32 vcc_lo, 0, v11
	s_and_b32 s29, vcc_lo, exec_lo
	s_delay_alu instid0(SALU_CYCLE_1)
	s_or_b32 s28, s28, s29
	s_mov_b32 s40, -1
	s_or_b32 s26, s26, exec_lo
	s_and_saveexec_b32 s29, s28
	s_cbranch_execz .LBB2_104
.LBB2_108:                              ;   in Loop: Header=BB2_105 Depth=2
	s_sleep 1
	s_trap 2
	ds_load_b64 v[12:13], v0
	s_wait_dscnt 0x0
	s_and_not1_b32 s26, s26, exec_lo
	v_cmp_ge_u64_e32 vcc_lo, v[12:13], v[24:25]
	s_or_not1_b32 s40, vcc_lo, exec_lo
	s_branch .LBB2_104
.LBB2_109:                              ;   in Loop: Header=BB2_49 Depth=1
	s_or_b32 exec_lo, exec_lo, s24
	s_and_saveexec_b32 s24, s25
	s_delay_alu instid0(SALU_CYCLE_1)
	s_xor_b32 s24, exec_lo, s24
	s_cbranch_execz .LBB2_111
; %bb.110:                              ;   in Loop: Header=BB2_49 Depth=1
	ds_store_b32 v0, v97
	s_trap 2
.LBB2_111:                              ;   in Loop: Header=BB2_49 Depth=1
	s_or_b32 exec_lo, exec_lo, s23
	;;#ASMSTART
	s_wakeup
	;;#ASMEND
.LBB2_112:                              ;   in Loop: Header=BB2_49 Depth=1
	s_or_b32 exec_lo, exec_lo, s22
.LBB2_113:                              ;   in Loop: Header=BB2_49 Depth=1
	s_and_not1_saveexec_b32 s21, s21
	s_cbranch_execz .LBB2_115
; %bb.114:                              ;   in Loop: Header=BB2_49 Depth=1
	global_wb scope:SCOPE_DEV
	s_wait_storecnt 0x0
	s_wait_loadcnt_dscnt 0x0
	global_inv scope:SCOPE_DEV
	s_barrier_signal -1
	s_barrier_wait -1
.LBB2_115:                              ;   in Loop: Header=BB2_49 Depth=1
	s_or_b32 exec_lo, exec_lo, s21
.LBB2_116:                              ;   in Loop: Header=BB2_49 Depth=1
	s_delay_alu instid0(SALU_CYCLE_1)
	s_or_b32 exec_lo, exec_lo, s7
	s_trap 2
	ds_load_b64 v[68:69], v0
	s_wait_dscnt 0x0
	v_cmp_eq_u64_e32 vcc_lo, 0, v[68:69]
	s_cbranch_vccnz .LBB2_124
; %bb.117:                              ;   in Loop: Header=BB2_49 Depth=1
	s_trap 2
	ds_load_b64 v[70:71], v0
	s_wait_dscnt 0x0
	v_cmp_eq_u64_e32 vcc_lo, 0, v[70:71]
	s_cbranch_vccnz .LBB2_124
; %bb.118:                              ;   in Loop: Header=BB2_49 Depth=1
	s_mov_b32 s7, -1
	s_and_saveexec_b32 s21, s5
	s_cbranch_execz .LBB2_120
; %bb.119:                              ;   in Loop: Header=BB2_49 Depth=1
	ds_load_b32 v11, v0 offset:720
	s_wait_dscnt 0x0
	v_and_b32_e32 v11, 15, v11
	s_delay_alu instid0(VALU_DEP_1)
	v_cmp_eq_u32_e32 vcc_lo, 0, v11
	s_or_not1_b32 s7, vcc_lo, exec_lo
.LBB2_120:                              ;   in Loop: Header=BB2_49 Depth=1
	s_or_b32 exec_lo, exec_lo, s21
	s_and_saveexec_b32 s21, s6
	s_cbranch_execz .LBB2_122
; %bb.121:                              ;   in Loop: Header=BB2_49 Depth=1
	ds_load_b32 v11, v0 offset:784
	s_wait_dscnt 0x0
	v_and_b32_e32 v11, 15, v11
	s_delay_alu instid0(VALU_DEP_1) | instskip(SKIP_3) | instid1(SALU_CYCLE_1)
	v_cmp_eq_u32_e32 vcc_lo, 0, v11
	s_and_b32 s22, s7, vcc_lo
	s_and_not1_b32 s7, s7, exec_lo
	s_and_b32 s22, s22, exec_lo
	s_or_b32 s7, s7, s22
.LBB2_122:                              ;   in Loop: Header=BB2_49 Depth=1
	s_or_b32 exec_lo, exec_lo, s21
	v_cmp_eq_u32_e32 vcc_lo, 0, v10
	s_xor_b32 s7, s7, -1
	s_mov_b32 s22, -1
	v_cndmask_b32_e64 v11, 0, 1, s7
	v_dual_mov_b32 v82, 0 :: v_dual_cndmask_b32 v34, 0, v67, vcc_lo
	s_delay_alu instid0(VALU_DEP_2) | instskip(NEXT) | instid1(VALU_DEP_2)
	v_cmp_ne_u32_e32 vcc_lo, 0, v11
	v_lshlrev_b32_e32 v99, 1, v34
	s_cbranch_vccz .LBB2_125
; %bb.123:                              ;   in Loop: Header=BB2_49 Depth=1
	v_mov_b32_e32 v83, v0
	s_and_saveexec_b32 s7, s22
	s_cbranch_execnz .LBB2_264
	s_branch .LBB2_312
.LBB2_124:                              ;   in Loop: Header=BB2_49 Depth=1
	s_mov_b32 s7, 0
	s_and_saveexec_b32 s21, s2
	s_cbranch_execnz .LBB2_313
	s_branch .LBB2_331
.LBB2_125:                              ;   in Loop: Header=BB2_49 Depth=1
	v_lshrrev_b32_e32 v10, 8, v34
	s_delay_alu instid0(VALU_DEP_2) | instskip(SKIP_1) | instid1(VALU_DEP_2)
	v_sub_nc_u32_e32 v101, v99, v38
	s_mov_b32 s21, exec_lo
	v_lshlrev_b32_e32 v100, 9, v10
	s_delay_alu instid0(VALU_DEP_1) | instskip(SKIP_1) | instid1(VALU_DEP_2)
	v_sub_nc_u32_e32 v102, v99, v100
	v_sub_nc_u32_e32 v10, v10, v96
	v_cmp_lt_i32_e32 vcc_lo, 15, v102
	s_delay_alu instid0(VALU_DEP_2)
	v_add_co_ci_u32_e64 v103, null, 0, v10, vcc_lo
	v_cmpx_lt_i32_e32 15, v101
	s_cbranch_execz .LBB2_193
; %bb.126:                              ;   in Loop: Header=BB2_49 Depth=1
	s_trap 2
	ds_load_b64 v[10:11], v0
	ds_load_b32 v12, v0
	v_add_nc_u64_e32 v[80:81], v[68:69], v[38:39]
	v_add_nc_u64_e32 v[84:85], v[70:71], v[38:39]
	s_mov_b32 s22, 0
	s_wait_dscnt 0x1
	v_add_nc_u64_e32 v[82:83], v[10:11], v[38:39]
	s_wait_dscnt 0x0
	v_lshlrev_b32_e32 v112, 16, v12
	s_branch .LBB2_128
.LBB2_127:                              ;   in Loop: Header=BB2_128 Depth=2
	s_or_b32 exec_lo, exec_lo, s23
	v_dual_lshrrev_b32 v113, 16, v119 :: v_dual_lshrrev_b32 v114, 16, v114
	v_dual_lshrrev_b32 v116, 16, v117 :: v_dual_lshrrev_b32 v115, 16, v115
	v_sub_nc_u32_e32 v101, v101, v48
	s_delay_alu instid0(VALU_DEP_3) | instskip(NEXT) | instid1(VALU_DEP_4)
	v_and_or_b32 v11, 0xffff0000, v11, v113
	v_and_or_b32 v10, 0xffff0000, v10, v114
	s_delay_alu instid0(VALU_DEP_4)
	v_and_or_b32 v12, 0xffff0000, v12, v116
	v_and_or_b32 v13, 0xffff0000, v13, v115
	v_add_nc_u64_e32 v[80:81], v[80:81], v[48:49]
	v_add_nc_u64_e32 v[82:83], v[82:83], v[48:49]
	v_cmp_gt_i32_e64 s7, 16, v101
	v_sub_nc_u32_e32 v103, v103, v36
	global_store_b128 v[84:85], v[10:13], off th:TH_STORE_NT
	s_wait_xcnt 0x0
	v_add_nc_u64_e32 v[84:85], v[84:85], v[48:49]
	s_or_b32 s22, s7, s22
	s_delay_alu instid0(SALU_CYCLE_1)
	s_and_not1_b32 exec_lo, exec_lo, s22
	s_cbranch_execz .LBB2_192
.LBB2_128:                              ;   Parent Loop BB2_49 Depth=1
                                        ; =>  This Inner Loop Header: Depth=2
	global_load_b128 v[10:13], v[80:81], off th:TH_LOAD_NT
	s_wait_loadcnt 0x0
	v_lshlrev_b32_e32 v113, 16, v10
	s_delay_alu instid0(VALU_DEP_1) | instskip(NEXT) | instid1(VALU_DEP_1)
	v_mul_f32_e32 v113, v112, v113
	v_and_b32_e32 v114, 0x7f800000, v113
	s_delay_alu instid0(VALU_DEP_1) | instskip(SKIP_2) | instid1(SALU_CYCLE_1)
	v_cmp_ne_u32_e64 s7, 0x7f800000, v114
                                        ; implicit-def: $vgpr114
	s_wait_xcnt 0x0
	s_and_saveexec_b32 s23, s7
	s_xor_b32 s7, exec_lo, s23
; %bb.129:                              ;   in Loop: Header=BB2_128 Depth=2
	v_bfe_u32 v114, v113, 16, 1
	s_delay_alu instid0(VALU_DEP_1)
	v_add3_u32 v114, v113, v114, 0x7fff
                                        ; implicit-def: $vgpr113
; %bb.130:                              ;   in Loop: Header=BB2_128 Depth=2
	s_and_not1_saveexec_b32 s23, s7
; %bb.131:                              ;   in Loop: Header=BB2_128 Depth=2
	v_and_b32_e32 v114, 0xffff, v113
	v_or_b32_e32 v115, 0x10000, v113
	s_delay_alu instid0(VALU_DEP_2) | instskip(NEXT) | instid1(VALU_DEP_1)
	v_cmp_eq_u32_e64 s7, 0, v114
	v_cndmask_b32_e64 v114, v115, v113, s7
; %bb.132:                              ;   in Loop: Header=BB2_128 Depth=2
	s_or_b32 exec_lo, exec_lo, s23
	v_and_b32_e32 v10, 0xffff0000, v10
                                        ; implicit-def: $vgpr40
	s_delay_alu instid0(VALU_DEP_1) | instskip(NEXT) | instid1(VALU_DEP_1)
	v_mul_f32_e32 v10, v112, v10
	v_and_b32_e32 v113, 0x7f800000, v10
	s_delay_alu instid0(VALU_DEP_1) | instskip(SKIP_1) | instid1(SALU_CYCLE_1)
	v_cmp_ne_u32_e64 s7, 0x7f800000, v113
	s_and_saveexec_b32 s23, s7
	s_xor_b32 s7, exec_lo, s23
; %bb.133:                              ;   in Loop: Header=BB2_128 Depth=2
	v_bfe_u32 v113, v10, 16, 1
	s_delay_alu instid0(VALU_DEP_1)
	v_add3_u32 v40, v10, v113, 0x7fff
                                        ; implicit-def: $vgpr10
; %bb.134:                              ;   in Loop: Header=BB2_128 Depth=2
	s_and_not1_saveexec_b32 s23, s7
; %bb.135:                              ;   in Loop: Header=BB2_128 Depth=2
	v_and_b32_e32 v113, 0xffff, v10
	v_or_b32_e32 v115, 0x10000, v10
	s_delay_alu instid0(VALU_DEP_2) | instskip(NEXT) | instid1(VALU_DEP_1)
	v_cmp_eq_u32_e64 s7, 0, v113
	v_cndmask_b32_e64 v40, v115, v10, s7
; %bb.136:                              ;   in Loop: Header=BB2_128 Depth=2
	s_or_b32 exec_lo, exec_lo, s23
	v_lshlrev_b32_e32 v10, 16, v11
                                        ; implicit-def: $vgpr119
	s_delay_alu instid0(VALU_DEP_1) | instskip(NEXT) | instid1(VALU_DEP_1)
	v_mul_f32_e32 v10, v112, v10
	v_and_b32_e32 v113, 0x7f800000, v10
	s_delay_alu instid0(VALU_DEP_1) | instskip(SKIP_1) | instid1(SALU_CYCLE_1)
	v_cmp_ne_u32_e64 s7, 0x7f800000, v113
	s_and_saveexec_b32 s23, s7
	s_xor_b32 s7, exec_lo, s23
; %bb.137:                              ;   in Loop: Header=BB2_128 Depth=2
	v_bfe_u32 v113, v10, 16, 1
	s_delay_alu instid0(VALU_DEP_1)
	v_add3_u32 v119, v10, v113, 0x7fff
                                        ; implicit-def: $vgpr10
; %bb.138:                              ;   in Loop: Header=BB2_128 Depth=2
	s_and_not1_saveexec_b32 s23, s7
; %bb.139:                              ;   in Loop: Header=BB2_128 Depth=2
	v_and_b32_e32 v113, 0xffff, v10
	v_or_b32_e32 v115, 0x10000, v10
	s_delay_alu instid0(VALU_DEP_2) | instskip(NEXT) | instid1(VALU_DEP_1)
	v_cmp_eq_u32_e64 s7, 0, v113
	v_cndmask_b32_e64 v119, v115, v10, s7
; %bb.140:                              ;   in Loop: Header=BB2_128 Depth=2
	s_or_b32 exec_lo, exec_lo, s23
	v_and_b32_e32 v10, 0xffff0000, v11
                                        ; implicit-def: $vgpr118
	s_delay_alu instid0(VALU_DEP_1) | instskip(NEXT) | instid1(VALU_DEP_1)
	v_mul_f32_e32 v10, v112, v10
	v_and_b32_e32 v11, 0x7f800000, v10
	s_delay_alu instid0(VALU_DEP_1) | instskip(SKIP_1) | instid1(SALU_CYCLE_1)
	v_cmp_ne_u32_e64 s7, 0x7f800000, v11
	s_and_saveexec_b32 s23, s7
	s_xor_b32 s7, exec_lo, s23
; %bb.141:                              ;   in Loop: Header=BB2_128 Depth=2
	v_bfe_u32 v11, v10, 16, 1
	s_delay_alu instid0(VALU_DEP_1)
	v_add3_u32 v118, v10, v11, 0x7fff
                                        ; implicit-def: $vgpr10
; %bb.142:                              ;   in Loop: Header=BB2_128 Depth=2
	s_and_not1_saveexec_b32 s23, s7
; %bb.143:                              ;   in Loop: Header=BB2_128 Depth=2
	v_and_b32_e32 v11, 0xffff, v10
	v_or_b32_e32 v113, 0x10000, v10
	s_delay_alu instid0(VALU_DEP_2) | instskip(NEXT) | instid1(VALU_DEP_1)
	v_cmp_eq_u32_e64 s7, 0, v11
	v_cndmask_b32_e64 v118, v113, v10, s7
; %bb.144:                              ;   in Loop: Header=BB2_128 Depth=2
	s_or_b32 exec_lo, exec_lo, s23
	v_lshlrev_b32_e32 v10, 16, v12
                                        ; implicit-def: $vgpr117
	s_delay_alu instid0(VALU_DEP_1) | instskip(NEXT) | instid1(VALU_DEP_1)
	v_mul_f32_e32 v10, v112, v10
	v_and_b32_e32 v11, 0x7f800000, v10
	s_delay_alu instid0(VALU_DEP_1) | instskip(SKIP_1) | instid1(SALU_CYCLE_1)
	v_cmp_ne_u32_e64 s7, 0x7f800000, v11
	s_and_saveexec_b32 s23, s7
	s_xor_b32 s7, exec_lo, s23
; %bb.145:                              ;   in Loop: Header=BB2_128 Depth=2
	v_bfe_u32 v11, v10, 16, 1
	s_delay_alu instid0(VALU_DEP_1)
	v_add3_u32 v117, v10, v11, 0x7fff
                                        ; implicit-def: $vgpr10
; %bb.146:                              ;   in Loop: Header=BB2_128 Depth=2
	s_and_not1_saveexec_b32 s23, s7
; %bb.147:                              ;   in Loop: Header=BB2_128 Depth=2
	v_and_b32_e32 v11, 0xffff, v10
	v_or_b32_e32 v113, 0x10000, v10
	s_delay_alu instid0(VALU_DEP_2) | instskip(NEXT) | instid1(VALU_DEP_1)
	v_cmp_eq_u32_e64 s7, 0, v11
	v_cndmask_b32_e64 v117, v113, v10, s7
; %bb.148:                              ;   in Loop: Header=BB2_128 Depth=2
	s_or_b32 exec_lo, exec_lo, s23
	v_and_b32_e32 v10, 0xffff0000, v12
                                        ; implicit-def: $vgpr116
	s_delay_alu instid0(VALU_DEP_1) | instskip(NEXT) | instid1(VALU_DEP_1)
	v_mul_f32_e32 v10, v112, v10
	v_and_b32_e32 v11, 0x7f800000, v10
	s_delay_alu instid0(VALU_DEP_1) | instskip(SKIP_1) | instid1(SALU_CYCLE_1)
	v_cmp_ne_u32_e64 s7, 0x7f800000, v11
	s_and_saveexec_b32 s23, s7
	s_xor_b32 s7, exec_lo, s23
; %bb.149:                              ;   in Loop: Header=BB2_128 Depth=2
	v_bfe_u32 v11, v10, 16, 1
	s_delay_alu instid0(VALU_DEP_1)
	v_add3_u32 v116, v10, v11, 0x7fff
                                        ; implicit-def: $vgpr10
; %bb.150:                              ;   in Loop: Header=BB2_128 Depth=2
	s_and_not1_saveexec_b32 s23, s7
; %bb.151:                              ;   in Loop: Header=BB2_128 Depth=2
	v_and_b32_e32 v11, 0xffff, v10
	v_or_b32_e32 v12, 0x10000, v10
	s_delay_alu instid0(VALU_DEP_2) | instskip(NEXT) | instid1(VALU_DEP_1)
	v_cmp_eq_u32_e64 s7, 0, v11
	v_cndmask_b32_e64 v116, v12, v10, s7
; %bb.152:                              ;   in Loop: Header=BB2_128 Depth=2
	s_or_b32 exec_lo, exec_lo, s23
	v_lshlrev_b32_e32 v10, 16, v13
                                        ; implicit-def: $vgpr115
	s_delay_alu instid0(VALU_DEP_1) | instskip(NEXT) | instid1(VALU_DEP_1)
	v_mul_f32_e32 v10, v112, v10
	v_and_b32_e32 v11, 0x7f800000, v10
	s_delay_alu instid0(VALU_DEP_1) | instskip(SKIP_1) | instid1(SALU_CYCLE_1)
	v_cmp_ne_u32_e64 s7, 0x7f800000, v11
	s_and_saveexec_b32 s23, s7
	s_xor_b32 s7, exec_lo, s23
; %bb.153:                              ;   in Loop: Header=BB2_128 Depth=2
	v_bfe_u32 v11, v10, 16, 1
	s_delay_alu instid0(VALU_DEP_1)
	v_add3_u32 v115, v10, v11, 0x7fff
                                        ; implicit-def: $vgpr10
; %bb.154:                              ;   in Loop: Header=BB2_128 Depth=2
	s_and_not1_saveexec_b32 s23, s7
; %bb.155:                              ;   in Loop: Header=BB2_128 Depth=2
	v_and_b32_e32 v11, 0xffff, v10
	v_or_b32_e32 v12, 0x10000, v10
	s_delay_alu instid0(VALU_DEP_2) | instskip(NEXT) | instid1(VALU_DEP_1)
	v_cmp_eq_u32_e64 s7, 0, v11
	v_cndmask_b32_e64 v115, v12, v10, s7
; %bb.156:                              ;   in Loop: Header=BB2_128 Depth=2
	s_or_b32 exec_lo, exec_lo, s23
	v_and_b32_e32 v10, 0xffff0000, v13
                                        ; implicit-def: $vgpr113
	s_delay_alu instid0(VALU_DEP_1) | instskip(NEXT) | instid1(VALU_DEP_1)
	v_mul_f32_e32 v10, v112, v10
	v_and_b32_e32 v11, 0x7f800000, v10
	s_delay_alu instid0(VALU_DEP_1) | instskip(SKIP_1) | instid1(SALU_CYCLE_1)
	v_cmp_ne_u32_e64 s7, 0x7f800000, v11
	s_and_saveexec_b32 s23, s7
	s_xor_b32 s7, exec_lo, s23
; %bb.157:                              ;   in Loop: Header=BB2_128 Depth=2
	v_bfe_u32 v11, v10, 16, 1
	s_delay_alu instid0(VALU_DEP_1)
	v_add3_u32 v113, v10, v11, 0x7fff
                                        ; implicit-def: $vgpr10
; %bb.158:                              ;   in Loop: Header=BB2_128 Depth=2
	s_and_not1_saveexec_b32 s23, s7
; %bb.159:                              ;   in Loop: Header=BB2_128 Depth=2
	v_and_b32_e32 v11, 0xffff, v10
	v_or_b32_e32 v12, 0x10000, v10
	s_delay_alu instid0(VALU_DEP_2) | instskip(NEXT) | instid1(VALU_DEP_1)
	v_cmp_eq_u32_e64 s7, 0, v11
	v_cndmask_b32_e64 v113, v12, v10, s7
; %bb.160:                              ;   in Loop: Header=BB2_128 Depth=2
	s_or_b32 exec_lo, exec_lo, s23
	global_load_b128 v[10:13], v[82:83], off th:TH_LOAD_NT
	v_and_b32_e32 v114, 0xffff0000, v114
	s_wait_loadcnt 0x0
	v_lshlrev_b32_e32 v41, 16, v10
	s_delay_alu instid0(VALU_DEP_1) | instskip(NEXT) | instid1(VALU_DEP_1)
	v_add_f32_e32 v41, v114, v41
	v_and_b32_e32 v114, 0x7f800000, v41
	s_delay_alu instid0(VALU_DEP_1) | instskip(SKIP_2) | instid1(SALU_CYCLE_1)
	v_cmp_ne_u32_e64 s7, 0x7f800000, v114
                                        ; implicit-def: $vgpr114
	s_wait_xcnt 0x0
	s_and_saveexec_b32 s23, s7
	s_xor_b32 s7, exec_lo, s23
; %bb.161:                              ;   in Loop: Header=BB2_128 Depth=2
	v_bfe_u32 v114, v41, 16, 1
	s_delay_alu instid0(VALU_DEP_1)
	v_add3_u32 v114, v41, v114, 0x7fff
                                        ; implicit-def: $vgpr41
; %bb.162:                              ;   in Loop: Header=BB2_128 Depth=2
	s_and_not1_saveexec_b32 s23, s7
; %bb.163:                              ;   in Loop: Header=BB2_128 Depth=2
	v_and_b32_e32 v114, 0xffff, v41
	v_or_b32_e32 v42, 0x10000, v41
	s_delay_alu instid0(VALU_DEP_2) | instskip(NEXT) | instid1(VALU_DEP_1)
	v_cmp_eq_u32_e64 s7, 0, v114
	v_cndmask_b32_e64 v114, v42, v41, s7
; %bb.164:                              ;   in Loop: Header=BB2_128 Depth=2
	s_or_b32 exec_lo, exec_lo, s23
	v_and_b32_e32 v40, 0xffff0000, v40
	v_and_b32_e32 v10, 0xffff0000, v10
	s_delay_alu instid0(VALU_DEP_1) | instskip(NEXT) | instid1(VALU_DEP_1)
	v_add_f32_e32 v40, v40, v10
	v_and_b32_e32 v10, 0x7f800000, v40
	s_delay_alu instid0(VALU_DEP_1) | instskip(SKIP_1) | instid1(SALU_CYCLE_1)
	v_cmp_ne_u32_e64 s7, 0x7f800000, v10
                                        ; implicit-def: $vgpr10
	s_and_saveexec_b32 s23, s7
	s_xor_b32 s7, exec_lo, s23
; %bb.165:                              ;   in Loop: Header=BB2_128 Depth=2
	v_bfe_u32 v10, v40, 16, 1
	s_delay_alu instid0(VALU_DEP_1)
	v_add3_u32 v10, v40, v10, 0x7fff
                                        ; implicit-def: $vgpr40
; %bb.166:                              ;   in Loop: Header=BB2_128 Depth=2
	s_and_not1_saveexec_b32 s23, s7
; %bb.167:                              ;   in Loop: Header=BB2_128 Depth=2
	v_and_b32_e32 v10, 0xffff, v40
	v_or_b32_e32 v41, 0x10000, v40
	s_delay_alu instid0(VALU_DEP_2) | instskip(NEXT) | instid1(VALU_DEP_1)
	v_cmp_eq_u32_e64 s7, 0, v10
	v_cndmask_b32_e64 v10, v41, v40, s7
; %bb.168:                              ;   in Loop: Header=BB2_128 Depth=2
	s_or_b32 exec_lo, exec_lo, s23
	v_and_b32_e32 v119, 0xffff0000, v119
	v_lshlrev_b32_e32 v40, 16, v11
	s_delay_alu instid0(VALU_DEP_1) | instskip(NEXT) | instid1(VALU_DEP_1)
	v_add_f32_e32 v40, v119, v40
	v_and_b32_e32 v119, 0x7f800000, v40
	s_delay_alu instid0(VALU_DEP_1) | instskip(SKIP_1) | instid1(SALU_CYCLE_1)
	v_cmp_ne_u32_e64 s7, 0x7f800000, v119
                                        ; implicit-def: $vgpr119
	s_and_saveexec_b32 s23, s7
	s_xor_b32 s7, exec_lo, s23
; %bb.169:                              ;   in Loop: Header=BB2_128 Depth=2
	v_bfe_u32 v119, v40, 16, 1
	s_delay_alu instid0(VALU_DEP_1)
	v_add3_u32 v119, v40, v119, 0x7fff
                                        ; implicit-def: $vgpr40
; %bb.170:                              ;   in Loop: Header=BB2_128 Depth=2
	s_and_not1_saveexec_b32 s23, s7
; %bb.171:                              ;   in Loop: Header=BB2_128 Depth=2
	v_and_b32_e32 v119, 0xffff, v40
	v_or_b32_e32 v41, 0x10000, v40
	s_delay_alu instid0(VALU_DEP_2) | instskip(NEXT) | instid1(VALU_DEP_1)
	v_cmp_eq_u32_e64 s7, 0, v119
	v_cndmask_b32_e64 v119, v41, v40, s7
; %bb.172:                              ;   in Loop: Header=BB2_128 Depth=2
	s_or_b32 exec_lo, exec_lo, s23
	v_and_b32_e32 v118, 0xffff0000, v118
	v_and_b32_e32 v11, 0xffff0000, v11
	s_delay_alu instid0(VALU_DEP_1) | instskip(NEXT) | instid1(VALU_DEP_1)
	v_add_f32_e32 v118, v118, v11
	v_and_b32_e32 v11, 0x7f800000, v118
	s_delay_alu instid0(VALU_DEP_1) | instskip(SKIP_1) | instid1(SALU_CYCLE_1)
	v_cmp_ne_u32_e64 s7, 0x7f800000, v11
                                        ; implicit-def: $vgpr11
	s_and_saveexec_b32 s23, s7
	s_xor_b32 s7, exec_lo, s23
; %bb.173:                              ;   in Loop: Header=BB2_128 Depth=2
	v_bfe_u32 v11, v118, 16, 1
	s_delay_alu instid0(VALU_DEP_1)
	v_add3_u32 v11, v118, v11, 0x7fff
                                        ; implicit-def: $vgpr118
; %bb.174:                              ;   in Loop: Header=BB2_128 Depth=2
	s_and_not1_saveexec_b32 s23, s7
; %bb.175:                              ;   in Loop: Header=BB2_128 Depth=2
	v_and_b32_e32 v11, 0xffff, v118
	v_or_b32_e32 v40, 0x10000, v118
	s_delay_alu instid0(VALU_DEP_2) | instskip(NEXT) | instid1(VALU_DEP_1)
	v_cmp_eq_u32_e64 s7, 0, v11
	v_cndmask_b32_e64 v11, v40, v118, s7
; %bb.176:                              ;   in Loop: Header=BB2_128 Depth=2
	s_or_b32 exec_lo, exec_lo, s23
	v_and_b32_e32 v117, 0xffff0000, v117
	v_lshlrev_b32_e32 v118, 16, v12
	s_delay_alu instid0(VALU_DEP_1) | instskip(NEXT) | instid1(VALU_DEP_1)
	v_add_f32_e32 v118, v117, v118
	v_and_b32_e32 v117, 0x7f800000, v118
	s_delay_alu instid0(VALU_DEP_1) | instskip(SKIP_1) | instid1(SALU_CYCLE_1)
	v_cmp_ne_u32_e64 s7, 0x7f800000, v117
                                        ; implicit-def: $vgpr117
	s_and_saveexec_b32 s23, s7
	s_xor_b32 s7, exec_lo, s23
; %bb.177:                              ;   in Loop: Header=BB2_128 Depth=2
	v_bfe_u32 v117, v118, 16, 1
	s_delay_alu instid0(VALU_DEP_1)
	v_add3_u32 v117, v118, v117, 0x7fff
                                        ; implicit-def: $vgpr118
; %bb.178:                              ;   in Loop: Header=BB2_128 Depth=2
	s_and_not1_saveexec_b32 s23, s7
; %bb.179:                              ;   in Loop: Header=BB2_128 Depth=2
	v_and_b32_e32 v117, 0xffff, v118
	v_or_b32_e32 v40, 0x10000, v118
	s_delay_alu instid0(VALU_DEP_2) | instskip(NEXT) | instid1(VALU_DEP_1)
	v_cmp_eq_u32_e64 s7, 0, v117
	v_cndmask_b32_e64 v117, v40, v118, s7
; %bb.180:                              ;   in Loop: Header=BB2_128 Depth=2
	s_or_b32 exec_lo, exec_lo, s23
	v_and_b32_e32 v116, 0xffff0000, v116
	v_and_b32_e32 v12, 0xffff0000, v12
	s_delay_alu instid0(VALU_DEP_1) | instskip(NEXT) | instid1(VALU_DEP_1)
	v_add_f32_e32 v116, v116, v12
	v_and_b32_e32 v12, 0x7f800000, v116
	s_delay_alu instid0(VALU_DEP_1) | instskip(SKIP_1) | instid1(SALU_CYCLE_1)
	v_cmp_ne_u32_e64 s7, 0x7f800000, v12
                                        ; implicit-def: $vgpr12
	s_and_saveexec_b32 s23, s7
	s_xor_b32 s7, exec_lo, s23
; %bb.181:                              ;   in Loop: Header=BB2_128 Depth=2
	v_bfe_u32 v12, v116, 16, 1
	s_delay_alu instid0(VALU_DEP_1)
	v_add3_u32 v12, v116, v12, 0x7fff
                                        ; implicit-def: $vgpr116
; %bb.182:                              ;   in Loop: Header=BB2_128 Depth=2
	s_and_not1_saveexec_b32 s23, s7
; %bb.183:                              ;   in Loop: Header=BB2_128 Depth=2
	v_and_b32_e32 v12, 0xffff, v116
	v_or_b32_e32 v118, 0x10000, v116
	s_delay_alu instid0(VALU_DEP_2) | instskip(NEXT) | instid1(VALU_DEP_1)
	v_cmp_eq_u32_e64 s7, 0, v12
	v_cndmask_b32_e64 v12, v118, v116, s7
; %bb.184:                              ;   in Loop: Header=BB2_128 Depth=2
	s_or_b32 exec_lo, exec_lo, s23
	v_and_b32_e32 v115, 0xffff0000, v115
	v_lshlrev_b32_e32 v116, 16, v13
	s_delay_alu instid0(VALU_DEP_1) | instskip(NEXT) | instid1(VALU_DEP_1)
	v_add_f32_e32 v116, v115, v116
	v_and_b32_e32 v115, 0x7f800000, v116
	s_delay_alu instid0(VALU_DEP_1) | instskip(SKIP_1) | instid1(SALU_CYCLE_1)
	v_cmp_ne_u32_e64 s7, 0x7f800000, v115
                                        ; implicit-def: $vgpr115
	s_and_saveexec_b32 s23, s7
	s_xor_b32 s7, exec_lo, s23
; %bb.185:                              ;   in Loop: Header=BB2_128 Depth=2
	v_bfe_u32 v115, v116, 16, 1
	s_delay_alu instid0(VALU_DEP_1)
	v_add3_u32 v115, v116, v115, 0x7fff
                                        ; implicit-def: $vgpr116
; %bb.186:                              ;   in Loop: Header=BB2_128 Depth=2
	s_and_not1_saveexec_b32 s23, s7
; %bb.187:                              ;   in Loop: Header=BB2_128 Depth=2
	v_and_b32_e32 v115, 0xffff, v116
	v_or_b32_e32 v118, 0x10000, v116
	s_delay_alu instid0(VALU_DEP_2) | instskip(NEXT) | instid1(VALU_DEP_1)
	v_cmp_eq_u32_e64 s7, 0, v115
	v_cndmask_b32_e64 v115, v118, v116, s7
; %bb.188:                              ;   in Loop: Header=BB2_128 Depth=2
	s_or_b32 exec_lo, exec_lo, s23
	v_and_b32_e32 v113, 0xffff0000, v113
	v_and_b32_e32 v13, 0xffff0000, v13
	s_delay_alu instid0(VALU_DEP_1) | instskip(NEXT) | instid1(VALU_DEP_1)
	v_add_f32_e32 v113, v113, v13
	v_and_b32_e32 v13, 0x7f800000, v113
	s_delay_alu instid0(VALU_DEP_1) | instskip(SKIP_1) | instid1(SALU_CYCLE_1)
	v_cmp_ne_u32_e64 s7, 0x7f800000, v13
                                        ; implicit-def: $vgpr13
	s_and_saveexec_b32 s23, s7
	s_xor_b32 s7, exec_lo, s23
; %bb.189:                              ;   in Loop: Header=BB2_128 Depth=2
	v_bfe_u32 v13, v113, 16, 1
	s_delay_alu instid0(VALU_DEP_1)
	v_add3_u32 v13, v113, v13, 0x7fff
                                        ; implicit-def: $vgpr113
; %bb.190:                              ;   in Loop: Header=BB2_128 Depth=2
	s_and_not1_saveexec_b32 s23, s7
	s_cbranch_execz .LBB2_127
; %bb.191:                              ;   in Loop: Header=BB2_128 Depth=2
	v_and_b32_e32 v13, 0xffff, v113
	v_or_b32_e32 v116, 0x10000, v113
	s_delay_alu instid0(VALU_DEP_2) | instskip(NEXT) | instid1(VALU_DEP_1)
	v_cmp_eq_u32_e64 s7, 0, v13
	v_cndmask_b32_e64 v13, v116, v113, s7
	s_branch .LBB2_127
.LBB2_192:                              ;   in Loop: Header=BB2_49 Depth=1
	s_or_b32 exec_lo, exec_lo, s22
.LBB2_193:                              ;   in Loop: Header=BB2_49 Depth=1
	s_delay_alu instid0(SALU_CYCLE_1) | instskip(SKIP_3) | instid1(VALU_DEP_1)
	s_or_b32 exec_lo, exec_lo, s21
	v_dual_mov_b32 v82, 0 :: v_dual_bitop2_b32 v10, 14, v99 bitop3:0x40
	s_mov_b32 s22, 0
	s_mov_b32 s21, exec_lo
                                        ; implicit-def: $vgpr99
                                        ; implicit-def: $vgpr83
	v_cndmask_b32_e32 v101, v102, v10, vcc_lo
	s_delay_alu instid0(VALU_DEP_1)
	v_cmpx_ne_u32_e32 0, v101
	s_cbranch_execz .LBB2_263
; %bb.194:                              ;   in Loop: Header=BB2_49 Depth=1
	v_cmp_lt_i32_e64 s7, 0, v103
	s_mov_b32 s22, exec_lo
	v_dual_ashrrev_i32 v13, 31, v101 :: v_dual_cndmask_b32 v11, 0, v36, s7
	s_delay_alu instid0(VALU_DEP_1) | instskip(NEXT) | instid1(VALU_DEP_1)
	v_dual_lshrrev_b32 v13, 23, v13 :: v_dual_sub_nc_u32 v11, v11, v103
	v_add_nc_u32_e32 v13, v101, v13
	s_delay_alu instid0(VALU_DEP_2) | instskip(NEXT) | instid1(VALU_DEP_2)
	v_lshl_or_b32 v11, v11, 5, v87
	v_and_b32_e32 v112, 0xfffffe00, v13
	s_delay_alu instid0(VALU_DEP_2) | instskip(NEXT) | instid1(VALU_DEP_2)
	v_dual_ashrrev_i32 v13, 9, v13 :: v_dual_ashrrev_i32 v12, 31, v11
	v_sub_nc_u32_e32 v99, v101, v112
	s_delay_alu instid0(VALU_DEP_2) | instskip(NEXT) | instid1(VALU_DEP_1)
	v_lshrrev_b32_e32 v12, 27, v12
	v_add_nc_u32_e32 v12, v11, v12
	s_delay_alu instid0(VALU_DEP_1) | instskip(NEXT) | instid1(VALU_DEP_1)
	v_and_b32_e32 v80, 0xffffffe0, v12
	v_dual_sub_nc_u32 v103, v11, v80 :: v_dual_sub_nc_u32 v80, v102, v10
	s_delay_alu instid0(VALU_DEP_1) | instskip(NEXT) | instid1(VALU_DEP_1)
	v_dual_ashrrev_i32 v11, 5, v12 :: v_dual_lshlrev_b32 v12, 4, v103
	v_lshl_add_u32 v10, v11, 9, v12
	s_delay_alu instid0(VALU_DEP_3) | instskip(SKIP_1) | instid1(VALU_DEP_3)
	v_cndmask_b32_e32 v12, 0, v80, vcc_lo
	v_cmp_lt_i32_e32 vcc_lo, 15, v99
	v_sub_nc_u32_e32 v113, v101, v10
	v_add_co_ci_u32_e64 v13, null, 0, v13, vcc_lo
	s_delay_alu instid0(VALU_DEP_1) | instskip(NEXT) | instid1(VALU_DEP_3)
	v_dual_add_nc_u32 v100, v12, v100 :: v_dual_sub_nc_u32 v102, v13, v11
	v_cmpx_lt_i32_e32 15, v113
	s_cbranch_execz .LBB2_262
; %bb.195:                              ;   in Loop: Header=BB2_49 Depth=1
	s_trap 2
	ds_load_b64 v[12:13], v0
	ds_load_b32 v114, v0
	v_add_nc_u32_e32 v10, v10, v100
	s_mov_b32 s23, 0
	s_wait_dscnt 0x0
	v_lshlrev_b32_e32 v114, 16, v114
	s_delay_alu instid0(VALU_DEP_2) | instskip(NEXT) | instid1(VALU_DEP_1)
	v_ashrrev_i32_e32 v11, 31, v10
	v_add_nc_u64_e32 v[80:81], v[10:11], v[68:69]
	v_add_nc_u64_e32 v[82:83], v[12:13], v[10:11]
	;; [unrolled: 1-line block ×3, first 2 shown]
	s_branch .LBB2_197
.LBB2_196:                              ;   in Loop: Header=BB2_197 Depth=2
	s_or_b32 exec_lo, exec_lo, s24
	v_dual_lshrrev_b32 v115, 16, v41 :: v_dual_lshrrev_b32 v116, 16, v116
	v_dual_lshrrev_b32 v118, 16, v119 :: v_dual_lshrrev_b32 v117, 16, v117
	v_sub_nc_u32_e32 v113, v113, v48
	s_delay_alu instid0(VALU_DEP_3) | instskip(NEXT) | instid1(VALU_DEP_4)
	v_and_or_b32 v11, 0xffff0000, v11, v115
	v_and_or_b32 v10, 0xffff0000, v10, v116
	s_delay_alu instid0(VALU_DEP_4)
	v_and_or_b32 v12, 0xffff0000, v12, v118
	v_and_or_b32 v13, 0xffff0000, v13, v117
	v_add_nc_u64_e32 v[80:81], v[80:81], v[48:49]
	v_add_nc_u64_e32 v[82:83], v[82:83], v[48:49]
	v_cmp_gt_i32_e64 s7, 16, v113
	v_sub_nc_u32_e32 v102, v102, v36
	global_store_b128 v[84:85], v[10:13], off th:TH_STORE_NT
	s_wait_xcnt 0x0
	v_add_nc_u64_e32 v[84:85], v[84:85], v[48:49]
	s_or_b32 s23, s7, s23
	s_delay_alu instid0(SALU_CYCLE_1)
	s_and_not1_b32 exec_lo, exec_lo, s23
	s_cbranch_execz .LBB2_261
.LBB2_197:                              ;   Parent Loop BB2_49 Depth=1
                                        ; =>  This Inner Loop Header: Depth=2
	global_load_b128 v[10:13], v[80:81], off th:TH_LOAD_NT
	s_wait_loadcnt 0x0
	v_lshlrev_b32_e32 v115, 16, v10
	s_delay_alu instid0(VALU_DEP_1) | instskip(NEXT) | instid1(VALU_DEP_1)
	v_mul_f32_e32 v115, v114, v115
	v_and_b32_e32 v116, 0x7f800000, v115
	s_delay_alu instid0(VALU_DEP_1) | instskip(SKIP_2) | instid1(SALU_CYCLE_1)
	v_cmp_ne_u32_e64 s7, 0x7f800000, v116
                                        ; implicit-def: $vgpr116
	s_wait_xcnt 0x0
	s_and_saveexec_b32 s24, s7
	s_xor_b32 s7, exec_lo, s24
; %bb.198:                              ;   in Loop: Header=BB2_197 Depth=2
	v_bfe_u32 v116, v115, 16, 1
	s_delay_alu instid0(VALU_DEP_1)
	v_add3_u32 v116, v115, v116, 0x7fff
                                        ; implicit-def: $vgpr115
; %bb.199:                              ;   in Loop: Header=BB2_197 Depth=2
	s_and_not1_saveexec_b32 s24, s7
; %bb.200:                              ;   in Loop: Header=BB2_197 Depth=2
	v_and_b32_e32 v116, 0xffff, v115
	v_or_b32_e32 v117, 0x10000, v115
	s_delay_alu instid0(VALU_DEP_2) | instskip(NEXT) | instid1(VALU_DEP_1)
	v_cmp_eq_u32_e64 s7, 0, v116
	v_cndmask_b32_e64 v116, v117, v115, s7
; %bb.201:                              ;   in Loop: Header=BB2_197 Depth=2
	s_or_b32 exec_lo, exec_lo, s24
	v_and_b32_e32 v10, 0xffff0000, v10
                                        ; implicit-def: $vgpr42
	s_delay_alu instid0(VALU_DEP_1) | instskip(NEXT) | instid1(VALU_DEP_1)
	v_mul_f32_e32 v10, v114, v10
	v_and_b32_e32 v115, 0x7f800000, v10
	s_delay_alu instid0(VALU_DEP_1) | instskip(SKIP_1) | instid1(SALU_CYCLE_1)
	v_cmp_ne_u32_e64 s7, 0x7f800000, v115
	s_and_saveexec_b32 s24, s7
	s_xor_b32 s7, exec_lo, s24
; %bb.202:                              ;   in Loop: Header=BB2_197 Depth=2
	v_bfe_u32 v115, v10, 16, 1
	s_delay_alu instid0(VALU_DEP_1)
	v_add3_u32 v42, v10, v115, 0x7fff
                                        ; implicit-def: $vgpr10
; %bb.203:                              ;   in Loop: Header=BB2_197 Depth=2
	s_and_not1_saveexec_b32 s24, s7
; %bb.204:                              ;   in Loop: Header=BB2_197 Depth=2
	v_and_b32_e32 v115, 0xffff, v10
	v_or_b32_e32 v117, 0x10000, v10
	s_delay_alu instid0(VALU_DEP_2) | instskip(NEXT) | instid1(VALU_DEP_1)
	v_cmp_eq_u32_e64 s7, 0, v115
	v_cndmask_b32_e64 v42, v117, v10, s7
; %bb.205:                              ;   in Loop: Header=BB2_197 Depth=2
	s_or_b32 exec_lo, exec_lo, s24
	v_lshlrev_b32_e32 v10, 16, v11
                                        ; implicit-def: $vgpr41
	s_delay_alu instid0(VALU_DEP_1) | instskip(NEXT) | instid1(VALU_DEP_1)
	v_mul_f32_e32 v10, v114, v10
	v_and_b32_e32 v115, 0x7f800000, v10
	s_delay_alu instid0(VALU_DEP_1) | instskip(SKIP_1) | instid1(SALU_CYCLE_1)
	v_cmp_ne_u32_e64 s7, 0x7f800000, v115
	s_and_saveexec_b32 s24, s7
	s_xor_b32 s7, exec_lo, s24
; %bb.206:                              ;   in Loop: Header=BB2_197 Depth=2
	v_bfe_u32 v115, v10, 16, 1
	s_delay_alu instid0(VALU_DEP_1)
	v_add3_u32 v41, v10, v115, 0x7fff
                                        ; implicit-def: $vgpr10
; %bb.207:                              ;   in Loop: Header=BB2_197 Depth=2
	s_and_not1_saveexec_b32 s24, s7
; %bb.208:                              ;   in Loop: Header=BB2_197 Depth=2
	v_and_b32_e32 v115, 0xffff, v10
	v_or_b32_e32 v117, 0x10000, v10
	s_delay_alu instid0(VALU_DEP_2) | instskip(NEXT) | instid1(VALU_DEP_1)
	v_cmp_eq_u32_e64 s7, 0, v115
	v_cndmask_b32_e64 v41, v117, v10, s7
; %bb.209:                              ;   in Loop: Header=BB2_197 Depth=2
	s_or_b32 exec_lo, exec_lo, s24
	v_and_b32_e32 v10, 0xffff0000, v11
                                        ; implicit-def: $vgpr40
	s_delay_alu instid0(VALU_DEP_1) | instskip(NEXT) | instid1(VALU_DEP_1)
	v_mul_f32_e32 v10, v114, v10
	v_and_b32_e32 v11, 0x7f800000, v10
	s_delay_alu instid0(VALU_DEP_1) | instskip(SKIP_1) | instid1(SALU_CYCLE_1)
	v_cmp_ne_u32_e64 s7, 0x7f800000, v11
	s_and_saveexec_b32 s24, s7
	s_xor_b32 s7, exec_lo, s24
; %bb.210:                              ;   in Loop: Header=BB2_197 Depth=2
	v_bfe_u32 v11, v10, 16, 1
	s_delay_alu instid0(VALU_DEP_1)
	v_add3_u32 v40, v10, v11, 0x7fff
                                        ; implicit-def: $vgpr10
; %bb.211:                              ;   in Loop: Header=BB2_197 Depth=2
	s_and_not1_saveexec_b32 s24, s7
; %bb.212:                              ;   in Loop: Header=BB2_197 Depth=2
	v_and_b32_e32 v11, 0xffff, v10
	v_or_b32_e32 v115, 0x10000, v10
	s_delay_alu instid0(VALU_DEP_2) | instskip(NEXT) | instid1(VALU_DEP_1)
	v_cmp_eq_u32_e64 s7, 0, v11
	v_cndmask_b32_e64 v40, v115, v10, s7
; %bb.213:                              ;   in Loop: Header=BB2_197 Depth=2
	s_or_b32 exec_lo, exec_lo, s24
	v_lshlrev_b32_e32 v10, 16, v12
                                        ; implicit-def: $vgpr119
	s_delay_alu instid0(VALU_DEP_1) | instskip(NEXT) | instid1(VALU_DEP_1)
	v_mul_f32_e32 v10, v114, v10
	v_and_b32_e32 v11, 0x7f800000, v10
	s_delay_alu instid0(VALU_DEP_1) | instskip(SKIP_1) | instid1(SALU_CYCLE_1)
	v_cmp_ne_u32_e64 s7, 0x7f800000, v11
	s_and_saveexec_b32 s24, s7
	s_xor_b32 s7, exec_lo, s24
; %bb.214:                              ;   in Loop: Header=BB2_197 Depth=2
	v_bfe_u32 v11, v10, 16, 1
	s_delay_alu instid0(VALU_DEP_1)
	v_add3_u32 v119, v10, v11, 0x7fff
                                        ; implicit-def: $vgpr10
; %bb.215:                              ;   in Loop: Header=BB2_197 Depth=2
	s_and_not1_saveexec_b32 s24, s7
; %bb.216:                              ;   in Loop: Header=BB2_197 Depth=2
	v_and_b32_e32 v11, 0xffff, v10
	v_or_b32_e32 v115, 0x10000, v10
	s_delay_alu instid0(VALU_DEP_2) | instskip(NEXT) | instid1(VALU_DEP_1)
	v_cmp_eq_u32_e64 s7, 0, v11
	v_cndmask_b32_e64 v119, v115, v10, s7
; %bb.217:                              ;   in Loop: Header=BB2_197 Depth=2
	s_or_b32 exec_lo, exec_lo, s24
	v_and_b32_e32 v10, 0xffff0000, v12
                                        ; implicit-def: $vgpr118
	s_delay_alu instid0(VALU_DEP_1) | instskip(NEXT) | instid1(VALU_DEP_1)
	v_mul_f32_e32 v10, v114, v10
	v_and_b32_e32 v11, 0x7f800000, v10
	s_delay_alu instid0(VALU_DEP_1) | instskip(SKIP_1) | instid1(SALU_CYCLE_1)
	v_cmp_ne_u32_e64 s7, 0x7f800000, v11
	s_and_saveexec_b32 s24, s7
	s_xor_b32 s7, exec_lo, s24
; %bb.218:                              ;   in Loop: Header=BB2_197 Depth=2
	v_bfe_u32 v11, v10, 16, 1
	s_delay_alu instid0(VALU_DEP_1)
	v_add3_u32 v118, v10, v11, 0x7fff
                                        ; implicit-def: $vgpr10
; %bb.219:                              ;   in Loop: Header=BB2_197 Depth=2
	s_and_not1_saveexec_b32 s24, s7
; %bb.220:                              ;   in Loop: Header=BB2_197 Depth=2
	v_and_b32_e32 v11, 0xffff, v10
	v_or_b32_e32 v12, 0x10000, v10
	s_delay_alu instid0(VALU_DEP_2) | instskip(NEXT) | instid1(VALU_DEP_1)
	v_cmp_eq_u32_e64 s7, 0, v11
	v_cndmask_b32_e64 v118, v12, v10, s7
; %bb.221:                              ;   in Loop: Header=BB2_197 Depth=2
	s_or_b32 exec_lo, exec_lo, s24
	v_lshlrev_b32_e32 v10, 16, v13
                                        ; implicit-def: $vgpr117
	s_delay_alu instid0(VALU_DEP_1) | instskip(NEXT) | instid1(VALU_DEP_1)
	v_mul_f32_e32 v10, v114, v10
	v_and_b32_e32 v11, 0x7f800000, v10
	s_delay_alu instid0(VALU_DEP_1) | instskip(SKIP_1) | instid1(SALU_CYCLE_1)
	v_cmp_ne_u32_e64 s7, 0x7f800000, v11
	s_and_saveexec_b32 s24, s7
	s_xor_b32 s7, exec_lo, s24
; %bb.222:                              ;   in Loop: Header=BB2_197 Depth=2
	v_bfe_u32 v11, v10, 16, 1
	s_delay_alu instid0(VALU_DEP_1)
	v_add3_u32 v117, v10, v11, 0x7fff
                                        ; implicit-def: $vgpr10
; %bb.223:                              ;   in Loop: Header=BB2_197 Depth=2
	s_and_not1_saveexec_b32 s24, s7
; %bb.224:                              ;   in Loop: Header=BB2_197 Depth=2
	v_and_b32_e32 v11, 0xffff, v10
	v_or_b32_e32 v12, 0x10000, v10
	s_delay_alu instid0(VALU_DEP_2) | instskip(NEXT) | instid1(VALU_DEP_1)
	v_cmp_eq_u32_e64 s7, 0, v11
	v_cndmask_b32_e64 v117, v12, v10, s7
; %bb.225:                              ;   in Loop: Header=BB2_197 Depth=2
	s_or_b32 exec_lo, exec_lo, s24
	v_and_b32_e32 v10, 0xffff0000, v13
                                        ; implicit-def: $vgpr115
	s_delay_alu instid0(VALU_DEP_1) | instskip(NEXT) | instid1(VALU_DEP_1)
	v_mul_f32_e32 v10, v114, v10
	v_and_b32_e32 v11, 0x7f800000, v10
	s_delay_alu instid0(VALU_DEP_1) | instskip(SKIP_1) | instid1(SALU_CYCLE_1)
	v_cmp_ne_u32_e64 s7, 0x7f800000, v11
	s_and_saveexec_b32 s24, s7
	s_xor_b32 s7, exec_lo, s24
; %bb.226:                              ;   in Loop: Header=BB2_197 Depth=2
	v_bfe_u32 v11, v10, 16, 1
	s_delay_alu instid0(VALU_DEP_1)
	v_add3_u32 v115, v10, v11, 0x7fff
                                        ; implicit-def: $vgpr10
; %bb.227:                              ;   in Loop: Header=BB2_197 Depth=2
	s_and_not1_saveexec_b32 s24, s7
; %bb.228:                              ;   in Loop: Header=BB2_197 Depth=2
	v_and_b32_e32 v11, 0xffff, v10
	v_or_b32_e32 v12, 0x10000, v10
	s_delay_alu instid0(VALU_DEP_2) | instskip(NEXT) | instid1(VALU_DEP_1)
	v_cmp_eq_u32_e64 s7, 0, v11
	v_cndmask_b32_e64 v115, v12, v10, s7
; %bb.229:                              ;   in Loop: Header=BB2_197 Depth=2
	s_or_b32 exec_lo, exec_lo, s24
	global_load_b128 v[10:13], v[82:83], off th:TH_LOAD_NT
	v_and_b32_e32 v116, 0xffff0000, v116
	s_wait_loadcnt 0x0
	v_lshlrev_b32_e32 v43, 16, v10
	s_delay_alu instid0(VALU_DEP_1) | instskip(NEXT) | instid1(VALU_DEP_1)
	v_add_f32_e32 v43, v116, v43
	v_and_b32_e32 v116, 0x7f800000, v43
	s_delay_alu instid0(VALU_DEP_1) | instskip(SKIP_2) | instid1(SALU_CYCLE_1)
	v_cmp_ne_u32_e64 s7, 0x7f800000, v116
                                        ; implicit-def: $vgpr116
	s_wait_xcnt 0x0
	s_and_saveexec_b32 s24, s7
	s_xor_b32 s7, exec_lo, s24
; %bb.230:                              ;   in Loop: Header=BB2_197 Depth=2
	v_bfe_u32 v116, v43, 16, 1
	s_delay_alu instid0(VALU_DEP_1)
	v_add3_u32 v116, v43, v116, 0x7fff
                                        ; implicit-def: $vgpr43
; %bb.231:                              ;   in Loop: Header=BB2_197 Depth=2
	s_and_not1_saveexec_b32 s24, s7
; %bb.232:                              ;   in Loop: Header=BB2_197 Depth=2
	v_and_b32_e32 v116, 0xffff, v43
	v_or_b32_e32 v44, 0x10000, v43
	s_delay_alu instid0(VALU_DEP_2) | instskip(NEXT) | instid1(VALU_DEP_1)
	v_cmp_eq_u32_e64 s7, 0, v116
	v_cndmask_b32_e64 v116, v44, v43, s7
; %bb.233:                              ;   in Loop: Header=BB2_197 Depth=2
	s_or_b32 exec_lo, exec_lo, s24
	v_and_b32_e32 v42, 0xffff0000, v42
	v_and_b32_e32 v10, 0xffff0000, v10
	s_delay_alu instid0(VALU_DEP_1) | instskip(NEXT) | instid1(VALU_DEP_1)
	v_add_f32_e32 v42, v42, v10
	v_and_b32_e32 v10, 0x7f800000, v42
	s_delay_alu instid0(VALU_DEP_1) | instskip(SKIP_1) | instid1(SALU_CYCLE_1)
	v_cmp_ne_u32_e64 s7, 0x7f800000, v10
                                        ; implicit-def: $vgpr10
	s_and_saveexec_b32 s24, s7
	s_xor_b32 s7, exec_lo, s24
; %bb.234:                              ;   in Loop: Header=BB2_197 Depth=2
	v_bfe_u32 v10, v42, 16, 1
	s_delay_alu instid0(VALU_DEP_1)
	v_add3_u32 v10, v42, v10, 0x7fff
                                        ; implicit-def: $vgpr42
; %bb.235:                              ;   in Loop: Header=BB2_197 Depth=2
	s_and_not1_saveexec_b32 s24, s7
; %bb.236:                              ;   in Loop: Header=BB2_197 Depth=2
	v_and_b32_e32 v10, 0xffff, v42
	v_or_b32_e32 v43, 0x10000, v42
	s_delay_alu instid0(VALU_DEP_2) | instskip(NEXT) | instid1(VALU_DEP_1)
	v_cmp_eq_u32_e64 s7, 0, v10
	v_cndmask_b32_e64 v10, v43, v42, s7
; %bb.237:                              ;   in Loop: Header=BB2_197 Depth=2
	s_or_b32 exec_lo, exec_lo, s24
	v_and_b32_e32 v41, 0xffff0000, v41
	v_lshlrev_b32_e32 v42, 16, v11
	s_delay_alu instid0(VALU_DEP_1) | instskip(NEXT) | instid1(VALU_DEP_1)
	v_add_f32_e32 v42, v41, v42
	v_and_b32_e32 v41, 0x7f800000, v42
	s_delay_alu instid0(VALU_DEP_1) | instskip(SKIP_1) | instid1(SALU_CYCLE_1)
	v_cmp_ne_u32_e64 s7, 0x7f800000, v41
                                        ; implicit-def: $vgpr41
	s_and_saveexec_b32 s24, s7
	s_xor_b32 s7, exec_lo, s24
; %bb.238:                              ;   in Loop: Header=BB2_197 Depth=2
	v_bfe_u32 v41, v42, 16, 1
	s_delay_alu instid0(VALU_DEP_1)
	v_add3_u32 v41, v42, v41, 0x7fff
                                        ; implicit-def: $vgpr42
; %bb.239:                              ;   in Loop: Header=BB2_197 Depth=2
	s_and_not1_saveexec_b32 s24, s7
; %bb.240:                              ;   in Loop: Header=BB2_197 Depth=2
	v_and_b32_e32 v41, 0xffff, v42
	v_or_b32_e32 v43, 0x10000, v42
	s_delay_alu instid0(VALU_DEP_2) | instskip(NEXT) | instid1(VALU_DEP_1)
	v_cmp_eq_u32_e64 s7, 0, v41
	v_cndmask_b32_e64 v41, v43, v42, s7
; %bb.241:                              ;   in Loop: Header=BB2_197 Depth=2
	s_or_b32 exec_lo, exec_lo, s24
	v_and_b32_e32 v40, 0xffff0000, v40
	v_and_b32_e32 v11, 0xffff0000, v11
	s_delay_alu instid0(VALU_DEP_1) | instskip(NEXT) | instid1(VALU_DEP_1)
	v_add_f32_e32 v40, v40, v11
	v_and_b32_e32 v11, 0x7f800000, v40
	s_delay_alu instid0(VALU_DEP_1) | instskip(SKIP_1) | instid1(SALU_CYCLE_1)
	v_cmp_ne_u32_e64 s7, 0x7f800000, v11
                                        ; implicit-def: $vgpr11
	s_and_saveexec_b32 s24, s7
	s_xor_b32 s7, exec_lo, s24
; %bb.242:                              ;   in Loop: Header=BB2_197 Depth=2
	v_bfe_u32 v11, v40, 16, 1
	s_delay_alu instid0(VALU_DEP_1)
	v_add3_u32 v11, v40, v11, 0x7fff
                                        ; implicit-def: $vgpr40
; %bb.243:                              ;   in Loop: Header=BB2_197 Depth=2
	s_and_not1_saveexec_b32 s24, s7
; %bb.244:                              ;   in Loop: Header=BB2_197 Depth=2
	v_and_b32_e32 v11, 0xffff, v40
	v_or_b32_e32 v42, 0x10000, v40
	s_delay_alu instid0(VALU_DEP_2) | instskip(NEXT) | instid1(VALU_DEP_1)
	v_cmp_eq_u32_e64 s7, 0, v11
	v_cndmask_b32_e64 v11, v42, v40, s7
; %bb.245:                              ;   in Loop: Header=BB2_197 Depth=2
	s_or_b32 exec_lo, exec_lo, s24
	v_and_b32_e32 v119, 0xffff0000, v119
	v_lshlrev_b32_e32 v40, 16, v12
	s_delay_alu instid0(VALU_DEP_1) | instskip(NEXT) | instid1(VALU_DEP_1)
	v_add_f32_e32 v40, v119, v40
	v_and_b32_e32 v119, 0x7f800000, v40
	s_delay_alu instid0(VALU_DEP_1) | instskip(SKIP_1) | instid1(SALU_CYCLE_1)
	v_cmp_ne_u32_e64 s7, 0x7f800000, v119
                                        ; implicit-def: $vgpr119
	s_and_saveexec_b32 s24, s7
	s_xor_b32 s7, exec_lo, s24
; %bb.246:                              ;   in Loop: Header=BB2_197 Depth=2
	v_bfe_u32 v119, v40, 16, 1
	s_delay_alu instid0(VALU_DEP_1)
	v_add3_u32 v119, v40, v119, 0x7fff
                                        ; implicit-def: $vgpr40
; %bb.247:                              ;   in Loop: Header=BB2_197 Depth=2
	s_and_not1_saveexec_b32 s24, s7
; %bb.248:                              ;   in Loop: Header=BB2_197 Depth=2
	v_and_b32_e32 v119, 0xffff, v40
	v_or_b32_e32 v42, 0x10000, v40
	s_delay_alu instid0(VALU_DEP_2) | instskip(NEXT) | instid1(VALU_DEP_1)
	v_cmp_eq_u32_e64 s7, 0, v119
	v_cndmask_b32_e64 v119, v42, v40, s7
; %bb.249:                              ;   in Loop: Header=BB2_197 Depth=2
	s_or_b32 exec_lo, exec_lo, s24
	v_and_b32_e32 v118, 0xffff0000, v118
	v_and_b32_e32 v12, 0xffff0000, v12
	s_delay_alu instid0(VALU_DEP_1) | instskip(NEXT) | instid1(VALU_DEP_1)
	v_add_f32_e32 v118, v118, v12
	v_and_b32_e32 v12, 0x7f800000, v118
	s_delay_alu instid0(VALU_DEP_1) | instskip(SKIP_1) | instid1(SALU_CYCLE_1)
	v_cmp_ne_u32_e64 s7, 0x7f800000, v12
                                        ; implicit-def: $vgpr12
	s_and_saveexec_b32 s24, s7
	s_xor_b32 s7, exec_lo, s24
; %bb.250:                              ;   in Loop: Header=BB2_197 Depth=2
	v_bfe_u32 v12, v118, 16, 1
	s_delay_alu instid0(VALU_DEP_1)
	v_add3_u32 v12, v118, v12, 0x7fff
                                        ; implicit-def: $vgpr118
; %bb.251:                              ;   in Loop: Header=BB2_197 Depth=2
	s_and_not1_saveexec_b32 s24, s7
; %bb.252:                              ;   in Loop: Header=BB2_197 Depth=2
	v_and_b32_e32 v12, 0xffff, v118
	v_or_b32_e32 v40, 0x10000, v118
	s_delay_alu instid0(VALU_DEP_2) | instskip(NEXT) | instid1(VALU_DEP_1)
	v_cmp_eq_u32_e64 s7, 0, v12
	v_cndmask_b32_e64 v12, v40, v118, s7
; %bb.253:                              ;   in Loop: Header=BB2_197 Depth=2
	s_or_b32 exec_lo, exec_lo, s24
	v_and_b32_e32 v117, 0xffff0000, v117
	v_lshlrev_b32_e32 v118, 16, v13
	s_delay_alu instid0(VALU_DEP_1) | instskip(NEXT) | instid1(VALU_DEP_1)
	v_add_f32_e32 v118, v117, v118
	v_and_b32_e32 v117, 0x7f800000, v118
	s_delay_alu instid0(VALU_DEP_1) | instskip(SKIP_1) | instid1(SALU_CYCLE_1)
	v_cmp_ne_u32_e64 s7, 0x7f800000, v117
                                        ; implicit-def: $vgpr117
	s_and_saveexec_b32 s24, s7
	s_xor_b32 s7, exec_lo, s24
; %bb.254:                              ;   in Loop: Header=BB2_197 Depth=2
	v_bfe_u32 v117, v118, 16, 1
	s_delay_alu instid0(VALU_DEP_1)
	v_add3_u32 v117, v118, v117, 0x7fff
                                        ; implicit-def: $vgpr118
; %bb.255:                              ;   in Loop: Header=BB2_197 Depth=2
	s_and_not1_saveexec_b32 s24, s7
; %bb.256:                              ;   in Loop: Header=BB2_197 Depth=2
	v_and_b32_e32 v117, 0xffff, v118
	v_or_b32_e32 v40, 0x10000, v118
	s_delay_alu instid0(VALU_DEP_2) | instskip(NEXT) | instid1(VALU_DEP_1)
	v_cmp_eq_u32_e64 s7, 0, v117
	v_cndmask_b32_e64 v117, v40, v118, s7
; %bb.257:                              ;   in Loop: Header=BB2_197 Depth=2
	s_or_b32 exec_lo, exec_lo, s24
	v_and_b32_e32 v115, 0xffff0000, v115
	v_and_b32_e32 v13, 0xffff0000, v13
	s_delay_alu instid0(VALU_DEP_1) | instskip(NEXT) | instid1(VALU_DEP_1)
	v_add_f32_e32 v115, v115, v13
	v_and_b32_e32 v13, 0x7f800000, v115
	s_delay_alu instid0(VALU_DEP_1) | instskip(SKIP_1) | instid1(SALU_CYCLE_1)
	v_cmp_ne_u32_e64 s7, 0x7f800000, v13
                                        ; implicit-def: $vgpr13
	s_and_saveexec_b32 s24, s7
	s_xor_b32 s7, exec_lo, s24
; %bb.258:                              ;   in Loop: Header=BB2_197 Depth=2
	v_bfe_u32 v13, v115, 16, 1
	s_delay_alu instid0(VALU_DEP_1)
	v_add3_u32 v13, v115, v13, 0x7fff
                                        ; implicit-def: $vgpr115
; %bb.259:                              ;   in Loop: Header=BB2_197 Depth=2
	s_and_not1_saveexec_b32 s24, s7
	s_cbranch_execz .LBB2_196
; %bb.260:                              ;   in Loop: Header=BB2_197 Depth=2
	v_and_b32_e32 v13, 0xffff, v115
	v_or_b32_e32 v118, 0x10000, v115
	s_delay_alu instid0(VALU_DEP_2) | instskip(NEXT) | instid1(VALU_DEP_1)
	v_cmp_eq_u32_e64 s7, 0, v13
	v_cndmask_b32_e64 v13, v118, v115, s7
	s_branch .LBB2_196
.LBB2_261:                              ;   in Loop: Header=BB2_49 Depth=1
	s_or_b32 exec_lo, exec_lo, s23
.LBB2_262:                              ;   in Loop: Header=BB2_49 Depth=1
	s_delay_alu instid0(SALU_CYCLE_1) | instskip(NEXT) | instid1(VALU_DEP_2)
	s_or_b32 exec_lo, exec_lo, s22
	v_cmp_lt_i32_e64 s7, 0, v102
	s_delay_alu instid0(VALU_DEP_1) | instskip(NEXT) | instid1(VALU_DEP_1)
	v_dual_cndmask_b32 v12, 0, v36, s7 :: v_dual_bitop2_b32 v10, 14, v101 bitop3:0x40
	v_dual_sub_nc_u32 v11, v99, v10 :: v_dual_cndmask_b32 v99, v99, v10, vcc_lo
	s_delay_alu instid0(VALU_DEP_1) | instskip(NEXT) | instid1(VALU_DEP_2)
	v_dual_cndmask_b32 v10, 0, v11 :: v_dual_sub_nc_u32 v11, v12, v102
	v_cmp_ne_u32_e32 vcc_lo, 0, v99
	s_delay_alu instid0(VALU_DEP_2) | instskip(NEXT) | instid1(VALU_DEP_3)
	v_add3_u32 v82, v112, v100, v10
	v_lshl_add_u32 v83, v11, 5, v103
	s_and_b32 s22, vcc_lo, exec_lo
.LBB2_263:                              ;   in Loop: Header=BB2_49 Depth=1
	s_or_b32 exec_lo, exec_lo, s21
	s_and_saveexec_b32 s7, s22
	s_cbranch_execz .LBB2_312
.LBB2_264:                              ;   in Loop: Header=BB2_49 Depth=1
	v_ashrrev_i32_e32 v11, 31, v99
	s_mov_b32 s21, exec_lo
	s_delay_alu instid0(VALU_DEP_1) | instskip(NEXT) | instid1(VALU_DEP_1)
	v_lshrrev_b32_e32 v11, 24, v11
	v_add_nc_u32_e32 v11, v99, v11
	s_delay_alu instid0(VALU_DEP_1) | instskip(SKIP_1) | instid1(VALU_DEP_1)
	v_ashrrev_i32_e32 v100, 8, v11
	v_ashrrev_i32_e32 v10, 31, v83
	v_lshrrev_b32_e32 v10, 27, v10
	s_delay_alu instid0(VALU_DEP_1) | instskip(NEXT) | instid1(VALU_DEP_1)
	v_add_nc_u32_e32 v10, v83, v10
	v_ashrrev_i32_e32 v84, 5, v10
	s_delay_alu instid0(VALU_DEP_1) | instskip(NEXT) | instid1(VALU_DEP_1)
	v_sub_nc_u32_e32 v85, v100, v84
	v_cmpx_lt_i32_e32 0, v85
	s_cbranch_execz .LBB2_300
; %bb.265:                              ;   in Loop: Header=BB2_49 Depth=1
	v_and_b32_e32 v10, 0x7fffffe0, v10
	s_trap 2
	ds_load_b64 v[12:13], v0
	ds_load_b32 v101, v0
	s_mov_b32 s22, 0
	v_dual_sub_nc_u32 v10, v83, v10 :: v_dual_lshlrev_b32 v11, 8, v84
	s_delay_alu instid0(VALU_DEP_1) | instskip(NEXT) | instid1(VALU_DEP_1)
	v_lshlrev_b32_e32 v10, 1, v10
	v_add3_u32 v80, v10, v82, v11
	s_wait_dscnt 0x0
	s_delay_alu instid0(VALU_DEP_1) | instskip(NEXT) | instid1(VALU_DEP_1)
	v_dual_ashrrev_i32 v81, 31, v80 :: v_dual_lshlrev_b32 v101, 16, v101
	v_add_nc_u64_e32 v[10:11], v[80:81], v[68:69]
	v_add_nc_u64_e32 v[12:13], v[12:13], v[80:81]
	;; [unrolled: 1-line block ×3, first 2 shown]
	s_branch .LBB2_267
.LBB2_266:                              ;   in Loop: Header=BB2_267 Depth=2
	s_or_b32 exec_lo, exec_lo, s23
	v_sub_nc_u32_e32 v85, v85, v36
	s_clause 0x3
	flat_store_d16_hi_b16 v[80:81], v102 th:TH_STORE_NT
	flat_store_d16_hi_b16 v[80:81], v103 offset:64 th:TH_STORE_NT
	flat_store_d16_hi_b16 v[80:81], v112 offset:128 th:TH_STORE_NT
	flat_store_d16_hi_b16 v[80:81], v113 offset:192 th:TH_STORE_NT
	v_add_nc_u64_e32 v[10:11], v[10:11], v[50:51]
	v_add_nc_u64_e32 v[12:13], v[12:13], v[50:51]
	s_wait_xcnt 0x0
	v_add_nc_u64_e32 v[80:81], v[80:81], v[50:51]
	v_cmp_gt_i32_e32 vcc_lo, 1, v85
	s_or_b32 s22, vcc_lo, s22
	s_delay_alu instid0(SALU_CYCLE_1)
	s_and_not1_b32 exec_lo, exec_lo, s22
	s_cbranch_execz .LBB2_299
.LBB2_267:                              ;   Parent Loop BB2_49 Depth=1
                                        ; =>  This Inner Loop Header: Depth=2
	flat_load_u16 v102, v[10:11] th:TH_LOAD_NT
	s_wait_loadcnt_dscnt 0x0
	v_lshlrev_b32_e32 v102, 16, v102
	s_delay_alu instid0(VALU_DEP_1) | instskip(NEXT) | instid1(VALU_DEP_1)
	v_mul_f32_e32 v103, v101, v102
	v_and_b32_e32 v102, 0x7f800000, v103
	s_delay_alu instid0(VALU_DEP_1) | instskip(SKIP_2) | instid1(SALU_CYCLE_1)
	v_cmp_ne_u32_e32 vcc_lo, 0x7f800000, v102
                                        ; implicit-def: $vgpr102
	s_wait_xcnt 0x0
	s_and_saveexec_b32 s23, vcc_lo
	s_xor_b32 s23, exec_lo, s23
; %bb.268:                              ;   in Loop: Header=BB2_267 Depth=2
	v_bfe_u32 v102, v103, 16, 1
	s_delay_alu instid0(VALU_DEP_1)
	v_add3_u32 v102, v103, v102, 0x7fff
                                        ; implicit-def: $vgpr103
; %bb.269:                              ;   in Loop: Header=BB2_267 Depth=2
	s_and_not1_saveexec_b32 s23, s23
; %bb.270:                              ;   in Loop: Header=BB2_267 Depth=2
	v_and_b32_e32 v102, 0xffff, v103
	v_or_b32_e32 v112, 0x10000, v103
	s_delay_alu instid0(VALU_DEP_2) | instskip(NEXT) | instid1(VALU_DEP_2)
	v_cmp_eq_u32_e32 vcc_lo, 0, v102
	v_cndmask_b32_e32 v102, v112, v103, vcc_lo
; %bb.271:                              ;   in Loop: Header=BB2_267 Depth=2
	s_or_b32 exec_lo, exec_lo, s23
	flat_load_u16 v103, v[10:11] offset:64 th:TH_LOAD_NT
	s_wait_loadcnt_dscnt 0x0
	v_lshlrev_b32_e32 v103, 16, v103
	s_delay_alu instid0(VALU_DEP_1) | instskip(NEXT) | instid1(VALU_DEP_1)
	v_mul_f32_e32 v112, v101, v103
	v_and_b32_e32 v103, 0x7f800000, v112
	s_delay_alu instid0(VALU_DEP_1) | instskip(SKIP_2) | instid1(SALU_CYCLE_1)
	v_cmp_ne_u32_e32 vcc_lo, 0x7f800000, v103
                                        ; implicit-def: $vgpr103
	s_wait_xcnt 0x0
	s_and_saveexec_b32 s23, vcc_lo
	s_xor_b32 s23, exec_lo, s23
; %bb.272:                              ;   in Loop: Header=BB2_267 Depth=2
	v_bfe_u32 v103, v112, 16, 1
	s_delay_alu instid0(VALU_DEP_1)
	v_add3_u32 v103, v112, v103, 0x7fff
                                        ; implicit-def: $vgpr112
; %bb.273:                              ;   in Loop: Header=BB2_267 Depth=2
	s_and_not1_saveexec_b32 s23, s23
; %bb.274:                              ;   in Loop: Header=BB2_267 Depth=2
	v_and_b32_e32 v103, 0xffff, v112
	v_or_b32_e32 v113, 0x10000, v112
	s_delay_alu instid0(VALU_DEP_2) | instskip(NEXT) | instid1(VALU_DEP_2)
	v_cmp_eq_u32_e32 vcc_lo, 0, v103
	v_cndmask_b32_e32 v103, v113, v112, vcc_lo
; %bb.275:                              ;   in Loop: Header=BB2_267 Depth=2
	s_or_b32 exec_lo, exec_lo, s23
	flat_load_u16 v112, v[10:11] offset:128 th:TH_LOAD_NT
	s_wait_loadcnt_dscnt 0x0
	v_lshlrev_b32_e32 v112, 16, v112
	s_delay_alu instid0(VALU_DEP_1) | instskip(NEXT) | instid1(VALU_DEP_1)
	v_mul_f32_e32 v113, v101, v112
	v_and_b32_e32 v112, 0x7f800000, v113
	s_delay_alu instid0(VALU_DEP_1) | instskip(SKIP_2) | instid1(SALU_CYCLE_1)
	v_cmp_ne_u32_e32 vcc_lo, 0x7f800000, v112
                                        ; implicit-def: $vgpr112
	s_wait_xcnt 0x0
	s_and_saveexec_b32 s23, vcc_lo
	s_xor_b32 s23, exec_lo, s23
; %bb.276:                              ;   in Loop: Header=BB2_267 Depth=2
	v_bfe_u32 v112, v113, 16, 1
	s_delay_alu instid0(VALU_DEP_1)
	v_add3_u32 v112, v113, v112, 0x7fff
                                        ; implicit-def: $vgpr113
; %bb.277:                              ;   in Loop: Header=BB2_267 Depth=2
	s_and_not1_saveexec_b32 s23, s23
; %bb.278:                              ;   in Loop: Header=BB2_267 Depth=2
	v_and_b32_e32 v112, 0xffff, v113
	v_or_b32_e32 v114, 0x10000, v113
	s_delay_alu instid0(VALU_DEP_2) | instskip(NEXT) | instid1(VALU_DEP_2)
	v_cmp_eq_u32_e32 vcc_lo, 0, v112
	v_cndmask_b32_e32 v112, v114, v113, vcc_lo
; %bb.279:                              ;   in Loop: Header=BB2_267 Depth=2
	s_or_b32 exec_lo, exec_lo, s23
	flat_load_u16 v113, v[10:11] offset:192 th:TH_LOAD_NT
	s_wait_loadcnt_dscnt 0x0
	v_lshlrev_b32_e32 v113, 16, v113
	s_delay_alu instid0(VALU_DEP_1) | instskip(NEXT) | instid1(VALU_DEP_1)
	v_mul_f32_e32 v114, v101, v113
	v_and_b32_e32 v113, 0x7f800000, v114
	s_delay_alu instid0(VALU_DEP_1) | instskip(SKIP_2) | instid1(SALU_CYCLE_1)
	v_cmp_ne_u32_e32 vcc_lo, 0x7f800000, v113
                                        ; implicit-def: $vgpr113
	s_wait_xcnt 0x0
	s_and_saveexec_b32 s23, vcc_lo
	s_xor_b32 s23, exec_lo, s23
; %bb.280:                              ;   in Loop: Header=BB2_267 Depth=2
	v_bfe_u32 v113, v114, 16, 1
	s_delay_alu instid0(VALU_DEP_1)
	v_add3_u32 v113, v114, v113, 0x7fff
                                        ; implicit-def: $vgpr114
; %bb.281:                              ;   in Loop: Header=BB2_267 Depth=2
	s_and_not1_saveexec_b32 s23, s23
; %bb.282:                              ;   in Loop: Header=BB2_267 Depth=2
	v_and_b32_e32 v113, 0xffff, v114
	v_or_b32_e32 v115, 0x10000, v114
	s_delay_alu instid0(VALU_DEP_2) | instskip(NEXT) | instid1(VALU_DEP_2)
	v_cmp_eq_u32_e32 vcc_lo, 0, v113
	v_cndmask_b32_e32 v113, v115, v114, vcc_lo
; %bb.283:                              ;   in Loop: Header=BB2_267 Depth=2
	s_or_b32 exec_lo, exec_lo, s23
	s_clause 0x3
	flat_load_u16 v115, v[12:13] offset:128 th:TH_LOAD_NT
	flat_load_u16 v114, v[12:13] offset:192 th:TH_LOAD_NT
	flat_load_u16 v117, v[12:13] th:TH_LOAD_NT
	flat_load_u16 v116, v[12:13] offset:64 th:TH_LOAD_NT
	v_and_b32_e32 v102, 0xffff0000, v102
	s_wait_loadcnt_dscnt 0x101
	v_lshlrev_b32_e32 v117, 16, v117
	s_delay_alu instid0(VALU_DEP_1) | instskip(NEXT) | instid1(VALU_DEP_1)
	v_add_f32_e32 v117, v102, v117
	v_and_b32_e32 v102, 0x7f800000, v117
	s_delay_alu instid0(VALU_DEP_1) | instskip(SKIP_2) | instid1(SALU_CYCLE_1)
	v_cmp_ne_u32_e32 vcc_lo, 0x7f800000, v102
                                        ; implicit-def: $vgpr102
	s_wait_xcnt 0x0
	s_and_saveexec_b32 s23, vcc_lo
	s_xor_b32 s23, exec_lo, s23
; %bb.284:                              ;   in Loop: Header=BB2_267 Depth=2
	v_bfe_u32 v102, v117, 16, 1
	s_delay_alu instid0(VALU_DEP_1)
	v_add3_u32 v102, v117, v102, 0x7fff
                                        ; implicit-def: $vgpr117
; %bb.285:                              ;   in Loop: Header=BB2_267 Depth=2
	s_and_not1_saveexec_b32 s23, s23
; %bb.286:                              ;   in Loop: Header=BB2_267 Depth=2
	v_and_b32_e32 v102, 0xffff, v117
	v_or_b32_e32 v118, 0x10000, v117
	s_delay_alu instid0(VALU_DEP_2) | instskip(NEXT) | instid1(VALU_DEP_2)
	v_cmp_eq_u32_e32 vcc_lo, 0, v102
	v_cndmask_b32_e32 v102, v118, v117, vcc_lo
; %bb.287:                              ;   in Loop: Header=BB2_267 Depth=2
	s_or_b32 exec_lo, exec_lo, s23
	v_and_b32_e32 v103, 0xffff0000, v103
	s_wait_loadcnt_dscnt 0x0
	v_lshlrev_b32_e32 v116, 16, v116
	s_delay_alu instid0(VALU_DEP_1) | instskip(NEXT) | instid1(VALU_DEP_1)
	v_add_f32_e32 v116, v103, v116
	v_and_b32_e32 v103, 0x7f800000, v116
	s_delay_alu instid0(VALU_DEP_1) | instskip(SKIP_1) | instid1(SALU_CYCLE_1)
	v_cmp_ne_u32_e32 vcc_lo, 0x7f800000, v103
                                        ; implicit-def: $vgpr103
	s_and_saveexec_b32 s23, vcc_lo
	s_xor_b32 s23, exec_lo, s23
; %bb.288:                              ;   in Loop: Header=BB2_267 Depth=2
	v_bfe_u32 v103, v116, 16, 1
	s_delay_alu instid0(VALU_DEP_1)
	v_add3_u32 v103, v116, v103, 0x7fff
                                        ; implicit-def: $vgpr116
; %bb.289:                              ;   in Loop: Header=BB2_267 Depth=2
	s_and_not1_saveexec_b32 s23, s23
; %bb.290:                              ;   in Loop: Header=BB2_267 Depth=2
	v_and_b32_e32 v103, 0xffff, v116
	v_or_b32_e32 v117, 0x10000, v116
	s_delay_alu instid0(VALU_DEP_2) | instskip(NEXT) | instid1(VALU_DEP_2)
	v_cmp_eq_u32_e32 vcc_lo, 0, v103
	v_cndmask_b32_e32 v103, v117, v116, vcc_lo
; %bb.291:                              ;   in Loop: Header=BB2_267 Depth=2
	s_or_b32 exec_lo, exec_lo, s23
	v_and_b32_e32 v112, 0xffff0000, v112
	v_lshlrev_b32_e32 v115, 16, v115
	s_delay_alu instid0(VALU_DEP_1) | instskip(NEXT) | instid1(VALU_DEP_1)
	v_add_f32_e32 v115, v112, v115
	v_and_b32_e32 v112, 0x7f800000, v115
	s_delay_alu instid0(VALU_DEP_1) | instskip(SKIP_1) | instid1(SALU_CYCLE_1)
	v_cmp_ne_u32_e32 vcc_lo, 0x7f800000, v112
                                        ; implicit-def: $vgpr112
	s_and_saveexec_b32 s23, vcc_lo
	s_xor_b32 s23, exec_lo, s23
; %bb.292:                              ;   in Loop: Header=BB2_267 Depth=2
	v_bfe_u32 v112, v115, 16, 1
	s_delay_alu instid0(VALU_DEP_1)
	v_add3_u32 v112, v115, v112, 0x7fff
                                        ; implicit-def: $vgpr115
; %bb.293:                              ;   in Loop: Header=BB2_267 Depth=2
	s_and_not1_saveexec_b32 s23, s23
; %bb.294:                              ;   in Loop: Header=BB2_267 Depth=2
	v_and_b32_e32 v112, 0xffff, v115
	v_or_b32_e32 v116, 0x10000, v115
	s_delay_alu instid0(VALU_DEP_2) | instskip(NEXT) | instid1(VALU_DEP_2)
	v_cmp_eq_u32_e32 vcc_lo, 0, v112
	v_cndmask_b32_e32 v112, v116, v115, vcc_lo
; %bb.295:                              ;   in Loop: Header=BB2_267 Depth=2
	s_or_b32 exec_lo, exec_lo, s23
	v_and_b32_e32 v113, 0xffff0000, v113
	v_lshlrev_b32_e32 v114, 16, v114
	s_delay_alu instid0(VALU_DEP_1) | instskip(NEXT) | instid1(VALU_DEP_1)
	v_add_f32_e32 v114, v113, v114
	v_and_b32_e32 v113, 0x7f800000, v114
	s_delay_alu instid0(VALU_DEP_1) | instskip(SKIP_1) | instid1(SALU_CYCLE_1)
	v_cmp_ne_u32_e32 vcc_lo, 0x7f800000, v113
                                        ; implicit-def: $vgpr113
	s_and_saveexec_b32 s23, vcc_lo
	s_xor_b32 s23, exec_lo, s23
; %bb.296:                              ;   in Loop: Header=BB2_267 Depth=2
	v_bfe_u32 v113, v114, 16, 1
	s_delay_alu instid0(VALU_DEP_1)
	v_add3_u32 v113, v114, v113, 0x7fff
                                        ; implicit-def: $vgpr114
; %bb.297:                              ;   in Loop: Header=BB2_267 Depth=2
	s_and_not1_saveexec_b32 s23, s23
	s_cbranch_execz .LBB2_266
; %bb.298:                              ;   in Loop: Header=BB2_267 Depth=2
	v_and_b32_e32 v113, 0xffff, v114
	v_or_b32_e32 v115, 0x10000, v114
	s_delay_alu instid0(VALU_DEP_2) | instskip(NEXT) | instid1(VALU_DEP_2)
	v_cmp_eq_u32_e32 vcc_lo, 0, v113
	v_cndmask_b32_e32 v113, v115, v114, vcc_lo
	s_branch .LBB2_266
.LBB2_299:                              ;   in Loop: Header=BB2_49 Depth=1
	s_or_b32 exec_lo, exec_lo, s22
.LBB2_300:                              ;   in Loop: Header=BB2_49 Depth=1
	s_delay_alu instid0(SALU_CYCLE_1) | instskip(SKIP_1) | instid1(VALU_DEP_1)
	s_or_b32 exec_lo, exec_lo, s21
	v_lshlrev_b32_e32 v10, 8, v100
	v_cmp_ne_u32_e32 vcc_lo, v99, v10
	s_and_b32 exec_lo, exec_lo, vcc_lo
	s_cbranch_execz .LBB2_312
; %bb.301:                              ;   in Loop: Header=BB2_49 Depth=1
	v_dual_lshlrev_b32 v11, 5, v84 :: v_dual_lshlrev_b32 v12, 5, v85
	s_delay_alu instid0(VALU_DEP_1) | instskip(NEXT) | instid1(VALU_DEP_1)
	v_sub_nc_u32_e32 v11, v83, v11
	v_sub_nc_u32_e32 v11, v11, v12
	s_delay_alu instid0(VALU_DEP_1) | instskip(NEXT) | instid1(VALU_DEP_1)
	v_ashrrev_i32_e32 v12, 31, v11
	v_lshrrev_b32_e32 v12, 27, v12
	s_delay_alu instid0(VALU_DEP_1) | instskip(NEXT) | instid1(VALU_DEP_1)
	v_add_nc_u32_e32 v12, v11, v12
	v_and_b32_e32 v13, 0x7fffffe0, v12
	s_delay_alu instid0(VALU_DEP_1) | instskip(NEXT) | instid1(VALU_DEP_1)
	v_dual_lshlrev_b32 v12, 1, v12 :: v_dual_sub_nc_u32 v11, v11, v13
	v_and_b32_e32 v12, 0xffffffc0, v12
	s_delay_alu instid0(VALU_DEP_2) | instskip(NEXT) | instid1(VALU_DEP_1)
	v_lshlrev_b32_e32 v11, 1, v11
	v_add3_u32 v10, v12, v11, v10
	s_delay_alu instid0(VALU_DEP_1) | instskip(NEXT) | instid1(VALU_DEP_1)
	v_sub_nc_u32_e32 v80, v99, v10
	v_cmp_lt_i32_e32 vcc_lo, 1, v80
	s_and_b32 exec_lo, exec_lo, vcc_lo
	s_cbranch_execz .LBB2_312
; %bb.302:                              ;   in Loop: Header=BB2_49 Depth=1
	s_trap 2
	ds_load_b64 v[12:13], v0
	ds_load_b32 v81, v0
	v_add_nc_u32_e32 v82, v10, v82
	s_mov_b32 s21, 0
	s_delay_alu instid0(VALU_DEP_1) | instskip(NEXT) | instid1(VALU_DEP_1)
	v_ashrrev_i32_e32 v83, 31, v82
	v_add_nc_u64_e32 v[10:11], v[82:83], v[68:69]
	v_add_nc_u64_e32 v[68:69], v[82:83], v[70:71]
	s_wait_dscnt 0x0
	v_lshlrev_b32_e32 v70, 16, v81
	v_add_nc_u64_e32 v[12:13], v[12:13], v[82:83]
	s_branch .LBB2_304
.LBB2_303:                              ;   in Loop: Header=BB2_304 Depth=2
	s_or_b32 exec_lo, exec_lo, s22
	v_sub_nc_u32_e32 v80, v80, v52
	flat_store_d16_hi_b16 v[68:69], v71 th:TH_STORE_NT
	v_add_nc_u64_e32 v[10:11], v[10:11], v[52:53]
	v_add_nc_u64_e32 v[12:13], v[12:13], v[52:53]
	s_wait_xcnt 0x0
	v_add_nc_u64_e32 v[68:69], v[68:69], v[52:53]
	v_cmp_gt_i32_e32 vcc_lo, 2, v80
	s_or_b32 s21, vcc_lo, s21
	s_delay_alu instid0(SALU_CYCLE_1)
	s_and_not1_b32 exec_lo, exec_lo, s21
	s_cbranch_execz .LBB2_312
.LBB2_304:                              ;   Parent Loop BB2_49 Depth=1
                                        ; =>  This Inner Loop Header: Depth=2
	flat_load_u16 v71, v[10:11] th:TH_LOAD_NT
	s_wait_loadcnt_dscnt 0x0
	v_lshlrev_b32_e32 v71, 16, v71
	s_delay_alu instid0(VALU_DEP_1) | instskip(NEXT) | instid1(VALU_DEP_1)
	v_mul_f32_e32 v71, v70, v71
	v_and_b32_e32 v81, 0x7f800000, v71
	s_delay_alu instid0(VALU_DEP_1) | instskip(SKIP_2) | instid1(SALU_CYCLE_1)
	v_cmp_ne_u32_e32 vcc_lo, 0x7f800000, v81
                                        ; implicit-def: $vgpr81
	s_wait_xcnt 0x0
	s_and_saveexec_b32 s22, vcc_lo
	s_xor_b32 s22, exec_lo, s22
; %bb.305:                              ;   in Loop: Header=BB2_304 Depth=2
	v_bfe_u32 v81, v71, 16, 1
	s_delay_alu instid0(VALU_DEP_1)
	v_add3_u32 v81, v71, v81, 0x7fff
                                        ; implicit-def: $vgpr71
; %bb.306:                              ;   in Loop: Header=BB2_304 Depth=2
	s_and_not1_saveexec_b32 s22, s22
; %bb.307:                              ;   in Loop: Header=BB2_304 Depth=2
	v_and_b32_e32 v81, 0xffff, v71
	v_or_b32_e32 v82, 0x10000, v71
	s_delay_alu instid0(VALU_DEP_2) | instskip(NEXT) | instid1(VALU_DEP_2)
	v_cmp_eq_u32_e32 vcc_lo, 0, v81
	v_cndmask_b32_e32 v81, v82, v71, vcc_lo
; %bb.308:                              ;   in Loop: Header=BB2_304 Depth=2
	s_or_b32 exec_lo, exec_lo, s22
	flat_load_u16 v71, v[12:13] th:TH_LOAD_NT
	v_and_b32_e32 v81, 0xffff0000, v81
	s_wait_loadcnt_dscnt 0x0
	v_lshlrev_b32_e32 v71, 16, v71
	s_delay_alu instid0(VALU_DEP_1) | instskip(NEXT) | instid1(VALU_DEP_1)
	v_add_f32_e32 v81, v81, v71
	v_and_b32_e32 v71, 0x7f800000, v81
	s_delay_alu instid0(VALU_DEP_1) | instskip(SKIP_2) | instid1(SALU_CYCLE_1)
	v_cmp_ne_u32_e32 vcc_lo, 0x7f800000, v71
                                        ; implicit-def: $vgpr71
	s_wait_xcnt 0x0
	s_and_saveexec_b32 s22, vcc_lo
	s_xor_b32 s22, exec_lo, s22
; %bb.309:                              ;   in Loop: Header=BB2_304 Depth=2
	v_bfe_u32 v71, v81, 16, 1
	s_delay_alu instid0(VALU_DEP_1)
	v_add3_u32 v71, v81, v71, 0x7fff
                                        ; implicit-def: $vgpr81
; %bb.310:                              ;   in Loop: Header=BB2_304 Depth=2
	s_and_not1_saveexec_b32 s22, s22
	s_cbranch_execz .LBB2_303
; %bb.311:                              ;   in Loop: Header=BB2_304 Depth=2
	v_and_b32_e32 v71, 0xffff, v81
	v_or_b32_e32 v82, 0x10000, v81
	s_delay_alu instid0(VALU_DEP_2) | instskip(NEXT) | instid1(VALU_DEP_2)
	v_cmp_eq_u32_e32 vcc_lo, 0, v71
	v_cndmask_b32_e32 v71, v82, v81, vcc_lo
	s_branch .LBB2_303
.LBB2_312:                              ;   in Loop: Header=BB2_49 Depth=1
	s_or_b32 exec_lo, exec_lo, s7
	v_cmp_ne_u32_e64 s7, 0, v34
	s_and_saveexec_b32 s21, s2
	s_cbranch_execz .LBB2_331
.LBB2_313:                              ;   in Loop: Header=BB2_49 Depth=1
	s_and_saveexec_b32 s22, s3
	s_delay_alu instid0(SALU_CYCLE_1)
	s_xor_b32 s22, exec_lo, s22
	s_cbranch_execz .LBB2_328
; %bb.314:                              ;   in Loop: Header=BB2_49 Depth=1
	s_and_saveexec_b32 s23, s4
	s_cbranch_execz .LBB2_327
; %bb.315:                              ;   in Loop: Header=BB2_49 Depth=1
	s_mov_b32 s25, exec_lo
	s_mov_b32 s24, exec_lo
	v_mbcnt_lo_u32_b32 v10, s25, 0
	global_wb scope:SCOPE_DEV
	s_wait_storecnt 0x0
	s_wait_loadcnt_dscnt 0x0
	global_inv scope:SCOPE_DEV
	v_cmpx_eq_u32_e32 0, v10
	s_cbranch_execz .LBB2_317
; %bb.316:                              ;   in Loop: Header=BB2_49 Depth=1
	s_bcnt1_i32_b32 s25, s25
	s_delay_alu instid0(SALU_CYCLE_1)
	v_mov_b32_e32 v34, s25
	s_wait_loadcnt 0x0
	ds_add_u64 v0, v[34:35]
	s_trap 2
.LBB2_317:                              ;   in Loop: Header=BB2_49 Depth=1
	s_or_b32 exec_lo, exec_lo, s24
	s_trap 2
	ds_load_b64 v[10:11], v0
	s_wait_dscnt 0x0
	v_add_nc_u64_e32 v[24:25], v[24:25], v[36:37]
	s_mov_b32 s24, exec_lo
	s_delay_alu instid0(VALU_DEP_1)
	v_cmpx_lt_u64_e64 v[10:11], v[24:25]
	s_cbranch_execz .LBB2_326
; %bb.318:                              ;   in Loop: Header=BB2_49 Depth=1
	s_mov_b32 s25, 0
	s_mov_b32 s28, 0
                                        ; implicit-def: $sgpr26
                                        ; implicit-def: $sgpr27
	s_branch .LBB2_320
.LBB2_319:                              ;   in Loop: Header=BB2_320 Depth=2
	s_or_b32 exec_lo, exec_lo, s40
	s_delay_alu instid0(SALU_CYCLE_1) | instskip(NEXT) | instid1(SALU_CYCLE_1)
	s_and_b32 s29, exec_lo, s41
	s_or_b32 s25, s29, s25
	s_and_not1_b32 s26, s26, exec_lo
	s_and_b32 s29, s27, exec_lo
	s_delay_alu instid0(SALU_CYCLE_1)
	s_or_b32 s26, s26, s29
	s_and_not1_b32 exec_lo, exec_lo, s25
	s_cbranch_execz .LBB2_324
.LBB2_320:                              ;   Parent Loop BB2_49 Depth=1
                                        ; =>  This Inner Loop Header: Depth=2
	s_add_co_i32 s28, s28, 1
	s_delay_alu instid0(SALU_CYCLE_1) | instskip(SKIP_1) | instid1(SALU_CYCLE_1)
	s_cmp_lg_u32 s28, 0x2710
	s_cselect_b32 s29, -1, 0
	s_and_b32 vcc_lo, exec_lo, s29
	s_cbranch_vccz .LBB2_322
; %bb.321:                              ;   in Loop: Header=BB2_320 Depth=2
	s_mov_b32 s41, -1
	s_or_b32 s27, s27, exec_lo
	s_and_saveexec_b32 s40, s29
	s_cbranch_execz .LBB2_319
	s_branch .LBB2_323
.LBB2_322:                              ;   in Loop: Header=BB2_320 Depth=2
	s_trap 2
	ds_load_b64 v[10:11], v0
	s_and_not1_b32 s29, s29, exec_lo
	s_mov_b32 s28, 0
	s_wait_loadcnt_dscnt 0x0
	flat_load_b32 v10, v[10:11] scope:SCOPE_SYS
	s_wait_loadcnt_dscnt 0x0
	global_inv scope:SCOPE_SYS
	v_cmp_eq_u32_e32 vcc_lo, 0, v10
	s_and_b32 s40, vcc_lo, exec_lo
	s_delay_alu instid0(SALU_CYCLE_1)
	s_or_b32 s29, s29, s40
	s_mov_b32 s41, -1
	s_or_b32 s27, s27, exec_lo
	s_and_saveexec_b32 s40, s29
	s_cbranch_execz .LBB2_319
.LBB2_323:                              ;   in Loop: Header=BB2_320 Depth=2
	s_sleep 1
	s_trap 2
	ds_load_b64 v[10:11], v0
	s_wait_dscnt 0x0
	s_and_not1_b32 s27, s27, exec_lo
	v_cmp_ge_u64_e32 vcc_lo, v[10:11], v[24:25]
	s_or_not1_b32 s41, vcc_lo, exec_lo
	s_branch .LBB2_319
.LBB2_324:                              ;   in Loop: Header=BB2_49 Depth=1
	s_or_b32 exec_lo, exec_lo, s25
	s_and_saveexec_b32 s25, s26
	s_delay_alu instid0(SALU_CYCLE_1)
	s_xor_b32 s25, exec_lo, s25
	s_cbranch_execz .LBB2_326
; %bb.325:                              ;   in Loop: Header=BB2_49 Depth=1
	ds_store_b32 v0, v97
	s_trap 2
.LBB2_326:                              ;   in Loop: Header=BB2_49 Depth=1
	s_or_b32 exec_lo, exec_lo, s24
	;;#ASMSTART
	s_wakeup
	;;#ASMEND
.LBB2_327:                              ;   in Loop: Header=BB2_49 Depth=1
	s_or_b32 exec_lo, exec_lo, s23
.LBB2_328:                              ;   in Loop: Header=BB2_49 Depth=1
	s_and_not1_saveexec_b32 s22, s22
	s_cbranch_execz .LBB2_330
; %bb.329:                              ;   in Loop: Header=BB2_49 Depth=1
	global_wb scope:SCOPE_DEV
	s_wait_storecnt 0x0
	s_wait_loadcnt_dscnt 0x0
	global_inv scope:SCOPE_DEV
	s_barrier_signal -1
	s_barrier_wait -1
.LBB2_330:                              ;   in Loop: Header=BB2_49 Depth=1
	s_or_b32 exec_lo, exec_lo, s22
.LBB2_331:                              ;   in Loop: Header=BB2_49 Depth=1
	s_delay_alu instid0(SALU_CYCLE_1) | instskip(SKIP_1) | instid1(VALU_DEP_1)
	s_or_b32 exec_lo, exec_lo, s21
	v_and_b32_e32 v10, 16, v30
	v_cmp_ne_u32_e32 vcc_lo, 0, v10
	s_and_b32 s21, vcc_lo, s7
	s_delay_alu instid0(SALU_CYCLE_1)
	s_and_saveexec_b32 s7, s21
	s_cbranch_execz .LBB2_333
; %bb.332:                              ;   in Loop: Header=BB2_49 Depth=1
	global_wb scope:SCOPE_SYS
	s_wait_storecnt 0x0
	s_wait_loadcnt_dscnt 0x0
	global_inv scope:SCOPE_SYS
.LBB2_333:                              ;   in Loop: Header=BB2_49 Depth=1
	s_or_b32 exec_lo, exec_lo, s7
	v_cmp_ne_u32_e32 vcc_lo, 0, v10
	s_and_b32 s21, vcc_lo, s18
	s_delay_alu instid0(SALU_CYCLE_1)
	s_and_saveexec_b32 s7, s21
	s_cbranch_execz .LBB2_335
; %bb.334:                              ;   in Loop: Header=BB2_49 Depth=1
	global_wb scope:SCOPE_SYS
	s_wait_storecnt 0x0
	s_wait_loadcnt_dscnt 0x0
	flat_store_b32 v[32:33], v97 scope:SCOPE_SYS
.LBB2_335:                              ;   in Loop: Header=BB2_49 Depth=1
	s_wait_xcnt 0x0
	s_or_b32 exec_lo, exec_lo, s7
	v_and_b32_e32 v10, 48, v30
	s_mov_b32 s7, exec_lo
	s_delay_alu instid0(VALU_DEP_1)
	v_cmpx_ne_u32_e32 0, v10
	s_cbranch_execz .LBB2_337
; %bb.336:                              ;   in Loop: Header=BB2_49 Depth=1
	v_add_nc_u64_e32 v[8:9], 1, v[8:9]
	global_wb scope:SCOPE_SYS
	s_wait_storecnt 0x0
	s_wait_loadcnt_dscnt 0x0
	flat_store_b64 v[18:19], v[8:9] scope:SCOPE_SYS
.LBB2_337:                              ;   in Loop: Header=BB2_49 Depth=1
	s_wait_xcnt 0x0
	s_or_b32 exec_lo, exec_lo, s7
	v_mov_b32_e32 v10, v67
.LBB2_338:                              ;   in Loop: Header=BB2_49 Depth=1
	s_or_b32 exec_lo, exec_lo, s20
	s_and_saveexec_b32 s20, s19
	s_cbranch_execz .LBB2_48
; %bb.339:                              ;   in Loop: Header=BB2_49 Depth=1
	s_delay_alu instid0(VALU_DEP_1) | instskip(SKIP_2) | instid1(VALU_DEP_2)
	v_sub_nc_u32_e32 v10, v66, v10
	v_and_b32_e32 v11, 12, v30
	s_mov_b32 s19, exec_lo
	v_min_i32_e32 v10, v67, v10
	s_delay_alu instid0(VALU_DEP_2)
	v_cmpx_ne_u32_e32 0, v11
	s_cbranch_execz .LBB2_365
; %bb.340:                              ;   in Loop: Header=BB2_49 Depth=1
	v_and_b32_e32 v34, 8, v30
	v_add_nc_u64_e32 v[12:13], 1, v[8:9]
	s_mov_b32 s21, exec_lo
	s_wait_loadcnt 0x0
	s_delay_alu instid0(VALU_DEP_2) | instskip(NEXT) | instid1(VALU_DEP_1)
	v_add_nc_u64_e32 v[66:67], v[26:27], v[34:35]
	v_cmpx_lt_u64_e64 v[66:67], v[12:13]
	s_cbranch_execz .LBB2_352
; %bb.341:                              ;   in Loop: Header=BB2_49 Depth=1
	v_and_b32_e32 v9, 64, v30
	s_mov_b32 s22, 0
	s_mov_b32 s26, 0
                                        ; implicit-def: $sgpr23
                                        ; implicit-def: $sgpr24
                                        ; implicit-def: $sgpr25
	s_delay_alu instid0(VALU_DEP_1)
	v_cmp_eq_u32_e32 vcc_lo, 0, v9
	s_branch .LBB2_345
.LBB2_342:                              ;   in Loop: Header=BB2_345 Depth=2
	s_wait_loadcnt_dscnt 0x0
	v_add_nc_u64_e32 v[66:67], v[26:27], v[34:35]
	s_or_b32 s29, s29, exec_lo
	s_delay_alu instid0(VALU_DEP_1)
	v_cmp_ge_u64_e64 s7, v[66:67], v[12:13]
	s_or_not1_b32 s28, s7, exec_lo
.LBB2_343:                              ;   in Loop: Header=BB2_345 Depth=2
	s_or_b32 exec_lo, exec_lo, s41
	s_delay_alu instid0(SALU_CYCLE_1)
	s_and_not1_b32 s7, s25, exec_lo
	s_and_b32 s25, s29, exec_lo
	s_and_not1_b32 s24, s24, exec_lo
	s_and_b32 s28, s28, exec_lo
	s_or_b32 s25, s7, s25
	s_or_b32 s24, s24, s28
.LBB2_344:                              ;   in Loop: Header=BB2_345 Depth=2
	s_or_b32 exec_lo, exec_lo, s27
	s_delay_alu instid0(SALU_CYCLE_1) | instskip(NEXT) | instid1(SALU_CYCLE_1)
	s_and_b32 s7, exec_lo, s24
	s_or_b32 s22, s7, s22
	s_and_not1_b32 s7, s23, exec_lo
	s_and_b32 s23, s25, exec_lo
	s_delay_alu instid0(SALU_CYCLE_1)
	s_or_b32 s23, s7, s23
	s_and_not1_b32 exec_lo, exec_lo, s22
	s_cbranch_execz .LBB2_349
.LBB2_345:                              ;   Parent Loop BB2_49 Depth=1
                                        ; =>  This Inner Loop Header: Depth=2
	s_sleep 1
	s_wait_loadcnt_dscnt 0x0
	flat_load_b64 v[26:27], v[18:19] scope:SCOPE_SYS
	s_or_b32 s25, s25, exec_lo
	s_or_b32 s24, s24, exec_lo
                                        ; implicit-def: $vgpr9
	s_wait_xcnt 0x0
	s_and_saveexec_b32 s27, vcc_lo
	s_cbranch_execz .LBB2_344
; %bb.346:                              ;   in Loop: Header=BB2_345 Depth=2
	s_cmp_lt_i32 s26, 0x270f
	s_mov_b32 s28, -1
	s_cselect_b32 s40, -1, 0
	s_cmp_gt_i32 s26, 0x270e
	s_cbranch_scc0 .LBB2_348
; %bb.347:                              ;   in Loop: Header=BB2_345 Depth=2
	s_trap 2
	ds_load_b64 v[66:67], v0
	s_and_not1_b32 s26, s40, exec_lo
	s_mov_b32 s29, 0
	s_wait_storecnt 0x0
	s_wait_loadcnt_dscnt 0x0
	flat_load_b32 v9, v[66:67] scope:SCOPE_SYS
	s_wait_loadcnt_dscnt 0x0
	global_inv scope:SCOPE_SYS
	v_cmp_eq_u32_e64 s7, 0, v9
	s_and_b32 s7, s7, exec_lo
	s_delay_alu instid0(SALU_CYCLE_1)
	s_or_b32 s40, s26, s7
	s_mov_b32 s26, 0
	s_and_saveexec_b32 s41, s40
	s_cbranch_execz .LBB2_343
	s_branch .LBB2_342
.LBB2_348:                              ;   in Loop: Header=BB2_345 Depth=2
	s_add_co_i32 s26, s26, 1
	s_mov_b32 s29, -1
                                        ; implicit-def: $vgpr9
	s_and_saveexec_b32 s41, s40
	s_cbranch_execz .LBB2_343
	s_branch .LBB2_342
.LBB2_349:                              ;   in Loop: Header=BB2_49 Depth=1
	s_or_b32 exec_lo, exec_lo, s22
	s_xor_b32 s7, s23, -1
	s_delay_alu instid0(SALU_CYCLE_1) | instskip(NEXT) | instid1(SALU_CYCLE_1)
	s_and_saveexec_b32 s22, s7
	s_xor_b32 s7, exec_lo, s22
	s_cbranch_execz .LBB2_351
; %bb.350:                              ;   in Loop: Header=BB2_49 Depth=1
	v_or_b32_e32 v30, 64, v30
	s_wait_storecnt 0x0
	s_wait_loadcnt_dscnt 0x0
	ds_store_b32 v0, v9
	s_trap 2
.LBB2_351:                              ;   in Loop: Header=BB2_49 Depth=1
	s_or_b32 exec_lo, exec_lo, s7
.LBB2_352:                              ;   in Loop: Header=BB2_49 Depth=1
	s_delay_alu instid0(SALU_CYCLE_1) | instskip(SKIP_2) | instid1(VALU_DEP_1)
	s_or_b32 exec_lo, exec_lo, s21
	v_and_b32_e32 v9, 0x108, v30
	;;#ASMSTART
	s_wakeup
	;;#ASMEND
	v_cmp_ne_u32_e32 vcc_lo, 0x108, v9
	v_and_b32_e32 v8, 7, v8
	s_and_saveexec_b32 s7, vcc_lo
	s_delay_alu instid0(SALU_CYCLE_1)
	s_xor_b32 s7, exec_lo, s7
; %bb.353:                              ;   in Loop: Header=BB2_49 Depth=1
	v_mov_b32_e32 v9, v35
; %bb.354:                              ;   in Loop: Header=BB2_49 Depth=1
	s_and_not1_saveexec_b32 s7, s7
	s_cbranch_execz .LBB2_356
; %bb.355:                              ;   in Loop: Header=BB2_49 Depth=1
	v_dual_ashrrev_i32 v11, 31, v10 :: v_dual_mov_b32 v9, v35
	v_mad_nc_u64_u32 v[66:67], v8, 24, v[6:7]
	s_delay_alu instid0(VALU_DEP_2)
	v_lshlrev_b64_e32 v[68:69], 1, v[10:11]
	flat_store_b64 v[66:67], v[68:69] offset:8
.LBB2_356:                              ;   in Loop: Header=BB2_49 Depth=1
	s_wait_xcnt 0x0
	s_or_b32 exec_lo, exec_lo, s7
	v_and_b32_e32 v11, 0x100, v30
	s_mov_b32 s7, -1
	s_mov_b32 s21, exec_lo
                                        ; implicit-def: $vgpr66_vgpr67
	s_delay_alu instid0(VALU_DEP_1)
	v_cmpx_ne_u32_e32 0, v11
	s_cbranch_execz .LBB2_360
; %bb.357:                              ;   in Loop: Header=BB2_49 Depth=1
	v_mad_nc_u64_u32 v[68:69], v8, 24, v[6:7]
	s_mov_b32 s22, exec_lo
                                        ; implicit-def: $vgpr66_vgpr67
	s_delay_alu instid0(VALU_DEP_1)
	v_mad_u32 v69, v9, 24, v69
	flat_load_b32 v11, v[68:69]
	s_wait_loadcnt_dscnt 0x0
	v_cmp_ne_u32_e32 vcc_lo, 1, v11
	s_wait_xcnt 0x0
	v_cmpx_eq_u32_e32 1, v11
	s_cbranch_execz .LBB2_359
; %bb.358:                              ;   in Loop: Header=BB2_49 Depth=1
	flat_load_b32 v66, v[68:69] offset:4 scope:SCOPE_SYS
	s_wait_loadcnt_dscnt 0x0
	v_ashrrev_i32_e32 v67, 31, v66
	s_delay_alu instid0(VALU_DEP_1)
	v_lshrrev_b64 v[66:67], 1, v[66:67]
.LBB2_359:                              ;   in Loop: Header=BB2_49 Depth=1
	s_wait_xcnt 0x0
	s_or_b32 exec_lo, exec_lo, s22
	s_delay_alu instid0(SALU_CYCLE_1)
	s_or_not1_b32 s7, vcc_lo, exec_lo
.LBB2_360:                              ;   in Loop: Header=BB2_49 Depth=1
	s_or_b32 exec_lo, exec_lo, s21
	s_and_saveexec_b32 s21, s7
; %bb.361:                              ;   in Loop: Header=BB2_49 Depth=1
	v_mul_u64_e32 v[66:67], v[8:9], v[20:21]
; %bb.362:                              ;   in Loop: Header=BB2_49 Depth=1
	s_or_b32 exec_lo, exec_lo, s21
	v_cmp_eq_u32_e32 vcc_lo, 0, v34
	v_and_b32_e32 v34, 0x2000, v30
	s_delay_alu instid0(VALU_DEP_3) | instskip(SKIP_2) | instid1(VALU_DEP_1)
	v_lshl_add_u64 v[8:9], v[66:67], 1, v[22:23]
	s_mov_b32 s7, exec_lo
	v_cndmask_b32_e32 v11, 0xc8, v98, vcc_lo
	v_add_nc_u32_e32 v11, v0, v11
	ds_store_b64 v11, v[8:9] offset:584
	v_cmpx_ne_u32_e32 0, v34
	s_cbranch_execz .LBB2_364
; %bb.363:                              ;   in Loop: Header=BB2_49 Depth=1
	ds_load_b64 v[8:9], v0 offset:872
	s_wait_dscnt 0x0
	v_add_nc_u64_e32 v[8:9], 1, v[8:9]
	ds_store_b64 v0, v[8:9] offset:872
.LBB2_364:                              ;   in Loop: Header=BB2_49 Depth=1
	s_or_b32 exec_lo, exec_lo, s7
	v_mov_b64_e32 v[8:9], v[12:13]
.LBB2_365:                              ;   in Loop: Header=BB2_49 Depth=1
	s_or_b32 exec_lo, exec_lo, s19
	s_and_saveexec_b32 s7, s2
	s_cbranch_execz .LBB2_384
; %bb.366:                              ;   in Loop: Header=BB2_49 Depth=1
	s_and_saveexec_b32 s19, s3
	s_delay_alu instid0(SALU_CYCLE_1)
	s_xor_b32 s19, exec_lo, s19
	s_cbranch_execz .LBB2_381
; %bb.367:                              ;   in Loop: Header=BB2_49 Depth=1
	s_and_saveexec_b32 s21, s4
	s_cbranch_execz .LBB2_380
; %bb.368:                              ;   in Loop: Header=BB2_49 Depth=1
	s_mov_b32 s23, exec_lo
	s_mov_b32 s22, exec_lo
	v_mbcnt_lo_u32_b32 v11, s23, 0
	global_wb scope:SCOPE_DEV
	s_wait_storecnt 0x0
	s_wait_loadcnt_dscnt 0x0
	global_inv scope:SCOPE_DEV
	v_cmpx_eq_u32_e32 0, v11
	s_cbranch_execz .LBB2_370
; %bb.369:                              ;   in Loop: Header=BB2_49 Depth=1
	s_bcnt1_i32_b32 s23, s23
	s_delay_alu instid0(SALU_CYCLE_1)
	v_mov_b32_e32 v34, s23
	s_wait_loadcnt 0x0
	ds_add_u64 v0, v[34:35]
	s_trap 2
.LBB2_370:                              ;   in Loop: Header=BB2_49 Depth=1
	s_or_b32 exec_lo, exec_lo, s22
	s_trap 2
	ds_load_b64 v[12:13], v0
	s_wait_dscnt 0x0
	v_add_nc_u64_e32 v[24:25], v[24:25], v[36:37]
	s_mov_b32 s22, exec_lo
	s_delay_alu instid0(VALU_DEP_1)
	v_cmpx_lt_u64_e64 v[12:13], v[24:25]
	s_cbranch_execz .LBB2_379
; %bb.371:                              ;   in Loop: Header=BB2_49 Depth=1
	s_mov_b32 s23, 0
	s_mov_b32 s26, 0
                                        ; implicit-def: $sgpr24
                                        ; implicit-def: $sgpr25
	s_branch .LBB2_373
.LBB2_372:                              ;   in Loop: Header=BB2_373 Depth=2
	s_or_b32 exec_lo, exec_lo, s28
	s_delay_alu instid0(SALU_CYCLE_1) | instskip(NEXT) | instid1(SALU_CYCLE_1)
	s_and_b32 s27, exec_lo, s29
	s_or_b32 s23, s27, s23
	s_and_not1_b32 s24, s24, exec_lo
	s_and_b32 s27, s25, exec_lo
	s_delay_alu instid0(SALU_CYCLE_1)
	s_or_b32 s24, s24, s27
	s_and_not1_b32 exec_lo, exec_lo, s23
	s_cbranch_execz .LBB2_377
.LBB2_373:                              ;   Parent Loop BB2_49 Depth=1
                                        ; =>  This Inner Loop Header: Depth=2
	s_add_co_i32 s26, s26, 1
	s_delay_alu instid0(SALU_CYCLE_1) | instskip(SKIP_1) | instid1(SALU_CYCLE_1)
	s_cmp_lg_u32 s26, 0x2710
	s_cselect_b32 s27, -1, 0
	s_and_b32 vcc_lo, exec_lo, s27
	s_cbranch_vccz .LBB2_375
; %bb.374:                              ;   in Loop: Header=BB2_373 Depth=2
	s_mov_b32 s29, -1
	s_or_b32 s25, s25, exec_lo
	s_and_saveexec_b32 s28, s27
	s_cbranch_execz .LBB2_372
	s_branch .LBB2_376
.LBB2_375:                              ;   in Loop: Header=BB2_373 Depth=2
	s_trap 2
	ds_load_b64 v[12:13], v0
	s_and_not1_b32 s27, s27, exec_lo
	s_mov_b32 s26, 0
	s_wait_loadcnt_dscnt 0x0
	flat_load_b32 v11, v[12:13] scope:SCOPE_SYS
	s_wait_loadcnt_dscnt 0x0
	global_inv scope:SCOPE_SYS
	v_cmp_eq_u32_e32 vcc_lo, 0, v11
	s_and_b32 s28, vcc_lo, exec_lo
	s_delay_alu instid0(SALU_CYCLE_1)
	s_or_b32 s27, s27, s28
	s_mov_b32 s29, -1
	s_or_b32 s25, s25, exec_lo
	s_and_saveexec_b32 s28, s27
	s_cbranch_execz .LBB2_372
.LBB2_376:                              ;   in Loop: Header=BB2_373 Depth=2
	s_sleep 1
	s_trap 2
	ds_load_b64 v[12:13], v0
	s_wait_dscnt 0x0
	s_and_not1_b32 s25, s25, exec_lo
	v_cmp_ge_u64_e32 vcc_lo, v[12:13], v[24:25]
	s_or_not1_b32 s29, vcc_lo, exec_lo
	s_branch .LBB2_372
.LBB2_377:                              ;   in Loop: Header=BB2_49 Depth=1
	s_or_b32 exec_lo, exec_lo, s23
	s_and_saveexec_b32 s23, s24
	s_delay_alu instid0(SALU_CYCLE_1)
	s_xor_b32 s23, exec_lo, s23
	s_cbranch_execz .LBB2_379
; %bb.378:                              ;   in Loop: Header=BB2_49 Depth=1
	ds_store_b32 v0, v97
	s_trap 2
.LBB2_379:                              ;   in Loop: Header=BB2_49 Depth=1
	s_or_b32 exec_lo, exec_lo, s22
	;;#ASMSTART
	s_wakeup
	;;#ASMEND
.LBB2_380:                              ;   in Loop: Header=BB2_49 Depth=1
	s_or_b32 exec_lo, exec_lo, s21
.LBB2_381:                              ;   in Loop: Header=BB2_49 Depth=1
	s_and_not1_saveexec_b32 s19, s19
	s_cbranch_execz .LBB2_383
; %bb.382:                              ;   in Loop: Header=BB2_49 Depth=1
	global_wb scope:SCOPE_DEV
	s_wait_storecnt 0x0
	s_wait_loadcnt_dscnt 0x0
	global_inv scope:SCOPE_DEV
	s_barrier_signal -1
	s_barrier_wait -1
.LBB2_383:                              ;   in Loop: Header=BB2_49 Depth=1
	s_or_b32 exec_lo, exec_lo, s19
.LBB2_384:                              ;   in Loop: Header=BB2_49 Depth=1
	s_delay_alu instid0(SALU_CYCLE_1)
	s_or_b32 exec_lo, exec_lo, s7
	s_trap 2
	ds_load_b32 v11, v0
	v_cmp_lt_i32_e32 vcc_lo, 0, v10
	s_wait_dscnt 0x0
	v_readfirstlane_b32 s7, v11
	v_and_b32_e32 v11, 16, v30
	s_cmp_eq_u32 s7, 0
	s_delay_alu instid0(VALU_DEP_1) | instskip(SKIP_1) | instid1(SALU_CYCLE_1)
	v_cmp_ne_u32_e64 s7, 0, v11
	s_cselect_b32 s19, -1, 0
	s_and_b32 s19, vcc_lo, s19
	s_delay_alu instid0(SALU_CYCLE_1) | instskip(NEXT) | instid1(SALU_CYCLE_1)
	s_and_b32 s19, s7, s19
	s_and_saveexec_b32 s7, s19
	s_cbranch_execz .LBB2_386
; %bb.385:                              ;   in Loop: Header=BB2_49 Depth=1
	global_wb scope:SCOPE_SYS
	s_wait_loadcnt 0x0
	s_wait_storecnt 0x0
	global_inv scope:SCOPE_SYS
.LBB2_386:                              ;   in Loop: Header=BB2_49 Depth=1
	s_or_b32 exec_lo, exec_lo, s7
	v_cmp_ne_u32_e32 vcc_lo, 0, v11
	s_and_b32 s19, vcc_lo, s18
	s_delay_alu instid0(SALU_CYCLE_1)
	s_and_saveexec_b32 s7, s19
	s_cbranch_execz .LBB2_388
; %bb.387:                              ;   in Loop: Header=BB2_49 Depth=1
	global_wb scope:SCOPE_SYS
	s_wait_loadcnt 0x0
	s_wait_storecnt 0x0
	flat_store_b32 v[32:33], v97 scope:SCOPE_SYS
.LBB2_388:                              ;   in Loop: Header=BB2_49 Depth=1
	s_wait_xcnt 0x0
	s_or_b32 exec_lo, exec_lo, s7
	v_and_b32_e32 v10, 48, v30
	s_mov_b32 s7, exec_lo
	s_delay_alu instid0(VALU_DEP_1)
	v_cmpx_ne_u32_e32 0, v10
	s_cbranch_execz .LBB2_47
; %bb.389:                              ;   in Loop: Header=BB2_49 Depth=1
	v_add_nc_u64_e32 v[8:9], 1, v[8:9]
	global_wb scope:SCOPE_SYS
	s_wait_storecnt 0x0
	s_wait_loadcnt_dscnt 0x0
	flat_store_b64 v[18:19], v[8:9] scope:SCOPE_SYS
	s_branch .LBB2_47
.LBB2_390:
	s_or_b32 exec_lo, exec_lo, s16
.LBB2_391:
	s_delay_alu instid0(SALU_CYCLE_1)
	s_or_b32 exec_lo, exec_lo, s14
                                        ; implicit-def: $vgpr14_vgpr15
                                        ; implicit-def: $vgpr4_vgpr5
                                        ; implicit-def: $vgpr20
                                        ; implicit-def: $vgpr26_vgpr27
                                        ; implicit-def: $vgpr22_vgpr23
                                        ; implicit-def: $vgpr18_vgpr19
                                        ; implicit-def: $vgpr0
                                        ; implicit-def: $vgpr38
                                        ; implicit-def: $vgpr28_vgpr29
.LBB2_392:
	s_and_not1_saveexec_b32 s13, s13
	s_cbranch_execz .LBB2_728
; %bb.393:
	v_mov_b64_e32 v[24:25], 0
	s_mov_b32 s14, exec_lo
	v_cmpx_ne_u64_e32 0, v[4:5]
	s_cbranch_execz .LBB2_727
; %bb.394:
	v_dual_ashrrev_i32 v21, 31, v20 :: v_dual_bitop2_b32 v10, 31, v31 bitop3:0x40
	v_dual_mov_b32 v33, 0 :: v_dual_bitop2_b32 v82, 31, v0 bitop3:0x40
	v_lshrrev_b32_e32 v34, 5, v1
	s_lshr_b32 s2, s10, 27
	s_delay_alu instid0(VALU_DEP_3) | instskip(NEXT) | instid1(VALU_DEP_3)
	v_cmp_eq_u32_e64 s4, 0, v10
	v_dual_mov_b32 v37, v33 :: v_dual_lshlrev_b32 v10, 1, v1
	v_cmp_eq_u32_e32 vcc_lo, 32, v1
	v_mov_b64_e32 v[52:53], 0
	v_mov_b64_e32 v[24:25], 0
	v_cmp_ge_u32_e64 s1, v0, v1
	s_add_co_i32 s7, s10, s2
	v_cmp_ne_u32_e64 s2, 32, v1
	v_cmp_ne_u32_e64 s3, v1, v86
	v_mov_b32_e32 v35, v33
	v_cmp_le_u32_e64 s5, v82, v38
	v_cmp_eq_u32_e64 s6, 0, v82
	v_dual_lshrrev_b32 v83, 5, v0 :: v_dual_lshlrev_b32 v36, 4, v0
	v_dual_mov_b32 v39, v33 :: v_dual_lshlrev_b32 v38, 9, v34
	v_dual_mov_b32 v49, v33 :: v_dual_lshlrev_b32 v48, 8, v34
	v_and_b32_e32 v50, 0x3fc0, v10
	v_dual_mov_b32 v51, v33 :: v_dual_mov_b32 v84, 1
	s_ashr_i32 s16, s7, 5
	s_mov_b32 s15, 0
	s_xor_b32 s17, vcc_lo, -1
	s_trap 2
	s_branch .LBB2_397
.LBB2_395:                              ;   in Loop: Header=BB2_397 Depth=1
	s_wait_xcnt 0x0
	s_or_b32 exec_lo, exec_lo, s7
.LBB2_396:                              ;   in Loop: Header=BB2_397 Depth=1
	s_delay_alu instid0(SALU_CYCLE_1) | instskip(SKIP_1) | instid1(VALU_DEP_1)
	s_or_b32 exec_lo, exec_lo, s19
	v_add_nc_u64_e32 v[52:53], v[52:53], v[28:29]
	v_cmp_ge_u64_e32 vcc_lo, v[52:53], v[4:5]
	s_or_b32 s15, vcc_lo, s15
	s_delay_alu instid0(SALU_CYCLE_1)
	s_and_not1_b32 exec_lo, exec_lo, s15
	s_cbranch_execz .LBB2_726
.LBB2_397:                              ; =>This Loop Header: Depth=1
                                        ;     Child Loop BB2_406 Depth 2
                                        ;     Child Loop BB2_430 Depth 2
	;; [unrolled: 1-line block ×10, first 2 shown]
	v_sub_nc_u64_e32 v[10:11], v[4:5], v[52:53]
	v_mov_b32_e32 v64, 0
	s_delay_alu instid0(VALU_DEP_2) | instskip(NEXT) | instid1(VALU_DEP_1)
	v_min_u64 v[54:55], v[28:29], v[10:11]
	v_add_nc_u32_e32 v10, 15, v54
	s_delay_alu instid0(VALU_DEP_2) | instskip(NEXT) | instid1(VALU_DEP_2)
	v_cmp_eq_u64_e32 vcc_lo, 0, v[54:55]
	v_and_b32_e32 v10, 0x3ffffff0, v10
	s_or_b32 s18, s1, vcc_lo
	s_delay_alu instid0(SALU_CYCLE_1) | instskip(NEXT) | instid1(VALU_DEP_1)
	s_xor_b32 s7, s18, -1
	v_max_i32_e32 v55, s16, v10
	s_and_saveexec_b32 s19, s7
	s_cbranch_execz .LBB2_680
; %bb.398:                              ;   in Loop: Header=BB2_397 Depth=1
	s_and_saveexec_b32 s7, s0
	s_cbranch_execz .LBB2_400
; %bb.399:                              ;   in Loop: Header=BB2_397 Depth=1
	s_trap 2
	ds_load_b64 v[64:65], v0
	ds_load_2addr_b64 v[10:13], v0 offset1:1
	v_add_nc_u64_e32 v[66:67], v[52:53], v[14:15]
	s_delay_alu instid0(VALU_DEP_1) | instskip(SKIP_1) | instid1(VALU_DEP_1)
	v_lshlrev_b64_e32 v[66:67], 1, v[66:67]
	s_wait_dscnt 0x1
	v_add_nc_u64_e32 v[68:69], v[64:65], v[66:67]
	v_cmp_ne_u64_e32 vcc_lo, 0, v[64:65]
	s_wait_dscnt 0x0
	v_add_nc_u64_e32 v[10:11], v[10:11], v[66:67]
	v_add_nc_u64_e32 v[12:13], v[12:13], v[66:67]
	s_delay_alu instid0(VALU_DEP_4)
	v_dual_cndmask_b32 v65, 0, v69 :: v_dual_cndmask_b32 v64, 0, v68
	ds_store_b64 v0, v[10:11]
	ds_store_b64 v0, v[12:13]
	;; [unrolled: 1-line block ×3, first 2 shown]
.LBB2_400:                              ;   in Loop: Header=BB2_397 Depth=1
	s_or_b32 exec_lo, exec_lo, s7
	v_and_b32_e32 v10, 4, v30
	s_mov_b32 s20, exec_lo
	s_delay_alu instid0(VALU_DEP_1)
	v_cmpx_ne_u32_e32 0, v10
	s_cbranch_execz .LBB2_422
; %bb.401:                              ;   in Loop: Header=BB2_397 Depth=1
	v_add_nc_u64_e32 v[10:11], 1, v[8:9]
	s_mov_b32 s21, exec_lo
	s_wait_loadcnt 0x0
	s_delay_alu instid0(VALU_DEP_1)
	v_cmpx_lt_u64_e64 v[26:27], v[10:11]
	s_cbranch_execz .LBB2_413
; %bb.402:                              ;   in Loop: Header=BB2_397 Depth=1
	v_and_b32_e32 v9, 64, v30
	s_mov_b32 s22, 0
	s_mov_b32 s26, 0
                                        ; implicit-def: $sgpr23
                                        ; implicit-def: $sgpr24
                                        ; implicit-def: $sgpr25
	s_delay_alu instid0(VALU_DEP_1)
	v_cmp_eq_u32_e32 vcc_lo, 0, v9
	s_branch .LBB2_406
.LBB2_403:                              ;   in Loop: Header=BB2_406 Depth=2
	s_wait_loadcnt_dscnt 0x0
	v_cmp_ge_u64_e64 s7, v[26:27], v[10:11]
	s_or_b32 s29, s29, exec_lo
	s_or_not1_b32 s28, s7, exec_lo
.LBB2_404:                              ;   in Loop: Header=BB2_406 Depth=2
	s_or_b32 exec_lo, exec_lo, s41
	s_delay_alu instid0(SALU_CYCLE_1)
	s_and_not1_b32 s7, s25, exec_lo
	s_and_b32 s25, s29, exec_lo
	s_and_not1_b32 s24, s24, exec_lo
	s_and_b32 s28, s28, exec_lo
	s_or_b32 s25, s7, s25
	s_or_b32 s24, s24, s28
.LBB2_405:                              ;   in Loop: Header=BB2_406 Depth=2
	s_or_b32 exec_lo, exec_lo, s27
	s_delay_alu instid0(SALU_CYCLE_1) | instskip(NEXT) | instid1(SALU_CYCLE_1)
	s_and_b32 s7, exec_lo, s24
	s_or_b32 s22, s7, s22
	s_and_not1_b32 s7, s23, exec_lo
	s_and_b32 s23, s25, exec_lo
	s_delay_alu instid0(SALU_CYCLE_1)
	s_or_b32 s23, s7, s23
	s_and_not1_b32 exec_lo, exec_lo, s22
	s_cbranch_execz .LBB2_410
.LBB2_406:                              ;   Parent Loop BB2_397 Depth=1
                                        ; =>  This Inner Loop Header: Depth=2
	s_sleep 1
	s_wait_loadcnt_dscnt 0x0
	flat_load_b64 v[26:27], v[18:19] scope:SCOPE_SYS
	s_or_b32 s25, s25, exec_lo
	s_or_b32 s24, s24, exec_lo
                                        ; implicit-def: $vgpr9
	s_wait_xcnt 0x0
	s_and_saveexec_b32 s27, vcc_lo
	s_cbranch_execz .LBB2_405
; %bb.407:                              ;   in Loop: Header=BB2_406 Depth=2
	s_cmp_lt_i32 s26, 0x270f
	s_mov_b32 s28, -1
	s_cselect_b32 s40, -1, 0
	s_cmp_gt_i32 s26, 0x270e
	s_cbranch_scc0 .LBB2_409
; %bb.408:                              ;   in Loop: Header=BB2_406 Depth=2
	s_trap 2
	ds_load_b64 v[12:13], v0
	s_and_not1_b32 s26, s40, exec_lo
	s_mov_b32 s29, 0
	s_wait_storecnt 0x0
	s_wait_loadcnt_dscnt 0x0
	flat_load_b32 v9, v[12:13] scope:SCOPE_SYS
	s_wait_loadcnt_dscnt 0x0
	global_inv scope:SCOPE_SYS
	v_cmp_eq_u32_e64 s7, 0, v9
	s_and_b32 s7, s7, exec_lo
	s_delay_alu instid0(SALU_CYCLE_1)
	s_or_b32 s40, s26, s7
	s_mov_b32 s26, 0
	s_and_saveexec_b32 s41, s40
	s_cbranch_execz .LBB2_404
	s_branch .LBB2_403
.LBB2_409:                              ;   in Loop: Header=BB2_406 Depth=2
	s_add_co_i32 s26, s26, 1
	s_mov_b32 s29, -1
                                        ; implicit-def: $vgpr9
	s_and_saveexec_b32 s41, s40
	s_cbranch_execz .LBB2_404
	s_branch .LBB2_403
.LBB2_410:                              ;   in Loop: Header=BB2_397 Depth=1
	s_or_b32 exec_lo, exec_lo, s22
	s_xor_b32 s7, s23, -1
	s_delay_alu instid0(SALU_CYCLE_1) | instskip(NEXT) | instid1(SALU_CYCLE_1)
	s_and_saveexec_b32 s22, s7
	s_xor_b32 s7, exec_lo, s22
	s_cbranch_execz .LBB2_412
; %bb.411:                              ;   in Loop: Header=BB2_397 Depth=1
	v_or_b32_e32 v30, 64, v30
	s_wait_storecnt 0x0
	s_wait_loadcnt_dscnt 0x0
	ds_store_b32 v0, v9
	s_trap 2
.LBB2_412:                              ;   in Loop: Header=BB2_397 Depth=1
	s_or_b32 exec_lo, exec_lo, s7
.LBB2_413:                              ;   in Loop: Header=BB2_397 Depth=1
	s_delay_alu instid0(SALU_CYCLE_1) | instskip(SKIP_4) | instid1(VALU_DEP_2)
	s_or_b32 exec_lo, exec_lo, s21
	v_and_b32_e32 v9, 0x100, v30
	v_and_b32_e32 v32, 7, v8
	s_mov_b32 s7, -1
	;;#ASMSTART
	s_wakeup
	;;#ASMEND
	v_cmp_ne_u32_e32 vcc_lo, 0, v9
                                        ; implicit-def: $vgpr8_vgpr9
	s_and_saveexec_b32 s21, vcc_lo
	s_cbranch_execz .LBB2_417
; %bb.414:                              ;   in Loop: Header=BB2_397 Depth=1
	v_mad_nc_u64_u32 v[12:13], v32, 24, v[6:7]
	flat_load_b32 v8, v[12:13]
	s_wait_loadcnt_dscnt 0x0
	v_cmp_eq_u32_e64 s7, 1, v8
	v_cmp_ne_u32_e32 vcc_lo, 1, v8
                                        ; implicit-def: $vgpr8_vgpr9
	s_wait_xcnt 0x0
	s_and_saveexec_b32 s22, s7
	s_cbranch_execz .LBB2_416
; %bb.415:                              ;   in Loop: Header=BB2_397 Depth=1
	flat_load_b32 v8, v[12:13] offset:4 scope:SCOPE_SYS
	s_wait_loadcnt_dscnt 0x0
	v_ashrrev_i32_e32 v9, 31, v8
	s_delay_alu instid0(VALU_DEP_1)
	v_lshrrev_b64 v[8:9], 1, v[8:9]
.LBB2_416:                              ;   in Loop: Header=BB2_397 Depth=1
	s_wait_xcnt 0x0
	s_or_b32 exec_lo, exec_lo, s22
	s_delay_alu instid0(SALU_CYCLE_1)
	s_or_not1_b32 s7, vcc_lo, exec_lo
.LBB2_417:                              ;   in Loop: Header=BB2_397 Depth=1
	s_or_b32 exec_lo, exec_lo, s21
	s_and_saveexec_b32 s21, s7
; %bb.418:                              ;   in Loop: Header=BB2_397 Depth=1
	v_mul_u64_e32 v[8:9], v[32:33], v[20:21]
; %bb.419:                              ;   in Loop: Header=BB2_397 Depth=1
	s_or_b32 exec_lo, exec_lo, s21
	v_and_b32_e32 v12, 0x2000, v30
	s_delay_alu instid0(VALU_DEP_2)
	v_lshl_add_u64 v[8:9], v[8:9], 1, v[22:23]
	s_mov_b32 s7, exec_lo
	ds_store_b64 v0, v[8:9] offset:728
	v_cmpx_ne_u32_e32 0, v12
	s_cbranch_execz .LBB2_421
; %bb.420:                              ;   in Loop: Header=BB2_397 Depth=1
	ds_load_b64 v[8:9], v0 offset:872
	s_wait_dscnt 0x0
	v_add_nc_u64_e32 v[8:9], 1, v[8:9]
	ds_store_b64 v0, v[8:9] offset:872
.LBB2_421:                              ;   in Loop: Header=BB2_397 Depth=1
	s_or_b32 exec_lo, exec_lo, s7
	v_mov_b64_e32 v[8:9], v[10:11]
.LBB2_422:                              ;   in Loop: Header=BB2_397 Depth=1
	s_or_b32 exec_lo, exec_lo, s20
	s_and_saveexec_b32 s7, s2
	s_cbranch_execz .LBB2_441
; %bb.423:                              ;   in Loop: Header=BB2_397 Depth=1
	s_and_saveexec_b32 s20, s3
	s_delay_alu instid0(SALU_CYCLE_1)
	s_xor_b32 s20, exec_lo, s20
	s_cbranch_execz .LBB2_438
; %bb.424:                              ;   in Loop: Header=BB2_397 Depth=1
	s_and_saveexec_b32 s21, s4
	s_cbranch_execz .LBB2_437
; %bb.425:                              ;   in Loop: Header=BB2_397 Depth=1
	s_mov_b32 s23, exec_lo
	s_mov_b32 s22, exec_lo
	v_mbcnt_lo_u32_b32 v10, s23, 0
	global_wb scope:SCOPE_DEV
	s_wait_storecnt 0x0
	s_wait_loadcnt_dscnt 0x0
	global_inv scope:SCOPE_DEV
	v_cmpx_eq_u32_e32 0, v10
	s_cbranch_execz .LBB2_427
; %bb.426:                              ;   in Loop: Header=BB2_397 Depth=1
	s_bcnt1_i32_b32 s23, s23
	s_delay_alu instid0(SALU_CYCLE_1)
	v_mov_b32_e32 v32, s23
	s_wait_loadcnt 0x0
	ds_add_u64 v0, v[32:33]
	s_trap 2
.LBB2_427:                              ;   in Loop: Header=BB2_397 Depth=1
	s_or_b32 exec_lo, exec_lo, s22
	s_trap 2
	ds_load_b64 v[10:11], v0
	s_wait_dscnt 0x0
	v_add_nc_u64_e32 v[24:25], v[24:25], v[34:35]
	s_mov_b32 s22, exec_lo
	s_delay_alu instid0(VALU_DEP_1)
	v_cmpx_lt_u64_e64 v[10:11], v[24:25]
	s_cbranch_execz .LBB2_436
; %bb.428:                              ;   in Loop: Header=BB2_397 Depth=1
	s_mov_b32 s23, 0
	s_mov_b32 s26, 0
                                        ; implicit-def: $sgpr24
                                        ; implicit-def: $sgpr25
	s_branch .LBB2_430
.LBB2_429:                              ;   in Loop: Header=BB2_430 Depth=2
	s_or_b32 exec_lo, exec_lo, s28
	s_delay_alu instid0(SALU_CYCLE_1) | instskip(NEXT) | instid1(SALU_CYCLE_1)
	s_and_b32 s27, exec_lo, s29
	s_or_b32 s23, s27, s23
	s_and_not1_b32 s24, s24, exec_lo
	s_and_b32 s27, s25, exec_lo
	s_delay_alu instid0(SALU_CYCLE_1)
	s_or_b32 s24, s24, s27
	s_and_not1_b32 exec_lo, exec_lo, s23
	s_cbranch_execz .LBB2_434
.LBB2_430:                              ;   Parent Loop BB2_397 Depth=1
                                        ; =>  This Inner Loop Header: Depth=2
	s_add_co_i32 s26, s26, 1
	s_delay_alu instid0(SALU_CYCLE_1) | instskip(SKIP_1) | instid1(SALU_CYCLE_1)
	s_cmp_lg_u32 s26, 0x2710
	s_cselect_b32 s27, -1, 0
	s_and_b32 vcc_lo, exec_lo, s27
	s_cbranch_vccz .LBB2_432
; %bb.431:                              ;   in Loop: Header=BB2_430 Depth=2
	s_mov_b32 s29, -1
	s_or_b32 s25, s25, exec_lo
	s_and_saveexec_b32 s28, s27
	s_cbranch_execz .LBB2_429
	s_branch .LBB2_433
.LBB2_432:                              ;   in Loop: Header=BB2_430 Depth=2
	s_trap 2
	ds_load_b64 v[10:11], v0
	s_and_not1_b32 s27, s27, exec_lo
	s_mov_b32 s26, 0
	s_wait_loadcnt_dscnt 0x0
	flat_load_b32 v10, v[10:11] scope:SCOPE_SYS
	s_wait_loadcnt_dscnt 0x0
	global_inv scope:SCOPE_SYS
	v_cmp_eq_u32_e32 vcc_lo, 0, v10
	s_and_b32 s28, vcc_lo, exec_lo
	s_delay_alu instid0(SALU_CYCLE_1)
	s_or_b32 s27, s27, s28
	s_mov_b32 s29, -1
	s_or_b32 s25, s25, exec_lo
	s_and_saveexec_b32 s28, s27
	s_cbranch_execz .LBB2_429
.LBB2_433:                              ;   in Loop: Header=BB2_430 Depth=2
	s_sleep 1
	s_trap 2
	ds_load_b64 v[10:11], v0
	s_wait_dscnt 0x0
	s_and_not1_b32 s25, s25, exec_lo
	v_cmp_ge_u64_e32 vcc_lo, v[10:11], v[24:25]
	s_or_not1_b32 s29, vcc_lo, exec_lo
	s_branch .LBB2_429
.LBB2_434:                              ;   in Loop: Header=BB2_397 Depth=1
	s_or_b32 exec_lo, exec_lo, s23
	s_and_saveexec_b32 s23, s24
	s_delay_alu instid0(SALU_CYCLE_1)
	s_xor_b32 s23, exec_lo, s23
	s_cbranch_execz .LBB2_436
; %bb.435:                              ;   in Loop: Header=BB2_397 Depth=1
	ds_store_b32 v0, v84
	s_trap 2
.LBB2_436:                              ;   in Loop: Header=BB2_397 Depth=1
	s_or_b32 exec_lo, exec_lo, s22
	;;#ASMSTART
	s_wakeup
	;;#ASMEND
.LBB2_437:                              ;   in Loop: Header=BB2_397 Depth=1
	s_or_b32 exec_lo, exec_lo, s21
.LBB2_438:                              ;   in Loop: Header=BB2_397 Depth=1
	s_and_not1_saveexec_b32 s20, s20
	s_cbranch_execz .LBB2_440
; %bb.439:                              ;   in Loop: Header=BB2_397 Depth=1
	global_wb scope:SCOPE_DEV
	s_wait_storecnt 0x0
	s_wait_loadcnt_dscnt 0x0
	global_inv scope:SCOPE_DEV
	s_barrier_signal -1
	s_barrier_wait -1
.LBB2_440:                              ;   in Loop: Header=BB2_397 Depth=1
	s_or_b32 exec_lo, exec_lo, s20
.LBB2_441:                              ;   in Loop: Header=BB2_397 Depth=1
	s_delay_alu instid0(SALU_CYCLE_1) | instskip(SKIP_3) | instid1(VALU_DEP_1)
	s_or_b32 exec_lo, exec_lo, s7
	s_trap 2
	ds_load_b32 v10, v0
	v_and_b32_e32 v11, 0x4000, v30
	v_cmp_ne_u32_e32 vcc_lo, 0, v11
	s_and_b32 s20, s17, vcc_lo
	s_delay_alu instid0(SALU_CYCLE_1)
	s_and_saveexec_b32 s7, s20
	s_cbranch_execz .LBB2_460
; %bb.442:                              ;   in Loop: Header=BB2_397 Depth=1
	s_and_saveexec_b32 s20, s3
	s_delay_alu instid0(SALU_CYCLE_1)
	s_xor_b32 s20, exec_lo, s20
	s_cbranch_execz .LBB2_457
; %bb.443:                              ;   in Loop: Header=BB2_397 Depth=1
	s_and_saveexec_b32 s21, s4
	s_cbranch_execz .LBB2_456
; %bb.444:                              ;   in Loop: Header=BB2_397 Depth=1
	s_mov_b32 s23, exec_lo
	s_mov_b32 s22, exec_lo
	v_mbcnt_lo_u32_b32 v11, s23, 0
	global_wb scope:SCOPE_DEV
	s_wait_storecnt 0x0
	s_wait_loadcnt_dscnt 0x0
	global_inv scope:SCOPE_DEV
	v_cmpx_eq_u32_e32 0, v11
	s_cbranch_execz .LBB2_446
; %bb.445:                              ;   in Loop: Header=BB2_397 Depth=1
	s_bcnt1_i32_b32 s23, s23
	s_delay_alu instid0(SALU_CYCLE_1)
	v_mov_b32_e32 v32, s23
	s_wait_loadcnt 0x0
	ds_add_u64 v0, v[32:33]
	s_trap 2
.LBB2_446:                              ;   in Loop: Header=BB2_397 Depth=1
	s_or_b32 exec_lo, exec_lo, s22
	s_trap 2
	ds_load_b64 v[12:13], v0
	s_wait_dscnt 0x0
	v_add_nc_u64_e32 v[24:25], v[24:25], v[34:35]
	s_mov_b32 s22, exec_lo
	s_delay_alu instid0(VALU_DEP_1)
	v_cmpx_lt_u64_e64 v[12:13], v[24:25]
	s_cbranch_execz .LBB2_455
; %bb.447:                              ;   in Loop: Header=BB2_397 Depth=1
	s_mov_b32 s23, 0
	s_mov_b32 s26, 0
                                        ; implicit-def: $sgpr24
                                        ; implicit-def: $sgpr25
	s_branch .LBB2_449
.LBB2_448:                              ;   in Loop: Header=BB2_449 Depth=2
	s_or_b32 exec_lo, exec_lo, s28
	s_delay_alu instid0(SALU_CYCLE_1) | instskip(NEXT) | instid1(SALU_CYCLE_1)
	s_and_b32 s27, exec_lo, s29
	s_or_b32 s23, s27, s23
	s_and_not1_b32 s24, s24, exec_lo
	s_and_b32 s27, s25, exec_lo
	s_delay_alu instid0(SALU_CYCLE_1)
	s_or_b32 s24, s24, s27
	s_and_not1_b32 exec_lo, exec_lo, s23
	s_cbranch_execz .LBB2_453
.LBB2_449:                              ;   Parent Loop BB2_397 Depth=1
                                        ; =>  This Inner Loop Header: Depth=2
	s_add_co_i32 s26, s26, 1
	s_delay_alu instid0(SALU_CYCLE_1) | instskip(SKIP_1) | instid1(SALU_CYCLE_1)
	s_cmp_lg_u32 s26, 0x2710
	s_cselect_b32 s27, -1, 0
	s_and_b32 vcc_lo, exec_lo, s27
	s_cbranch_vccz .LBB2_451
; %bb.450:                              ;   in Loop: Header=BB2_449 Depth=2
	s_mov_b32 s29, -1
	s_or_b32 s25, s25, exec_lo
	s_and_saveexec_b32 s28, s27
	s_cbranch_execz .LBB2_448
	s_branch .LBB2_452
.LBB2_451:                              ;   in Loop: Header=BB2_449 Depth=2
	s_trap 2
	ds_load_b64 v[12:13], v0
	s_and_not1_b32 s27, s27, exec_lo
	s_mov_b32 s26, 0
	s_wait_loadcnt_dscnt 0x0
	flat_load_b32 v11, v[12:13] scope:SCOPE_SYS
	s_wait_loadcnt_dscnt 0x0
	global_inv scope:SCOPE_SYS
	v_cmp_eq_u32_e32 vcc_lo, 0, v11
	s_and_b32 s28, vcc_lo, exec_lo
	s_delay_alu instid0(SALU_CYCLE_1)
	s_or_b32 s27, s27, s28
	s_mov_b32 s29, -1
	s_or_b32 s25, s25, exec_lo
	s_and_saveexec_b32 s28, s27
	s_cbranch_execz .LBB2_448
.LBB2_452:                              ;   in Loop: Header=BB2_449 Depth=2
	s_sleep 1
	s_trap 2
	ds_load_b64 v[12:13], v0
	s_wait_dscnt 0x0
	s_and_not1_b32 s25, s25, exec_lo
	v_cmp_ge_u64_e32 vcc_lo, v[12:13], v[24:25]
	s_or_not1_b32 s29, vcc_lo, exec_lo
	s_branch .LBB2_448
.LBB2_453:                              ;   in Loop: Header=BB2_397 Depth=1
	s_or_b32 exec_lo, exec_lo, s23
	s_and_saveexec_b32 s23, s24
	s_delay_alu instid0(SALU_CYCLE_1)
	s_xor_b32 s23, exec_lo, s23
	s_cbranch_execz .LBB2_455
; %bb.454:                              ;   in Loop: Header=BB2_397 Depth=1
	ds_store_b32 v0, v84
	s_trap 2
.LBB2_455:                              ;   in Loop: Header=BB2_397 Depth=1
	s_or_b32 exec_lo, exec_lo, s22
	;;#ASMSTART
	s_wakeup
	;;#ASMEND
.LBB2_456:                              ;   in Loop: Header=BB2_397 Depth=1
	s_or_b32 exec_lo, exec_lo, s21
.LBB2_457:                              ;   in Loop: Header=BB2_397 Depth=1
	s_and_not1_saveexec_b32 s20, s20
	s_cbranch_execz .LBB2_459
; %bb.458:                              ;   in Loop: Header=BB2_397 Depth=1
	global_wb scope:SCOPE_DEV
	s_wait_storecnt 0x0
	s_wait_loadcnt_dscnt 0x0
	global_inv scope:SCOPE_DEV
	s_barrier_signal -1
	s_barrier_wait -1
.LBB2_459:                              ;   in Loop: Header=BB2_397 Depth=1
	s_or_b32 exec_lo, exec_lo, s20
.LBB2_460:                              ;   in Loop: Header=BB2_397 Depth=1
	s_delay_alu instid0(SALU_CYCLE_1)
	s_or_b32 exec_lo, exec_lo, s7
	s_trap 2
	ds_load_b64 v[64:65], v0
	v_min_u32_e32 v55, v55, v54
	s_wait_dscnt 0x0
	v_cmp_eq_u64_e32 vcc_lo, 0, v[64:65]
	s_cbranch_vccnz .LBB2_468
; %bb.461:                              ;   in Loop: Header=BB2_397 Depth=1
	s_trap 2
	ds_load_b64 v[66:67], v0
	s_wait_dscnt 0x0
	v_cmp_eq_u64_e32 vcc_lo, 0, v[66:67]
	s_cbranch_vccnz .LBB2_468
; %bb.462:                              ;   in Loop: Header=BB2_397 Depth=1
	s_mov_b32 s7, -1
	s_and_saveexec_b32 s20, s5
	s_cbranch_execz .LBB2_464
; %bb.463:                              ;   in Loop: Header=BB2_397 Depth=1
	ds_load_b32 v11, v0 offset:720
	s_wait_dscnt 0x0
	v_and_b32_e32 v11, 15, v11
	s_delay_alu instid0(VALU_DEP_1)
	v_cmp_eq_u32_e32 vcc_lo, 0, v11
	s_or_not1_b32 s7, vcc_lo, exec_lo
.LBB2_464:                              ;   in Loop: Header=BB2_397 Depth=1
	s_or_b32 exec_lo, exec_lo, s20
	s_and_saveexec_b32 s20, s6
	s_cbranch_execz .LBB2_466
; %bb.465:                              ;   in Loop: Header=BB2_397 Depth=1
	ds_load_b32 v11, v0 offset:784
	s_wait_dscnt 0x0
	v_and_b32_e32 v11, 15, v11
	s_delay_alu instid0(VALU_DEP_1) | instskip(SKIP_3) | instid1(SALU_CYCLE_1)
	v_cmp_eq_u32_e32 vcc_lo, 0, v11
	s_and_b32 s21, s7, vcc_lo
	s_and_not1_b32 s7, s7, exec_lo
	s_and_b32 s21, s21, exec_lo
	s_or_b32 s7, s7, s21
.LBB2_466:                              ;   in Loop: Header=BB2_397 Depth=1
	s_or_b32 exec_lo, exec_lo, s20
	v_cmp_eq_u32_e32 vcc_lo, 0, v10
	s_xor_b32 s7, s7, -1
	s_mov_b32 s21, -1
	v_cndmask_b32_e64 v11, 0, 1, s7
	v_dual_mov_b32 v70, 0 :: v_dual_cndmask_b32 v32, 0, v55, vcc_lo
	s_delay_alu instid0(VALU_DEP_2) | instskip(NEXT) | instid1(VALU_DEP_2)
	v_cmp_ne_u32_e32 vcc_lo, 0, v11
	v_lshlrev_b32_e32 v85, 1, v32
	s_cbranch_vccz .LBB2_469
; %bb.467:                              ;   in Loop: Header=BB2_397 Depth=1
	v_mov_b32_e32 v71, v0
	s_and_saveexec_b32 s7, s21
	s_cbranch_execnz .LBB2_608
	s_branch .LBB2_656
.LBB2_468:                              ;   in Loop: Header=BB2_397 Depth=1
	s_mov_b32 s7, 0
	s_and_saveexec_b32 s20, s2
	s_cbranch_execnz .LBB2_657
	s_branch .LBB2_675
.LBB2_469:                              ;   in Loop: Header=BB2_397 Depth=1
	v_lshrrev_b32_e32 v10, 8, v32
	s_delay_alu instid0(VALU_DEP_2) | instskip(SKIP_1) | instid1(VALU_DEP_2)
	v_sub_nc_u32_e32 v96, v85, v36
	s_mov_b32 s20, exec_lo
	v_lshlrev_b32_e32 v87, 9, v10
	s_delay_alu instid0(VALU_DEP_1) | instskip(SKIP_1) | instid1(VALU_DEP_2)
	v_sub_nc_u32_e32 v97, v85, v87
	v_sub_nc_u32_e32 v10, v10, v83
	v_cmp_lt_i32_e32 vcc_lo, 15, v97
	s_delay_alu instid0(VALU_DEP_2)
	v_add_co_ci_u32_e64 v98, null, 0, v10, vcc_lo
	v_cmpx_lt_i32_e32 15, v96
	s_cbranch_execz .LBB2_537
; %bb.470:                              ;   in Loop: Header=BB2_397 Depth=1
	s_trap 2
	ds_load_b64 v[10:11], v0
	ds_load_b32 v12, v0
	v_add_nc_u64_e32 v[68:69], v[64:65], v[36:37]
	v_add_nc_u64_e32 v[80:81], v[66:67], v[36:37]
	s_mov_b32 s21, 0
	s_wait_dscnt 0x1
	v_add_nc_u64_e32 v[70:71], v[10:11], v[36:37]
	s_wait_dscnt 0x0
	v_lshlrev_b32_e32 v99, 16, v12
	s_branch .LBB2_472
.LBB2_471:                              ;   in Loop: Header=BB2_472 Depth=2
	s_or_b32 exec_lo, exec_lo, s22
	v_dual_lshrrev_b32 v100, 16, v114 :: v_dual_lshrrev_b32 v101, 16, v101
	v_dual_lshrrev_b32 v103, 16, v112 :: v_dual_lshrrev_b32 v102, 16, v102
	v_sub_nc_u32_e32 v96, v96, v38
	s_delay_alu instid0(VALU_DEP_3) | instskip(NEXT) | instid1(VALU_DEP_4)
	v_and_or_b32 v11, 0xffff0000, v11, v100
	v_and_or_b32 v10, 0xffff0000, v10, v101
	s_delay_alu instid0(VALU_DEP_4)
	v_and_or_b32 v12, 0xffff0000, v12, v103
	v_and_or_b32 v13, 0xffff0000, v13, v102
	v_add_nc_u64_e32 v[68:69], v[68:69], v[38:39]
	v_add_nc_u64_e32 v[70:71], v[70:71], v[38:39]
	v_cmp_gt_i32_e64 s7, 16, v96
	v_sub_nc_u32_e32 v98, v98, v34
	global_store_b128 v[80:81], v[10:13], off th:TH_STORE_NT
	s_wait_xcnt 0x0
	v_add_nc_u64_e32 v[80:81], v[80:81], v[38:39]
	s_or_b32 s21, s7, s21
	s_delay_alu instid0(SALU_CYCLE_1)
	s_and_not1_b32 exec_lo, exec_lo, s21
	s_cbranch_execz .LBB2_536
.LBB2_472:                              ;   Parent Loop BB2_397 Depth=1
                                        ; =>  This Inner Loop Header: Depth=2
	global_load_b128 v[10:13], v[68:69], off th:TH_LOAD_NT
	s_wait_loadcnt 0x0
	v_lshlrev_b32_e32 v100, 16, v10
	s_delay_alu instid0(VALU_DEP_1) | instskip(NEXT) | instid1(VALU_DEP_1)
	v_mul_f32_e32 v100, v99, v100
	v_and_b32_e32 v101, 0x7f800000, v100
	s_delay_alu instid0(VALU_DEP_1) | instskip(SKIP_2) | instid1(SALU_CYCLE_1)
	v_cmp_ne_u32_e64 s7, 0x7f800000, v101
                                        ; implicit-def: $vgpr101
	s_wait_xcnt 0x0
	s_and_saveexec_b32 s22, s7
	s_xor_b32 s7, exec_lo, s22
; %bb.473:                              ;   in Loop: Header=BB2_472 Depth=2
	v_bfe_u32 v101, v100, 16, 1
	s_delay_alu instid0(VALU_DEP_1)
	v_add3_u32 v101, v100, v101, 0x7fff
                                        ; implicit-def: $vgpr100
; %bb.474:                              ;   in Loop: Header=BB2_472 Depth=2
	s_and_not1_saveexec_b32 s22, s7
; %bb.475:                              ;   in Loop: Header=BB2_472 Depth=2
	v_and_b32_e32 v101, 0xffff, v100
	v_or_b32_e32 v102, 0x10000, v100
	s_delay_alu instid0(VALU_DEP_2) | instskip(NEXT) | instid1(VALU_DEP_1)
	v_cmp_eq_u32_e64 s7, 0, v101
	v_cndmask_b32_e64 v101, v102, v100, s7
; %bb.476:                              ;   in Loop: Header=BB2_472 Depth=2
	s_or_b32 exec_lo, exec_lo, s22
	v_and_b32_e32 v10, 0xffff0000, v10
                                        ; implicit-def: $vgpr115
	s_delay_alu instid0(VALU_DEP_1) | instskip(NEXT) | instid1(VALU_DEP_1)
	v_mul_f32_e32 v10, v99, v10
	v_and_b32_e32 v100, 0x7f800000, v10
	s_delay_alu instid0(VALU_DEP_1) | instskip(SKIP_1) | instid1(SALU_CYCLE_1)
	v_cmp_ne_u32_e64 s7, 0x7f800000, v100
	s_and_saveexec_b32 s22, s7
	s_xor_b32 s7, exec_lo, s22
; %bb.477:                              ;   in Loop: Header=BB2_472 Depth=2
	v_bfe_u32 v100, v10, 16, 1
	s_delay_alu instid0(VALU_DEP_1)
	v_add3_u32 v115, v10, v100, 0x7fff
                                        ; implicit-def: $vgpr10
; %bb.478:                              ;   in Loop: Header=BB2_472 Depth=2
	s_and_not1_saveexec_b32 s22, s7
; %bb.479:                              ;   in Loop: Header=BB2_472 Depth=2
	v_and_b32_e32 v100, 0xffff, v10
	v_or_b32_e32 v102, 0x10000, v10
	s_delay_alu instid0(VALU_DEP_2) | instskip(NEXT) | instid1(VALU_DEP_1)
	v_cmp_eq_u32_e64 s7, 0, v100
	v_cndmask_b32_e64 v115, v102, v10, s7
; %bb.480:                              ;   in Loop: Header=BB2_472 Depth=2
	s_or_b32 exec_lo, exec_lo, s22
	v_lshlrev_b32_e32 v10, 16, v11
                                        ; implicit-def: $vgpr114
	s_delay_alu instid0(VALU_DEP_1) | instskip(NEXT) | instid1(VALU_DEP_1)
	v_mul_f32_e32 v10, v99, v10
	v_and_b32_e32 v100, 0x7f800000, v10
	s_delay_alu instid0(VALU_DEP_1) | instskip(SKIP_1) | instid1(SALU_CYCLE_1)
	v_cmp_ne_u32_e64 s7, 0x7f800000, v100
	s_and_saveexec_b32 s22, s7
	s_xor_b32 s7, exec_lo, s22
; %bb.481:                              ;   in Loop: Header=BB2_472 Depth=2
	v_bfe_u32 v100, v10, 16, 1
	s_delay_alu instid0(VALU_DEP_1)
	v_add3_u32 v114, v10, v100, 0x7fff
                                        ; implicit-def: $vgpr10
; %bb.482:                              ;   in Loop: Header=BB2_472 Depth=2
	s_and_not1_saveexec_b32 s22, s7
; %bb.483:                              ;   in Loop: Header=BB2_472 Depth=2
	v_and_b32_e32 v100, 0xffff, v10
	v_or_b32_e32 v102, 0x10000, v10
	s_delay_alu instid0(VALU_DEP_2) | instskip(NEXT) | instid1(VALU_DEP_1)
	v_cmp_eq_u32_e64 s7, 0, v100
	v_cndmask_b32_e64 v114, v102, v10, s7
; %bb.484:                              ;   in Loop: Header=BB2_472 Depth=2
	s_or_b32 exec_lo, exec_lo, s22
	v_and_b32_e32 v10, 0xffff0000, v11
                                        ; implicit-def: $vgpr113
	s_delay_alu instid0(VALU_DEP_1) | instskip(NEXT) | instid1(VALU_DEP_1)
	v_mul_f32_e32 v10, v99, v10
	v_and_b32_e32 v11, 0x7f800000, v10
	s_delay_alu instid0(VALU_DEP_1) | instskip(SKIP_1) | instid1(SALU_CYCLE_1)
	v_cmp_ne_u32_e64 s7, 0x7f800000, v11
	s_and_saveexec_b32 s22, s7
	s_xor_b32 s7, exec_lo, s22
; %bb.485:                              ;   in Loop: Header=BB2_472 Depth=2
	v_bfe_u32 v11, v10, 16, 1
	s_delay_alu instid0(VALU_DEP_1)
	v_add3_u32 v113, v10, v11, 0x7fff
                                        ; implicit-def: $vgpr10
; %bb.486:                              ;   in Loop: Header=BB2_472 Depth=2
	s_and_not1_saveexec_b32 s22, s7
; %bb.487:                              ;   in Loop: Header=BB2_472 Depth=2
	v_and_b32_e32 v11, 0xffff, v10
	v_or_b32_e32 v100, 0x10000, v10
	s_delay_alu instid0(VALU_DEP_2) | instskip(NEXT) | instid1(VALU_DEP_1)
	v_cmp_eq_u32_e64 s7, 0, v11
	v_cndmask_b32_e64 v113, v100, v10, s7
; %bb.488:                              ;   in Loop: Header=BB2_472 Depth=2
	s_or_b32 exec_lo, exec_lo, s22
	v_lshlrev_b32_e32 v10, 16, v12
                                        ; implicit-def: $vgpr112
	s_delay_alu instid0(VALU_DEP_1) | instskip(NEXT) | instid1(VALU_DEP_1)
	v_mul_f32_e32 v10, v99, v10
	v_and_b32_e32 v11, 0x7f800000, v10
	s_delay_alu instid0(VALU_DEP_1) | instskip(SKIP_1) | instid1(SALU_CYCLE_1)
	v_cmp_ne_u32_e64 s7, 0x7f800000, v11
	s_and_saveexec_b32 s22, s7
	s_xor_b32 s7, exec_lo, s22
; %bb.489:                              ;   in Loop: Header=BB2_472 Depth=2
	v_bfe_u32 v11, v10, 16, 1
	s_delay_alu instid0(VALU_DEP_1)
	v_add3_u32 v112, v10, v11, 0x7fff
                                        ; implicit-def: $vgpr10
; %bb.490:                              ;   in Loop: Header=BB2_472 Depth=2
	s_and_not1_saveexec_b32 s22, s7
; %bb.491:                              ;   in Loop: Header=BB2_472 Depth=2
	v_and_b32_e32 v11, 0xffff, v10
	v_or_b32_e32 v100, 0x10000, v10
	s_delay_alu instid0(VALU_DEP_2) | instskip(NEXT) | instid1(VALU_DEP_1)
	v_cmp_eq_u32_e64 s7, 0, v11
	v_cndmask_b32_e64 v112, v100, v10, s7
; %bb.492:                              ;   in Loop: Header=BB2_472 Depth=2
	s_or_b32 exec_lo, exec_lo, s22
	v_and_b32_e32 v10, 0xffff0000, v12
                                        ; implicit-def: $vgpr103
	s_delay_alu instid0(VALU_DEP_1) | instskip(NEXT) | instid1(VALU_DEP_1)
	v_mul_f32_e32 v10, v99, v10
	v_and_b32_e32 v11, 0x7f800000, v10
	s_delay_alu instid0(VALU_DEP_1) | instskip(SKIP_1) | instid1(SALU_CYCLE_1)
	v_cmp_ne_u32_e64 s7, 0x7f800000, v11
	s_and_saveexec_b32 s22, s7
	s_xor_b32 s7, exec_lo, s22
; %bb.493:                              ;   in Loop: Header=BB2_472 Depth=2
	v_bfe_u32 v11, v10, 16, 1
	s_delay_alu instid0(VALU_DEP_1)
	v_add3_u32 v103, v10, v11, 0x7fff
                                        ; implicit-def: $vgpr10
; %bb.494:                              ;   in Loop: Header=BB2_472 Depth=2
	s_and_not1_saveexec_b32 s22, s7
; %bb.495:                              ;   in Loop: Header=BB2_472 Depth=2
	v_and_b32_e32 v11, 0xffff, v10
	v_or_b32_e32 v12, 0x10000, v10
	s_delay_alu instid0(VALU_DEP_2) | instskip(NEXT) | instid1(VALU_DEP_1)
	v_cmp_eq_u32_e64 s7, 0, v11
	v_cndmask_b32_e64 v103, v12, v10, s7
; %bb.496:                              ;   in Loop: Header=BB2_472 Depth=2
	s_or_b32 exec_lo, exec_lo, s22
	v_lshlrev_b32_e32 v10, 16, v13
                                        ; implicit-def: $vgpr102
	s_delay_alu instid0(VALU_DEP_1) | instskip(NEXT) | instid1(VALU_DEP_1)
	v_mul_f32_e32 v10, v99, v10
	v_and_b32_e32 v11, 0x7f800000, v10
	s_delay_alu instid0(VALU_DEP_1) | instskip(SKIP_1) | instid1(SALU_CYCLE_1)
	v_cmp_ne_u32_e64 s7, 0x7f800000, v11
	s_and_saveexec_b32 s22, s7
	s_xor_b32 s7, exec_lo, s22
; %bb.497:                              ;   in Loop: Header=BB2_472 Depth=2
	v_bfe_u32 v11, v10, 16, 1
	s_delay_alu instid0(VALU_DEP_1)
	v_add3_u32 v102, v10, v11, 0x7fff
                                        ; implicit-def: $vgpr10
; %bb.498:                              ;   in Loop: Header=BB2_472 Depth=2
	s_and_not1_saveexec_b32 s22, s7
; %bb.499:                              ;   in Loop: Header=BB2_472 Depth=2
	v_and_b32_e32 v11, 0xffff, v10
	v_or_b32_e32 v12, 0x10000, v10
	s_delay_alu instid0(VALU_DEP_2) | instskip(NEXT) | instid1(VALU_DEP_1)
	v_cmp_eq_u32_e64 s7, 0, v11
	v_cndmask_b32_e64 v102, v12, v10, s7
; %bb.500:                              ;   in Loop: Header=BB2_472 Depth=2
	s_or_b32 exec_lo, exec_lo, s22
	v_and_b32_e32 v10, 0xffff0000, v13
                                        ; implicit-def: $vgpr100
	s_delay_alu instid0(VALU_DEP_1) | instskip(NEXT) | instid1(VALU_DEP_1)
	v_mul_f32_e32 v10, v99, v10
	v_and_b32_e32 v11, 0x7f800000, v10
	s_delay_alu instid0(VALU_DEP_1) | instskip(SKIP_1) | instid1(SALU_CYCLE_1)
	v_cmp_ne_u32_e64 s7, 0x7f800000, v11
	s_and_saveexec_b32 s22, s7
	s_xor_b32 s7, exec_lo, s22
; %bb.501:                              ;   in Loop: Header=BB2_472 Depth=2
	v_bfe_u32 v11, v10, 16, 1
	s_delay_alu instid0(VALU_DEP_1)
	v_add3_u32 v100, v10, v11, 0x7fff
                                        ; implicit-def: $vgpr10
; %bb.502:                              ;   in Loop: Header=BB2_472 Depth=2
	s_and_not1_saveexec_b32 s22, s7
; %bb.503:                              ;   in Loop: Header=BB2_472 Depth=2
	v_and_b32_e32 v11, 0xffff, v10
	v_or_b32_e32 v12, 0x10000, v10
	s_delay_alu instid0(VALU_DEP_2) | instskip(NEXT) | instid1(VALU_DEP_1)
	v_cmp_eq_u32_e64 s7, 0, v11
	v_cndmask_b32_e64 v100, v12, v10, s7
; %bb.504:                              ;   in Loop: Header=BB2_472 Depth=2
	s_or_b32 exec_lo, exec_lo, s22
	global_load_b128 v[10:13], v[70:71], off th:TH_LOAD_NT
	v_and_b32_e32 v101, 0xffff0000, v101
	s_wait_loadcnt 0x0
	v_lshlrev_b32_e32 v116, 16, v10
	s_delay_alu instid0(VALU_DEP_1) | instskip(NEXT) | instid1(VALU_DEP_1)
	v_add_f32_e32 v116, v101, v116
	v_and_b32_e32 v101, 0x7f800000, v116
	s_delay_alu instid0(VALU_DEP_1) | instskip(SKIP_2) | instid1(SALU_CYCLE_1)
	v_cmp_ne_u32_e64 s7, 0x7f800000, v101
                                        ; implicit-def: $vgpr101
	s_wait_xcnt 0x0
	s_and_saveexec_b32 s22, s7
	s_xor_b32 s7, exec_lo, s22
; %bb.505:                              ;   in Loop: Header=BB2_472 Depth=2
	v_bfe_u32 v101, v116, 16, 1
	s_delay_alu instid0(VALU_DEP_1)
	v_add3_u32 v101, v116, v101, 0x7fff
                                        ; implicit-def: $vgpr116
; %bb.506:                              ;   in Loop: Header=BB2_472 Depth=2
	s_and_not1_saveexec_b32 s22, s7
; %bb.507:                              ;   in Loop: Header=BB2_472 Depth=2
	v_and_b32_e32 v101, 0xffff, v116
	v_or_b32_e32 v117, 0x10000, v116
	s_delay_alu instid0(VALU_DEP_2) | instskip(NEXT) | instid1(VALU_DEP_1)
	v_cmp_eq_u32_e64 s7, 0, v101
	v_cndmask_b32_e64 v101, v117, v116, s7
; %bb.508:                              ;   in Loop: Header=BB2_472 Depth=2
	s_or_b32 exec_lo, exec_lo, s22
	v_and_b32_e32 v115, 0xffff0000, v115
	v_and_b32_e32 v10, 0xffff0000, v10
	s_delay_alu instid0(VALU_DEP_1) | instskip(NEXT) | instid1(VALU_DEP_1)
	v_add_f32_e32 v115, v115, v10
	v_and_b32_e32 v10, 0x7f800000, v115
	s_delay_alu instid0(VALU_DEP_1) | instskip(SKIP_1) | instid1(SALU_CYCLE_1)
	v_cmp_ne_u32_e64 s7, 0x7f800000, v10
                                        ; implicit-def: $vgpr10
	s_and_saveexec_b32 s22, s7
	s_xor_b32 s7, exec_lo, s22
; %bb.509:                              ;   in Loop: Header=BB2_472 Depth=2
	v_bfe_u32 v10, v115, 16, 1
	s_delay_alu instid0(VALU_DEP_1)
	v_add3_u32 v10, v115, v10, 0x7fff
                                        ; implicit-def: $vgpr115
; %bb.510:                              ;   in Loop: Header=BB2_472 Depth=2
	s_and_not1_saveexec_b32 s22, s7
; %bb.511:                              ;   in Loop: Header=BB2_472 Depth=2
	v_and_b32_e32 v10, 0xffff, v115
	v_or_b32_e32 v116, 0x10000, v115
	s_delay_alu instid0(VALU_DEP_2) | instskip(NEXT) | instid1(VALU_DEP_1)
	v_cmp_eq_u32_e64 s7, 0, v10
	v_cndmask_b32_e64 v10, v116, v115, s7
; %bb.512:                              ;   in Loop: Header=BB2_472 Depth=2
	s_or_b32 exec_lo, exec_lo, s22
	v_and_b32_e32 v114, 0xffff0000, v114
	v_lshlrev_b32_e32 v115, 16, v11
	s_delay_alu instid0(VALU_DEP_1) | instskip(NEXT) | instid1(VALU_DEP_1)
	v_add_f32_e32 v115, v114, v115
	v_and_b32_e32 v114, 0x7f800000, v115
	s_delay_alu instid0(VALU_DEP_1) | instskip(SKIP_1) | instid1(SALU_CYCLE_1)
	v_cmp_ne_u32_e64 s7, 0x7f800000, v114
                                        ; implicit-def: $vgpr114
	s_and_saveexec_b32 s22, s7
	s_xor_b32 s7, exec_lo, s22
; %bb.513:                              ;   in Loop: Header=BB2_472 Depth=2
	v_bfe_u32 v114, v115, 16, 1
	s_delay_alu instid0(VALU_DEP_1)
	v_add3_u32 v114, v115, v114, 0x7fff
                                        ; implicit-def: $vgpr115
; %bb.514:                              ;   in Loop: Header=BB2_472 Depth=2
	s_and_not1_saveexec_b32 s22, s7
; %bb.515:                              ;   in Loop: Header=BB2_472 Depth=2
	v_and_b32_e32 v114, 0xffff, v115
	v_or_b32_e32 v116, 0x10000, v115
	s_delay_alu instid0(VALU_DEP_2) | instskip(NEXT) | instid1(VALU_DEP_1)
	v_cmp_eq_u32_e64 s7, 0, v114
	v_cndmask_b32_e64 v114, v116, v115, s7
; %bb.516:                              ;   in Loop: Header=BB2_472 Depth=2
	s_or_b32 exec_lo, exec_lo, s22
	v_and_b32_e32 v113, 0xffff0000, v113
	v_and_b32_e32 v11, 0xffff0000, v11
	s_delay_alu instid0(VALU_DEP_1) | instskip(NEXT) | instid1(VALU_DEP_1)
	v_add_f32_e32 v113, v113, v11
	v_and_b32_e32 v11, 0x7f800000, v113
	s_delay_alu instid0(VALU_DEP_1) | instskip(SKIP_1) | instid1(SALU_CYCLE_1)
	v_cmp_ne_u32_e64 s7, 0x7f800000, v11
                                        ; implicit-def: $vgpr11
	s_and_saveexec_b32 s22, s7
	s_xor_b32 s7, exec_lo, s22
; %bb.517:                              ;   in Loop: Header=BB2_472 Depth=2
	v_bfe_u32 v11, v113, 16, 1
	s_delay_alu instid0(VALU_DEP_1)
	v_add3_u32 v11, v113, v11, 0x7fff
                                        ; implicit-def: $vgpr113
; %bb.518:                              ;   in Loop: Header=BB2_472 Depth=2
	s_and_not1_saveexec_b32 s22, s7
; %bb.519:                              ;   in Loop: Header=BB2_472 Depth=2
	v_and_b32_e32 v11, 0xffff, v113
	v_or_b32_e32 v115, 0x10000, v113
	s_delay_alu instid0(VALU_DEP_2) | instskip(NEXT) | instid1(VALU_DEP_1)
	v_cmp_eq_u32_e64 s7, 0, v11
	v_cndmask_b32_e64 v11, v115, v113, s7
; %bb.520:                              ;   in Loop: Header=BB2_472 Depth=2
	s_or_b32 exec_lo, exec_lo, s22
	v_and_b32_e32 v112, 0xffff0000, v112
	v_lshlrev_b32_e32 v113, 16, v12
	s_delay_alu instid0(VALU_DEP_1) | instskip(NEXT) | instid1(VALU_DEP_1)
	v_add_f32_e32 v113, v112, v113
	v_and_b32_e32 v112, 0x7f800000, v113
	s_delay_alu instid0(VALU_DEP_1) | instskip(SKIP_1) | instid1(SALU_CYCLE_1)
	v_cmp_ne_u32_e64 s7, 0x7f800000, v112
                                        ; implicit-def: $vgpr112
	s_and_saveexec_b32 s22, s7
	s_xor_b32 s7, exec_lo, s22
; %bb.521:                              ;   in Loop: Header=BB2_472 Depth=2
	v_bfe_u32 v112, v113, 16, 1
	s_delay_alu instid0(VALU_DEP_1)
	v_add3_u32 v112, v113, v112, 0x7fff
                                        ; implicit-def: $vgpr113
; %bb.522:                              ;   in Loop: Header=BB2_472 Depth=2
	s_and_not1_saveexec_b32 s22, s7
; %bb.523:                              ;   in Loop: Header=BB2_472 Depth=2
	v_and_b32_e32 v112, 0xffff, v113
	v_or_b32_e32 v115, 0x10000, v113
	s_delay_alu instid0(VALU_DEP_2) | instskip(NEXT) | instid1(VALU_DEP_1)
	v_cmp_eq_u32_e64 s7, 0, v112
	v_cndmask_b32_e64 v112, v115, v113, s7
; %bb.524:                              ;   in Loop: Header=BB2_472 Depth=2
	s_or_b32 exec_lo, exec_lo, s22
	v_and_b32_e32 v103, 0xffff0000, v103
	v_and_b32_e32 v12, 0xffff0000, v12
	s_delay_alu instid0(VALU_DEP_1) | instskip(NEXT) | instid1(VALU_DEP_1)
	v_add_f32_e32 v103, v103, v12
	v_and_b32_e32 v12, 0x7f800000, v103
	s_delay_alu instid0(VALU_DEP_1) | instskip(SKIP_1) | instid1(SALU_CYCLE_1)
	v_cmp_ne_u32_e64 s7, 0x7f800000, v12
                                        ; implicit-def: $vgpr12
	s_and_saveexec_b32 s22, s7
	s_xor_b32 s7, exec_lo, s22
; %bb.525:                              ;   in Loop: Header=BB2_472 Depth=2
	v_bfe_u32 v12, v103, 16, 1
	s_delay_alu instid0(VALU_DEP_1)
	v_add3_u32 v12, v103, v12, 0x7fff
                                        ; implicit-def: $vgpr103
; %bb.526:                              ;   in Loop: Header=BB2_472 Depth=2
	s_and_not1_saveexec_b32 s22, s7
; %bb.527:                              ;   in Loop: Header=BB2_472 Depth=2
	v_and_b32_e32 v12, 0xffff, v103
	v_or_b32_e32 v113, 0x10000, v103
	s_delay_alu instid0(VALU_DEP_2) | instskip(NEXT) | instid1(VALU_DEP_1)
	v_cmp_eq_u32_e64 s7, 0, v12
	v_cndmask_b32_e64 v12, v113, v103, s7
; %bb.528:                              ;   in Loop: Header=BB2_472 Depth=2
	s_or_b32 exec_lo, exec_lo, s22
	v_and_b32_e32 v102, 0xffff0000, v102
	v_lshlrev_b32_e32 v103, 16, v13
	s_delay_alu instid0(VALU_DEP_1) | instskip(NEXT) | instid1(VALU_DEP_1)
	v_add_f32_e32 v103, v102, v103
	v_and_b32_e32 v102, 0x7f800000, v103
	s_delay_alu instid0(VALU_DEP_1) | instskip(SKIP_1) | instid1(SALU_CYCLE_1)
	v_cmp_ne_u32_e64 s7, 0x7f800000, v102
                                        ; implicit-def: $vgpr102
	s_and_saveexec_b32 s22, s7
	s_xor_b32 s7, exec_lo, s22
; %bb.529:                              ;   in Loop: Header=BB2_472 Depth=2
	v_bfe_u32 v102, v103, 16, 1
	s_delay_alu instid0(VALU_DEP_1)
	v_add3_u32 v102, v103, v102, 0x7fff
                                        ; implicit-def: $vgpr103
; %bb.530:                              ;   in Loop: Header=BB2_472 Depth=2
	s_and_not1_saveexec_b32 s22, s7
; %bb.531:                              ;   in Loop: Header=BB2_472 Depth=2
	v_and_b32_e32 v102, 0xffff, v103
	v_or_b32_e32 v113, 0x10000, v103
	s_delay_alu instid0(VALU_DEP_2) | instskip(NEXT) | instid1(VALU_DEP_1)
	v_cmp_eq_u32_e64 s7, 0, v102
	v_cndmask_b32_e64 v102, v113, v103, s7
; %bb.532:                              ;   in Loop: Header=BB2_472 Depth=2
	s_or_b32 exec_lo, exec_lo, s22
	v_and_b32_e32 v100, 0xffff0000, v100
	v_and_b32_e32 v13, 0xffff0000, v13
	s_delay_alu instid0(VALU_DEP_1) | instskip(NEXT) | instid1(VALU_DEP_1)
	v_add_f32_e32 v100, v100, v13
	v_and_b32_e32 v13, 0x7f800000, v100
	s_delay_alu instid0(VALU_DEP_1) | instskip(SKIP_1) | instid1(SALU_CYCLE_1)
	v_cmp_ne_u32_e64 s7, 0x7f800000, v13
                                        ; implicit-def: $vgpr13
	s_and_saveexec_b32 s22, s7
	s_xor_b32 s7, exec_lo, s22
; %bb.533:                              ;   in Loop: Header=BB2_472 Depth=2
	v_bfe_u32 v13, v100, 16, 1
	s_delay_alu instid0(VALU_DEP_1)
	v_add3_u32 v13, v100, v13, 0x7fff
                                        ; implicit-def: $vgpr100
; %bb.534:                              ;   in Loop: Header=BB2_472 Depth=2
	s_and_not1_saveexec_b32 s22, s7
	s_cbranch_execz .LBB2_471
; %bb.535:                              ;   in Loop: Header=BB2_472 Depth=2
	v_and_b32_e32 v13, 0xffff, v100
	v_or_b32_e32 v103, 0x10000, v100
	s_delay_alu instid0(VALU_DEP_2) | instskip(NEXT) | instid1(VALU_DEP_1)
	v_cmp_eq_u32_e64 s7, 0, v13
	v_cndmask_b32_e64 v13, v103, v100, s7
	s_branch .LBB2_471
.LBB2_536:                              ;   in Loop: Header=BB2_397 Depth=1
	s_or_b32 exec_lo, exec_lo, s21
.LBB2_537:                              ;   in Loop: Header=BB2_397 Depth=1
	s_delay_alu instid0(SALU_CYCLE_1) | instskip(SKIP_3) | instid1(VALU_DEP_1)
	s_or_b32 exec_lo, exec_lo, s20
	v_dual_mov_b32 v70, 0 :: v_dual_bitop2_b32 v10, 14, v85 bitop3:0x40
	s_mov_b32 s21, 0
	s_mov_b32 s20, exec_lo
                                        ; implicit-def: $vgpr85
                                        ; implicit-def: $vgpr71
	v_cndmask_b32_e32 v96, v97, v10, vcc_lo
	s_delay_alu instid0(VALU_DEP_1)
	v_cmpx_ne_u32_e32 0, v96
	s_cbranch_execz .LBB2_607
; %bb.538:                              ;   in Loop: Header=BB2_397 Depth=1
	v_cmp_lt_i32_e64 s7, 0, v98
	s_mov_b32 s21, exec_lo
	v_dual_ashrrev_i32 v13, 31, v96 :: v_dual_cndmask_b32 v11, 0, v34, s7
	s_delay_alu instid0(VALU_DEP_1) | instskip(NEXT) | instid1(VALU_DEP_1)
	v_dual_lshrrev_b32 v13, 23, v13 :: v_dual_sub_nc_u32 v11, v11, v98
	v_add_nc_u32_e32 v13, v96, v13
	s_delay_alu instid0(VALU_DEP_2) | instskip(NEXT) | instid1(VALU_DEP_2)
	v_lshl_or_b32 v11, v11, 5, v82
	v_and_b32_e32 v99, 0xfffffe00, v13
	s_delay_alu instid0(VALU_DEP_2) | instskip(NEXT) | instid1(VALU_DEP_1)
	v_dual_ashrrev_i32 v13, 9, v13 :: v_dual_ashrrev_i32 v12, 31, v11
	v_dual_sub_nc_u32 v85, v96, v99 :: v_dual_lshrrev_b32 v12, 27, v12
	s_delay_alu instid0(VALU_DEP_1) | instskip(NEXT) | instid1(VALU_DEP_1)
	v_add_nc_u32_e32 v12, v11, v12
	v_and_b32_e32 v68, 0xffffffe0, v12
	s_delay_alu instid0(VALU_DEP_1) | instskip(NEXT) | instid1(VALU_DEP_1)
	v_dual_sub_nc_u32 v98, v11, v68 :: v_dual_sub_nc_u32 v68, v97, v10
	v_dual_ashrrev_i32 v11, 5, v12 :: v_dual_lshlrev_b32 v12, 4, v98
	s_delay_alu instid0(VALU_DEP_1) | instskip(NEXT) | instid1(VALU_DEP_3)
	v_lshl_add_u32 v10, v11, 9, v12
	v_cndmask_b32_e32 v12, 0, v68, vcc_lo
	v_cmp_lt_i32_e32 vcc_lo, 15, v85
	s_delay_alu instid0(VALU_DEP_3) | instskip(NEXT) | instid1(VALU_DEP_3)
	v_sub_nc_u32_e32 v100, v96, v10
	v_add_nc_u32_e32 v87, v12, v87
	v_add_co_ci_u32_e64 v13, null, 0, v13, vcc_lo
	s_delay_alu instid0(VALU_DEP_1) | instskip(NEXT) | instid1(VALU_DEP_4)
	v_sub_nc_u32_e32 v97, v13, v11
	v_cmpx_lt_i32_e32 15, v100
	s_cbranch_execz .LBB2_606
; %bb.539:                              ;   in Loop: Header=BB2_397 Depth=1
	s_trap 2
	ds_load_b64 v[12:13], v0
	ds_load_b32 v101, v0
	v_add_nc_u32_e32 v10, v10, v87
	s_mov_b32 s22, 0
	s_wait_dscnt 0x0
	s_delay_alu instid0(VALU_DEP_1) | instskip(NEXT) | instid1(VALU_DEP_1)
	v_dual_lshlrev_b32 v101, 16, v101 :: v_dual_ashrrev_i32 v11, 31, v10
	v_add_nc_u64_e32 v[68:69], v[10:11], v[64:65]
	v_add_nc_u64_e32 v[70:71], v[12:13], v[10:11]
	;; [unrolled: 1-line block ×3, first 2 shown]
	s_branch .LBB2_541
.LBB2_540:                              ;   in Loop: Header=BB2_541 Depth=2
	s_or_b32 exec_lo, exec_lo, s23
	v_dual_lshrrev_b32 v102, 16, v116 :: v_dual_lshrrev_b32 v103, 16, v103
	v_dual_lshrrev_b32 v113, 16, v114 :: v_dual_lshrrev_b32 v112, 16, v112
	v_sub_nc_u32_e32 v100, v100, v38
	s_delay_alu instid0(VALU_DEP_3) | instskip(NEXT) | instid1(VALU_DEP_4)
	v_and_or_b32 v11, 0xffff0000, v11, v102
	v_and_or_b32 v10, 0xffff0000, v10, v103
	s_delay_alu instid0(VALU_DEP_4)
	v_and_or_b32 v12, 0xffff0000, v12, v113
	v_and_or_b32 v13, 0xffff0000, v13, v112
	v_add_nc_u64_e32 v[68:69], v[68:69], v[38:39]
	v_add_nc_u64_e32 v[70:71], v[70:71], v[38:39]
	v_cmp_gt_i32_e64 s7, 16, v100
	v_sub_nc_u32_e32 v97, v97, v34
	global_store_b128 v[80:81], v[10:13], off th:TH_STORE_NT
	s_wait_xcnt 0x0
	v_add_nc_u64_e32 v[80:81], v[80:81], v[38:39]
	s_or_b32 s22, s7, s22
	s_delay_alu instid0(SALU_CYCLE_1)
	s_and_not1_b32 exec_lo, exec_lo, s22
	s_cbranch_execz .LBB2_605
.LBB2_541:                              ;   Parent Loop BB2_397 Depth=1
                                        ; =>  This Inner Loop Header: Depth=2
	global_load_b128 v[10:13], v[68:69], off th:TH_LOAD_NT
	s_wait_loadcnt 0x0
	v_lshlrev_b32_e32 v102, 16, v10
	s_delay_alu instid0(VALU_DEP_1) | instskip(NEXT) | instid1(VALU_DEP_1)
	v_mul_f32_e32 v102, v101, v102
	v_and_b32_e32 v103, 0x7f800000, v102
	s_delay_alu instid0(VALU_DEP_1) | instskip(SKIP_2) | instid1(SALU_CYCLE_1)
	v_cmp_ne_u32_e64 s7, 0x7f800000, v103
                                        ; implicit-def: $vgpr103
	s_wait_xcnt 0x0
	s_and_saveexec_b32 s23, s7
	s_xor_b32 s7, exec_lo, s23
; %bb.542:                              ;   in Loop: Header=BB2_541 Depth=2
	v_bfe_u32 v103, v102, 16, 1
	s_delay_alu instid0(VALU_DEP_1)
	v_add3_u32 v103, v102, v103, 0x7fff
                                        ; implicit-def: $vgpr102
; %bb.543:                              ;   in Loop: Header=BB2_541 Depth=2
	s_and_not1_saveexec_b32 s23, s7
; %bb.544:                              ;   in Loop: Header=BB2_541 Depth=2
	v_and_b32_e32 v103, 0xffff, v102
	v_or_b32_e32 v112, 0x10000, v102
	s_delay_alu instid0(VALU_DEP_2) | instskip(NEXT) | instid1(VALU_DEP_1)
	v_cmp_eq_u32_e64 s7, 0, v103
	v_cndmask_b32_e64 v103, v112, v102, s7
; %bb.545:                              ;   in Loop: Header=BB2_541 Depth=2
	s_or_b32 exec_lo, exec_lo, s23
	v_and_b32_e32 v10, 0xffff0000, v10
                                        ; implicit-def: $vgpr117
	s_delay_alu instid0(VALU_DEP_1) | instskip(NEXT) | instid1(VALU_DEP_1)
	v_mul_f32_e32 v10, v101, v10
	v_and_b32_e32 v102, 0x7f800000, v10
	s_delay_alu instid0(VALU_DEP_1) | instskip(SKIP_1) | instid1(SALU_CYCLE_1)
	v_cmp_ne_u32_e64 s7, 0x7f800000, v102
	s_and_saveexec_b32 s23, s7
	s_xor_b32 s7, exec_lo, s23
; %bb.546:                              ;   in Loop: Header=BB2_541 Depth=2
	v_bfe_u32 v102, v10, 16, 1
	s_delay_alu instid0(VALU_DEP_1)
	v_add3_u32 v117, v10, v102, 0x7fff
                                        ; implicit-def: $vgpr10
; %bb.547:                              ;   in Loop: Header=BB2_541 Depth=2
	s_and_not1_saveexec_b32 s23, s7
; %bb.548:                              ;   in Loop: Header=BB2_541 Depth=2
	v_and_b32_e32 v102, 0xffff, v10
	v_or_b32_e32 v112, 0x10000, v10
	s_delay_alu instid0(VALU_DEP_2) | instskip(NEXT) | instid1(VALU_DEP_1)
	v_cmp_eq_u32_e64 s7, 0, v102
	v_cndmask_b32_e64 v117, v112, v10, s7
; %bb.549:                              ;   in Loop: Header=BB2_541 Depth=2
	s_or_b32 exec_lo, exec_lo, s23
	v_lshlrev_b32_e32 v10, 16, v11
                                        ; implicit-def: $vgpr116
	s_delay_alu instid0(VALU_DEP_1) | instskip(NEXT) | instid1(VALU_DEP_1)
	v_mul_f32_e32 v10, v101, v10
	v_and_b32_e32 v102, 0x7f800000, v10
	s_delay_alu instid0(VALU_DEP_1) | instskip(SKIP_1) | instid1(SALU_CYCLE_1)
	v_cmp_ne_u32_e64 s7, 0x7f800000, v102
	s_and_saveexec_b32 s23, s7
	s_xor_b32 s7, exec_lo, s23
; %bb.550:                              ;   in Loop: Header=BB2_541 Depth=2
	v_bfe_u32 v102, v10, 16, 1
	s_delay_alu instid0(VALU_DEP_1)
	v_add3_u32 v116, v10, v102, 0x7fff
                                        ; implicit-def: $vgpr10
; %bb.551:                              ;   in Loop: Header=BB2_541 Depth=2
	s_and_not1_saveexec_b32 s23, s7
; %bb.552:                              ;   in Loop: Header=BB2_541 Depth=2
	v_and_b32_e32 v102, 0xffff, v10
	v_or_b32_e32 v112, 0x10000, v10
	s_delay_alu instid0(VALU_DEP_2) | instskip(NEXT) | instid1(VALU_DEP_1)
	v_cmp_eq_u32_e64 s7, 0, v102
	v_cndmask_b32_e64 v116, v112, v10, s7
; %bb.553:                              ;   in Loop: Header=BB2_541 Depth=2
	s_or_b32 exec_lo, exec_lo, s23
	v_and_b32_e32 v10, 0xffff0000, v11
                                        ; implicit-def: $vgpr115
	s_delay_alu instid0(VALU_DEP_1) | instskip(NEXT) | instid1(VALU_DEP_1)
	v_mul_f32_e32 v10, v101, v10
	v_and_b32_e32 v11, 0x7f800000, v10
	s_delay_alu instid0(VALU_DEP_1) | instskip(SKIP_1) | instid1(SALU_CYCLE_1)
	v_cmp_ne_u32_e64 s7, 0x7f800000, v11
	s_and_saveexec_b32 s23, s7
	s_xor_b32 s7, exec_lo, s23
; %bb.554:                              ;   in Loop: Header=BB2_541 Depth=2
	v_bfe_u32 v11, v10, 16, 1
	s_delay_alu instid0(VALU_DEP_1)
	v_add3_u32 v115, v10, v11, 0x7fff
                                        ; implicit-def: $vgpr10
; %bb.555:                              ;   in Loop: Header=BB2_541 Depth=2
	s_and_not1_saveexec_b32 s23, s7
; %bb.556:                              ;   in Loop: Header=BB2_541 Depth=2
	v_and_b32_e32 v11, 0xffff, v10
	v_or_b32_e32 v102, 0x10000, v10
	s_delay_alu instid0(VALU_DEP_2) | instskip(NEXT) | instid1(VALU_DEP_1)
	v_cmp_eq_u32_e64 s7, 0, v11
	v_cndmask_b32_e64 v115, v102, v10, s7
; %bb.557:                              ;   in Loop: Header=BB2_541 Depth=2
	s_or_b32 exec_lo, exec_lo, s23
	v_lshlrev_b32_e32 v10, 16, v12
                                        ; implicit-def: $vgpr114
	s_delay_alu instid0(VALU_DEP_1) | instskip(NEXT) | instid1(VALU_DEP_1)
	v_mul_f32_e32 v10, v101, v10
	v_and_b32_e32 v11, 0x7f800000, v10
	s_delay_alu instid0(VALU_DEP_1) | instskip(SKIP_1) | instid1(SALU_CYCLE_1)
	v_cmp_ne_u32_e64 s7, 0x7f800000, v11
	s_and_saveexec_b32 s23, s7
	s_xor_b32 s7, exec_lo, s23
; %bb.558:                              ;   in Loop: Header=BB2_541 Depth=2
	v_bfe_u32 v11, v10, 16, 1
	s_delay_alu instid0(VALU_DEP_1)
	v_add3_u32 v114, v10, v11, 0x7fff
                                        ; implicit-def: $vgpr10
; %bb.559:                              ;   in Loop: Header=BB2_541 Depth=2
	s_and_not1_saveexec_b32 s23, s7
; %bb.560:                              ;   in Loop: Header=BB2_541 Depth=2
	v_and_b32_e32 v11, 0xffff, v10
	v_or_b32_e32 v102, 0x10000, v10
	s_delay_alu instid0(VALU_DEP_2) | instskip(NEXT) | instid1(VALU_DEP_1)
	v_cmp_eq_u32_e64 s7, 0, v11
	v_cndmask_b32_e64 v114, v102, v10, s7
; %bb.561:                              ;   in Loop: Header=BB2_541 Depth=2
	s_or_b32 exec_lo, exec_lo, s23
	v_and_b32_e32 v10, 0xffff0000, v12
                                        ; implicit-def: $vgpr113
	s_delay_alu instid0(VALU_DEP_1) | instskip(NEXT) | instid1(VALU_DEP_1)
	v_mul_f32_e32 v10, v101, v10
	v_and_b32_e32 v11, 0x7f800000, v10
	s_delay_alu instid0(VALU_DEP_1) | instskip(SKIP_1) | instid1(SALU_CYCLE_1)
	v_cmp_ne_u32_e64 s7, 0x7f800000, v11
	s_and_saveexec_b32 s23, s7
	s_xor_b32 s7, exec_lo, s23
; %bb.562:                              ;   in Loop: Header=BB2_541 Depth=2
	v_bfe_u32 v11, v10, 16, 1
	s_delay_alu instid0(VALU_DEP_1)
	v_add3_u32 v113, v10, v11, 0x7fff
                                        ; implicit-def: $vgpr10
; %bb.563:                              ;   in Loop: Header=BB2_541 Depth=2
	s_and_not1_saveexec_b32 s23, s7
; %bb.564:                              ;   in Loop: Header=BB2_541 Depth=2
	v_and_b32_e32 v11, 0xffff, v10
	v_or_b32_e32 v12, 0x10000, v10
	s_delay_alu instid0(VALU_DEP_2) | instskip(NEXT) | instid1(VALU_DEP_1)
	v_cmp_eq_u32_e64 s7, 0, v11
	v_cndmask_b32_e64 v113, v12, v10, s7
; %bb.565:                              ;   in Loop: Header=BB2_541 Depth=2
	s_or_b32 exec_lo, exec_lo, s23
	v_lshlrev_b32_e32 v10, 16, v13
                                        ; implicit-def: $vgpr112
	s_delay_alu instid0(VALU_DEP_1) | instskip(NEXT) | instid1(VALU_DEP_1)
	v_mul_f32_e32 v10, v101, v10
	v_and_b32_e32 v11, 0x7f800000, v10
	s_delay_alu instid0(VALU_DEP_1) | instskip(SKIP_1) | instid1(SALU_CYCLE_1)
	v_cmp_ne_u32_e64 s7, 0x7f800000, v11
	s_and_saveexec_b32 s23, s7
	s_xor_b32 s7, exec_lo, s23
; %bb.566:                              ;   in Loop: Header=BB2_541 Depth=2
	v_bfe_u32 v11, v10, 16, 1
	s_delay_alu instid0(VALU_DEP_1)
	v_add3_u32 v112, v10, v11, 0x7fff
                                        ; implicit-def: $vgpr10
; %bb.567:                              ;   in Loop: Header=BB2_541 Depth=2
	s_and_not1_saveexec_b32 s23, s7
; %bb.568:                              ;   in Loop: Header=BB2_541 Depth=2
	v_and_b32_e32 v11, 0xffff, v10
	v_or_b32_e32 v12, 0x10000, v10
	s_delay_alu instid0(VALU_DEP_2) | instskip(NEXT) | instid1(VALU_DEP_1)
	v_cmp_eq_u32_e64 s7, 0, v11
	v_cndmask_b32_e64 v112, v12, v10, s7
; %bb.569:                              ;   in Loop: Header=BB2_541 Depth=2
	s_or_b32 exec_lo, exec_lo, s23
	v_and_b32_e32 v10, 0xffff0000, v13
                                        ; implicit-def: $vgpr102
	s_delay_alu instid0(VALU_DEP_1) | instskip(NEXT) | instid1(VALU_DEP_1)
	v_mul_f32_e32 v10, v101, v10
	v_and_b32_e32 v11, 0x7f800000, v10
	s_delay_alu instid0(VALU_DEP_1) | instskip(SKIP_1) | instid1(SALU_CYCLE_1)
	v_cmp_ne_u32_e64 s7, 0x7f800000, v11
	s_and_saveexec_b32 s23, s7
	s_xor_b32 s7, exec_lo, s23
; %bb.570:                              ;   in Loop: Header=BB2_541 Depth=2
	v_bfe_u32 v11, v10, 16, 1
	s_delay_alu instid0(VALU_DEP_1)
	v_add3_u32 v102, v10, v11, 0x7fff
                                        ; implicit-def: $vgpr10
; %bb.571:                              ;   in Loop: Header=BB2_541 Depth=2
	s_and_not1_saveexec_b32 s23, s7
; %bb.572:                              ;   in Loop: Header=BB2_541 Depth=2
	v_and_b32_e32 v11, 0xffff, v10
	v_or_b32_e32 v12, 0x10000, v10
	s_delay_alu instid0(VALU_DEP_2) | instskip(NEXT) | instid1(VALU_DEP_1)
	v_cmp_eq_u32_e64 s7, 0, v11
	v_cndmask_b32_e64 v102, v12, v10, s7
; %bb.573:                              ;   in Loop: Header=BB2_541 Depth=2
	s_or_b32 exec_lo, exec_lo, s23
	global_load_b128 v[10:13], v[70:71], off th:TH_LOAD_NT
	v_and_b32_e32 v103, 0xffff0000, v103
	s_wait_loadcnt 0x0
	v_lshlrev_b32_e32 v118, 16, v10
	s_delay_alu instid0(VALU_DEP_1) | instskip(NEXT) | instid1(VALU_DEP_1)
	v_add_f32_e32 v118, v103, v118
	v_and_b32_e32 v103, 0x7f800000, v118
	s_delay_alu instid0(VALU_DEP_1) | instskip(SKIP_2) | instid1(SALU_CYCLE_1)
	v_cmp_ne_u32_e64 s7, 0x7f800000, v103
                                        ; implicit-def: $vgpr103
	s_wait_xcnt 0x0
	s_and_saveexec_b32 s23, s7
	s_xor_b32 s7, exec_lo, s23
; %bb.574:                              ;   in Loop: Header=BB2_541 Depth=2
	v_bfe_u32 v103, v118, 16, 1
	s_delay_alu instid0(VALU_DEP_1)
	v_add3_u32 v103, v118, v103, 0x7fff
                                        ; implicit-def: $vgpr118
; %bb.575:                              ;   in Loop: Header=BB2_541 Depth=2
	s_and_not1_saveexec_b32 s23, s7
; %bb.576:                              ;   in Loop: Header=BB2_541 Depth=2
	v_and_b32_e32 v103, 0xffff, v118
	v_or_b32_e32 v119, 0x10000, v118
	s_delay_alu instid0(VALU_DEP_2) | instskip(NEXT) | instid1(VALU_DEP_1)
	v_cmp_eq_u32_e64 s7, 0, v103
	v_cndmask_b32_e64 v103, v119, v118, s7
; %bb.577:                              ;   in Loop: Header=BB2_541 Depth=2
	s_or_b32 exec_lo, exec_lo, s23
	v_and_b32_e32 v117, 0xffff0000, v117
	v_and_b32_e32 v10, 0xffff0000, v10
	s_delay_alu instid0(VALU_DEP_1) | instskip(NEXT) | instid1(VALU_DEP_1)
	v_add_f32_e32 v117, v117, v10
	v_and_b32_e32 v10, 0x7f800000, v117
	s_delay_alu instid0(VALU_DEP_1) | instskip(SKIP_1) | instid1(SALU_CYCLE_1)
	v_cmp_ne_u32_e64 s7, 0x7f800000, v10
                                        ; implicit-def: $vgpr10
	s_and_saveexec_b32 s23, s7
	s_xor_b32 s7, exec_lo, s23
; %bb.578:                              ;   in Loop: Header=BB2_541 Depth=2
	v_bfe_u32 v10, v117, 16, 1
	s_delay_alu instid0(VALU_DEP_1)
	v_add3_u32 v10, v117, v10, 0x7fff
                                        ; implicit-def: $vgpr117
; %bb.579:                              ;   in Loop: Header=BB2_541 Depth=2
	s_and_not1_saveexec_b32 s23, s7
; %bb.580:                              ;   in Loop: Header=BB2_541 Depth=2
	v_and_b32_e32 v10, 0xffff, v117
	v_or_b32_e32 v118, 0x10000, v117
	s_delay_alu instid0(VALU_DEP_2) | instskip(NEXT) | instid1(VALU_DEP_1)
	v_cmp_eq_u32_e64 s7, 0, v10
	v_cndmask_b32_e64 v10, v118, v117, s7
; %bb.581:                              ;   in Loop: Header=BB2_541 Depth=2
	s_or_b32 exec_lo, exec_lo, s23
	v_and_b32_e32 v116, 0xffff0000, v116
	v_lshlrev_b32_e32 v117, 16, v11
	s_delay_alu instid0(VALU_DEP_1) | instskip(NEXT) | instid1(VALU_DEP_1)
	v_add_f32_e32 v117, v116, v117
	v_and_b32_e32 v116, 0x7f800000, v117
	s_delay_alu instid0(VALU_DEP_1) | instskip(SKIP_1) | instid1(SALU_CYCLE_1)
	v_cmp_ne_u32_e64 s7, 0x7f800000, v116
                                        ; implicit-def: $vgpr116
	s_and_saveexec_b32 s23, s7
	s_xor_b32 s7, exec_lo, s23
; %bb.582:                              ;   in Loop: Header=BB2_541 Depth=2
	v_bfe_u32 v116, v117, 16, 1
	s_delay_alu instid0(VALU_DEP_1)
	v_add3_u32 v116, v117, v116, 0x7fff
                                        ; implicit-def: $vgpr117
; %bb.583:                              ;   in Loop: Header=BB2_541 Depth=2
	s_and_not1_saveexec_b32 s23, s7
; %bb.584:                              ;   in Loop: Header=BB2_541 Depth=2
	v_and_b32_e32 v116, 0xffff, v117
	v_or_b32_e32 v118, 0x10000, v117
	s_delay_alu instid0(VALU_DEP_2) | instskip(NEXT) | instid1(VALU_DEP_1)
	v_cmp_eq_u32_e64 s7, 0, v116
	v_cndmask_b32_e64 v116, v118, v117, s7
; %bb.585:                              ;   in Loop: Header=BB2_541 Depth=2
	s_or_b32 exec_lo, exec_lo, s23
	v_and_b32_e32 v115, 0xffff0000, v115
	v_and_b32_e32 v11, 0xffff0000, v11
	s_delay_alu instid0(VALU_DEP_1) | instskip(NEXT) | instid1(VALU_DEP_1)
	v_add_f32_e32 v115, v115, v11
	v_and_b32_e32 v11, 0x7f800000, v115
	s_delay_alu instid0(VALU_DEP_1) | instskip(SKIP_1) | instid1(SALU_CYCLE_1)
	v_cmp_ne_u32_e64 s7, 0x7f800000, v11
                                        ; implicit-def: $vgpr11
	s_and_saveexec_b32 s23, s7
	s_xor_b32 s7, exec_lo, s23
; %bb.586:                              ;   in Loop: Header=BB2_541 Depth=2
	v_bfe_u32 v11, v115, 16, 1
	s_delay_alu instid0(VALU_DEP_1)
	v_add3_u32 v11, v115, v11, 0x7fff
                                        ; implicit-def: $vgpr115
; %bb.587:                              ;   in Loop: Header=BB2_541 Depth=2
	s_and_not1_saveexec_b32 s23, s7
; %bb.588:                              ;   in Loop: Header=BB2_541 Depth=2
	v_and_b32_e32 v11, 0xffff, v115
	v_or_b32_e32 v117, 0x10000, v115
	s_delay_alu instid0(VALU_DEP_2) | instskip(NEXT) | instid1(VALU_DEP_1)
	v_cmp_eq_u32_e64 s7, 0, v11
	v_cndmask_b32_e64 v11, v117, v115, s7
; %bb.589:                              ;   in Loop: Header=BB2_541 Depth=2
	s_or_b32 exec_lo, exec_lo, s23
	v_and_b32_e32 v114, 0xffff0000, v114
	v_lshlrev_b32_e32 v115, 16, v12
	s_delay_alu instid0(VALU_DEP_1) | instskip(NEXT) | instid1(VALU_DEP_1)
	v_add_f32_e32 v115, v114, v115
	v_and_b32_e32 v114, 0x7f800000, v115
	s_delay_alu instid0(VALU_DEP_1) | instskip(SKIP_1) | instid1(SALU_CYCLE_1)
	v_cmp_ne_u32_e64 s7, 0x7f800000, v114
                                        ; implicit-def: $vgpr114
	s_and_saveexec_b32 s23, s7
	s_xor_b32 s7, exec_lo, s23
; %bb.590:                              ;   in Loop: Header=BB2_541 Depth=2
	v_bfe_u32 v114, v115, 16, 1
	s_delay_alu instid0(VALU_DEP_1)
	v_add3_u32 v114, v115, v114, 0x7fff
                                        ; implicit-def: $vgpr115
; %bb.591:                              ;   in Loop: Header=BB2_541 Depth=2
	s_and_not1_saveexec_b32 s23, s7
; %bb.592:                              ;   in Loop: Header=BB2_541 Depth=2
	v_and_b32_e32 v114, 0xffff, v115
	v_or_b32_e32 v117, 0x10000, v115
	s_delay_alu instid0(VALU_DEP_2) | instskip(NEXT) | instid1(VALU_DEP_1)
	v_cmp_eq_u32_e64 s7, 0, v114
	v_cndmask_b32_e64 v114, v117, v115, s7
; %bb.593:                              ;   in Loop: Header=BB2_541 Depth=2
	s_or_b32 exec_lo, exec_lo, s23
	v_and_b32_e32 v113, 0xffff0000, v113
	v_and_b32_e32 v12, 0xffff0000, v12
	s_delay_alu instid0(VALU_DEP_1) | instskip(NEXT) | instid1(VALU_DEP_1)
	v_add_f32_e32 v113, v113, v12
	v_and_b32_e32 v12, 0x7f800000, v113
	s_delay_alu instid0(VALU_DEP_1) | instskip(SKIP_1) | instid1(SALU_CYCLE_1)
	v_cmp_ne_u32_e64 s7, 0x7f800000, v12
                                        ; implicit-def: $vgpr12
	s_and_saveexec_b32 s23, s7
	s_xor_b32 s7, exec_lo, s23
; %bb.594:                              ;   in Loop: Header=BB2_541 Depth=2
	v_bfe_u32 v12, v113, 16, 1
	s_delay_alu instid0(VALU_DEP_1)
	v_add3_u32 v12, v113, v12, 0x7fff
                                        ; implicit-def: $vgpr113
; %bb.595:                              ;   in Loop: Header=BB2_541 Depth=2
	s_and_not1_saveexec_b32 s23, s7
; %bb.596:                              ;   in Loop: Header=BB2_541 Depth=2
	v_and_b32_e32 v12, 0xffff, v113
	v_or_b32_e32 v115, 0x10000, v113
	s_delay_alu instid0(VALU_DEP_2) | instskip(NEXT) | instid1(VALU_DEP_1)
	v_cmp_eq_u32_e64 s7, 0, v12
	v_cndmask_b32_e64 v12, v115, v113, s7
; %bb.597:                              ;   in Loop: Header=BB2_541 Depth=2
	s_or_b32 exec_lo, exec_lo, s23
	v_and_b32_e32 v112, 0xffff0000, v112
	v_lshlrev_b32_e32 v113, 16, v13
	s_delay_alu instid0(VALU_DEP_1) | instskip(NEXT) | instid1(VALU_DEP_1)
	v_add_f32_e32 v113, v112, v113
	v_and_b32_e32 v112, 0x7f800000, v113
	s_delay_alu instid0(VALU_DEP_1) | instskip(SKIP_1) | instid1(SALU_CYCLE_1)
	v_cmp_ne_u32_e64 s7, 0x7f800000, v112
                                        ; implicit-def: $vgpr112
	s_and_saveexec_b32 s23, s7
	s_xor_b32 s7, exec_lo, s23
; %bb.598:                              ;   in Loop: Header=BB2_541 Depth=2
	v_bfe_u32 v112, v113, 16, 1
	s_delay_alu instid0(VALU_DEP_1)
	v_add3_u32 v112, v113, v112, 0x7fff
                                        ; implicit-def: $vgpr113
; %bb.599:                              ;   in Loop: Header=BB2_541 Depth=2
	s_and_not1_saveexec_b32 s23, s7
; %bb.600:                              ;   in Loop: Header=BB2_541 Depth=2
	v_and_b32_e32 v112, 0xffff, v113
	v_or_b32_e32 v115, 0x10000, v113
	s_delay_alu instid0(VALU_DEP_2) | instskip(NEXT) | instid1(VALU_DEP_1)
	v_cmp_eq_u32_e64 s7, 0, v112
	v_cndmask_b32_e64 v112, v115, v113, s7
; %bb.601:                              ;   in Loop: Header=BB2_541 Depth=2
	s_or_b32 exec_lo, exec_lo, s23
	v_and_b32_e32 v102, 0xffff0000, v102
	v_and_b32_e32 v13, 0xffff0000, v13
	s_delay_alu instid0(VALU_DEP_1) | instskip(NEXT) | instid1(VALU_DEP_1)
	v_add_f32_e32 v102, v102, v13
	v_and_b32_e32 v13, 0x7f800000, v102
	s_delay_alu instid0(VALU_DEP_1) | instskip(SKIP_1) | instid1(SALU_CYCLE_1)
	v_cmp_ne_u32_e64 s7, 0x7f800000, v13
                                        ; implicit-def: $vgpr13
	s_and_saveexec_b32 s23, s7
	s_xor_b32 s7, exec_lo, s23
; %bb.602:                              ;   in Loop: Header=BB2_541 Depth=2
	v_bfe_u32 v13, v102, 16, 1
	s_delay_alu instid0(VALU_DEP_1)
	v_add3_u32 v13, v102, v13, 0x7fff
                                        ; implicit-def: $vgpr102
; %bb.603:                              ;   in Loop: Header=BB2_541 Depth=2
	s_and_not1_saveexec_b32 s23, s7
	s_cbranch_execz .LBB2_540
; %bb.604:                              ;   in Loop: Header=BB2_541 Depth=2
	v_and_b32_e32 v13, 0xffff, v102
	v_or_b32_e32 v113, 0x10000, v102
	s_delay_alu instid0(VALU_DEP_2) | instskip(NEXT) | instid1(VALU_DEP_1)
	v_cmp_eq_u32_e64 s7, 0, v13
	v_cndmask_b32_e64 v13, v113, v102, s7
	s_branch .LBB2_540
.LBB2_605:                              ;   in Loop: Header=BB2_397 Depth=1
	s_or_b32 exec_lo, exec_lo, s22
.LBB2_606:                              ;   in Loop: Header=BB2_397 Depth=1
	s_delay_alu instid0(SALU_CYCLE_1) | instskip(NEXT) | instid1(VALU_DEP_2)
	s_or_b32 exec_lo, exec_lo, s21
	v_cmp_lt_i32_e64 s7, 0, v97
	s_delay_alu instid0(VALU_DEP_1) | instskip(NEXT) | instid1(VALU_DEP_1)
	v_dual_cndmask_b32 v12, 0, v34, s7 :: v_dual_bitop2_b32 v10, 14, v96 bitop3:0x40
	v_dual_sub_nc_u32 v11, v85, v10 :: v_dual_cndmask_b32 v85, v85, v10, vcc_lo
	s_delay_alu instid0(VALU_DEP_1) | instskip(NEXT) | instid1(VALU_DEP_2)
	v_dual_cndmask_b32 v10, 0, v11 :: v_dual_sub_nc_u32 v11, v12, v97
	v_cmp_ne_u32_e32 vcc_lo, 0, v85
	s_delay_alu instid0(VALU_DEP_2) | instskip(NEXT) | instid1(VALU_DEP_3)
	v_add3_u32 v70, v99, v87, v10
	v_lshl_add_u32 v71, v11, 5, v98
	s_and_b32 s21, vcc_lo, exec_lo
.LBB2_607:                              ;   in Loop: Header=BB2_397 Depth=1
	s_or_b32 exec_lo, exec_lo, s20
	s_and_saveexec_b32 s7, s21
	s_cbranch_execz .LBB2_656
.LBB2_608:                              ;   in Loop: Header=BB2_397 Depth=1
	s_delay_alu instid0(VALU_DEP_1) | instskip(SKIP_1) | instid1(VALU_DEP_1)
	v_dual_ashrrev_i32 v10, 31, v71 :: v_dual_ashrrev_i32 v11, 31, v85
	s_mov_b32 s20, exec_lo
	v_dual_lshrrev_b32 v10, 27, v10 :: v_dual_lshrrev_b32 v11, 24, v11
	s_delay_alu instid0(VALU_DEP_1) | instskip(NEXT) | instid1(VALU_DEP_1)
	v_dual_add_nc_u32 v10, v71, v10 :: v_dual_add_nc_u32 v11, v85, v11
	v_dual_ashrrev_i32 v80, 5, v10 :: v_dual_ashrrev_i32 v87, 8, v11
	s_delay_alu instid0(VALU_DEP_1) | instskip(NEXT) | instid1(VALU_DEP_1)
	v_sub_nc_u32_e32 v81, v87, v80
	v_cmpx_lt_i32_e32 0, v81
	s_cbranch_execz .LBB2_644
; %bb.609:                              ;   in Loop: Header=BB2_397 Depth=1
	v_and_b32_e32 v10, 0x7fffffe0, v10
	s_trap 2
	ds_load_b64 v[12:13], v0
	ds_load_b32 v96, v0
	s_mov_b32 s21, 0
	v_dual_sub_nc_u32 v10, v71, v10 :: v_dual_lshlrev_b32 v11, 8, v80
	s_delay_alu instid0(VALU_DEP_1) | instskip(NEXT) | instid1(VALU_DEP_1)
	v_lshlrev_b32_e32 v10, 1, v10
	v_add3_u32 v68, v10, v70, v11
	s_delay_alu instid0(VALU_DEP_1) | instskip(SKIP_2) | instid1(VALU_DEP_2)
	v_ashrrev_i32_e32 v69, 31, v68
	s_wait_dscnt 0x0
	v_lshlrev_b32_e32 v96, 16, v96
	v_add_nc_u64_e32 v[10:11], v[68:69], v[64:65]
	v_add_nc_u64_e32 v[12:13], v[12:13], v[68:69]
	;; [unrolled: 1-line block ×3, first 2 shown]
	s_branch .LBB2_611
.LBB2_610:                              ;   in Loop: Header=BB2_611 Depth=2
	s_or_b32 exec_lo, exec_lo, s22
	v_sub_nc_u32_e32 v81, v81, v34
	s_clause 0x3
	flat_store_d16_hi_b16 v[68:69], v97 th:TH_STORE_NT
	flat_store_d16_hi_b16 v[68:69], v98 offset:64 th:TH_STORE_NT
	flat_store_d16_hi_b16 v[68:69], v99 offset:128 th:TH_STORE_NT
	;; [unrolled: 1-line block ×3, first 2 shown]
	v_add_nc_u64_e32 v[10:11], v[10:11], v[48:49]
	v_add_nc_u64_e32 v[12:13], v[12:13], v[48:49]
	s_wait_xcnt 0x0
	v_add_nc_u64_e32 v[68:69], v[68:69], v[48:49]
	v_cmp_gt_i32_e32 vcc_lo, 1, v81
	s_or_b32 s21, vcc_lo, s21
	s_delay_alu instid0(SALU_CYCLE_1)
	s_and_not1_b32 exec_lo, exec_lo, s21
	s_cbranch_execz .LBB2_643
.LBB2_611:                              ;   Parent Loop BB2_397 Depth=1
                                        ; =>  This Inner Loop Header: Depth=2
	flat_load_u16 v97, v[10:11] th:TH_LOAD_NT
	s_wait_loadcnt_dscnt 0x0
	v_lshlrev_b32_e32 v97, 16, v97
	s_delay_alu instid0(VALU_DEP_1) | instskip(NEXT) | instid1(VALU_DEP_1)
	v_mul_f32_e32 v98, v96, v97
	v_and_b32_e32 v97, 0x7f800000, v98
	s_delay_alu instid0(VALU_DEP_1) | instskip(SKIP_2) | instid1(SALU_CYCLE_1)
	v_cmp_ne_u32_e32 vcc_lo, 0x7f800000, v97
                                        ; implicit-def: $vgpr97
	s_wait_xcnt 0x0
	s_and_saveexec_b32 s22, vcc_lo
	s_xor_b32 s22, exec_lo, s22
; %bb.612:                              ;   in Loop: Header=BB2_611 Depth=2
	v_bfe_u32 v97, v98, 16, 1
	s_delay_alu instid0(VALU_DEP_1)
	v_add3_u32 v97, v98, v97, 0x7fff
                                        ; implicit-def: $vgpr98
; %bb.613:                              ;   in Loop: Header=BB2_611 Depth=2
	s_and_not1_saveexec_b32 s22, s22
; %bb.614:                              ;   in Loop: Header=BB2_611 Depth=2
	v_and_b32_e32 v97, 0xffff, v98
	v_or_b32_e32 v99, 0x10000, v98
	s_delay_alu instid0(VALU_DEP_2) | instskip(NEXT) | instid1(VALU_DEP_2)
	v_cmp_eq_u32_e32 vcc_lo, 0, v97
	v_cndmask_b32_e32 v97, v99, v98, vcc_lo
; %bb.615:                              ;   in Loop: Header=BB2_611 Depth=2
	s_or_b32 exec_lo, exec_lo, s22
	flat_load_u16 v98, v[10:11] offset:64 th:TH_LOAD_NT
	s_wait_loadcnt_dscnt 0x0
	v_lshlrev_b32_e32 v98, 16, v98
	s_delay_alu instid0(VALU_DEP_1) | instskip(NEXT) | instid1(VALU_DEP_1)
	v_mul_f32_e32 v99, v96, v98
	v_and_b32_e32 v98, 0x7f800000, v99
	s_delay_alu instid0(VALU_DEP_1) | instskip(SKIP_2) | instid1(SALU_CYCLE_1)
	v_cmp_ne_u32_e32 vcc_lo, 0x7f800000, v98
                                        ; implicit-def: $vgpr98
	s_wait_xcnt 0x0
	s_and_saveexec_b32 s22, vcc_lo
	s_xor_b32 s22, exec_lo, s22
; %bb.616:                              ;   in Loop: Header=BB2_611 Depth=2
	v_bfe_u32 v98, v99, 16, 1
	s_delay_alu instid0(VALU_DEP_1)
	v_add3_u32 v98, v99, v98, 0x7fff
                                        ; implicit-def: $vgpr99
; %bb.617:                              ;   in Loop: Header=BB2_611 Depth=2
	s_and_not1_saveexec_b32 s22, s22
; %bb.618:                              ;   in Loop: Header=BB2_611 Depth=2
	v_and_b32_e32 v98, 0xffff, v99
	v_or_b32_e32 v100, 0x10000, v99
	s_delay_alu instid0(VALU_DEP_2) | instskip(NEXT) | instid1(VALU_DEP_2)
	v_cmp_eq_u32_e32 vcc_lo, 0, v98
	v_cndmask_b32_e32 v98, v100, v99, vcc_lo
; %bb.619:                              ;   in Loop: Header=BB2_611 Depth=2
	s_or_b32 exec_lo, exec_lo, s22
	flat_load_u16 v99, v[10:11] offset:128 th:TH_LOAD_NT
	s_wait_loadcnt_dscnt 0x0
	v_lshlrev_b32_e32 v99, 16, v99
	s_delay_alu instid0(VALU_DEP_1) | instskip(NEXT) | instid1(VALU_DEP_1)
	v_mul_f32_e32 v100, v96, v99
	v_and_b32_e32 v99, 0x7f800000, v100
	s_delay_alu instid0(VALU_DEP_1) | instskip(SKIP_2) | instid1(SALU_CYCLE_1)
	v_cmp_ne_u32_e32 vcc_lo, 0x7f800000, v99
                                        ; implicit-def: $vgpr99
	s_wait_xcnt 0x0
	s_and_saveexec_b32 s22, vcc_lo
	s_xor_b32 s22, exec_lo, s22
; %bb.620:                              ;   in Loop: Header=BB2_611 Depth=2
	v_bfe_u32 v99, v100, 16, 1
	s_delay_alu instid0(VALU_DEP_1)
	v_add3_u32 v99, v100, v99, 0x7fff
                                        ; implicit-def: $vgpr100
; %bb.621:                              ;   in Loop: Header=BB2_611 Depth=2
	s_and_not1_saveexec_b32 s22, s22
; %bb.622:                              ;   in Loop: Header=BB2_611 Depth=2
	v_and_b32_e32 v99, 0xffff, v100
	v_or_b32_e32 v101, 0x10000, v100
	s_delay_alu instid0(VALU_DEP_2) | instskip(NEXT) | instid1(VALU_DEP_2)
	v_cmp_eq_u32_e32 vcc_lo, 0, v99
	v_cndmask_b32_e32 v99, v101, v100, vcc_lo
; %bb.623:                              ;   in Loop: Header=BB2_611 Depth=2
	s_or_b32 exec_lo, exec_lo, s22
	flat_load_u16 v100, v[10:11] offset:192 th:TH_LOAD_NT
	s_wait_loadcnt_dscnt 0x0
	v_lshlrev_b32_e32 v100, 16, v100
	s_delay_alu instid0(VALU_DEP_1) | instskip(NEXT) | instid1(VALU_DEP_1)
	v_mul_f32_e32 v101, v96, v100
	v_and_b32_e32 v100, 0x7f800000, v101
	s_delay_alu instid0(VALU_DEP_1) | instskip(SKIP_2) | instid1(SALU_CYCLE_1)
	v_cmp_ne_u32_e32 vcc_lo, 0x7f800000, v100
                                        ; implicit-def: $vgpr100
	s_wait_xcnt 0x0
	s_and_saveexec_b32 s22, vcc_lo
	s_xor_b32 s22, exec_lo, s22
; %bb.624:                              ;   in Loop: Header=BB2_611 Depth=2
	v_bfe_u32 v100, v101, 16, 1
	s_delay_alu instid0(VALU_DEP_1)
	v_add3_u32 v100, v101, v100, 0x7fff
                                        ; implicit-def: $vgpr101
; %bb.625:                              ;   in Loop: Header=BB2_611 Depth=2
	s_and_not1_saveexec_b32 s22, s22
; %bb.626:                              ;   in Loop: Header=BB2_611 Depth=2
	v_and_b32_e32 v100, 0xffff, v101
	v_or_b32_e32 v102, 0x10000, v101
	s_delay_alu instid0(VALU_DEP_2) | instskip(NEXT) | instid1(VALU_DEP_2)
	v_cmp_eq_u32_e32 vcc_lo, 0, v100
	v_cndmask_b32_e32 v100, v102, v101, vcc_lo
; %bb.627:                              ;   in Loop: Header=BB2_611 Depth=2
	s_or_b32 exec_lo, exec_lo, s22
	s_clause 0x3
	flat_load_u16 v102, v[12:13] offset:128 th:TH_LOAD_NT
	flat_load_u16 v101, v[12:13] offset:192 th:TH_LOAD_NT
	flat_load_u16 v112, v[12:13] th:TH_LOAD_NT
	flat_load_u16 v103, v[12:13] offset:64 th:TH_LOAD_NT
	v_and_b32_e32 v97, 0xffff0000, v97
	s_wait_loadcnt_dscnt 0x101
	v_lshlrev_b32_e32 v112, 16, v112
	s_delay_alu instid0(VALU_DEP_1) | instskip(NEXT) | instid1(VALU_DEP_1)
	v_add_f32_e32 v112, v97, v112
	v_and_b32_e32 v97, 0x7f800000, v112
	s_delay_alu instid0(VALU_DEP_1) | instskip(SKIP_2) | instid1(SALU_CYCLE_1)
	v_cmp_ne_u32_e32 vcc_lo, 0x7f800000, v97
                                        ; implicit-def: $vgpr97
	s_wait_xcnt 0x0
	s_and_saveexec_b32 s22, vcc_lo
	s_xor_b32 s22, exec_lo, s22
; %bb.628:                              ;   in Loop: Header=BB2_611 Depth=2
	v_bfe_u32 v97, v112, 16, 1
	s_delay_alu instid0(VALU_DEP_1)
	v_add3_u32 v97, v112, v97, 0x7fff
                                        ; implicit-def: $vgpr112
; %bb.629:                              ;   in Loop: Header=BB2_611 Depth=2
	s_and_not1_saveexec_b32 s22, s22
; %bb.630:                              ;   in Loop: Header=BB2_611 Depth=2
	v_and_b32_e32 v97, 0xffff, v112
	v_or_b32_e32 v113, 0x10000, v112
	s_delay_alu instid0(VALU_DEP_2) | instskip(NEXT) | instid1(VALU_DEP_2)
	v_cmp_eq_u32_e32 vcc_lo, 0, v97
	v_cndmask_b32_e32 v97, v113, v112, vcc_lo
; %bb.631:                              ;   in Loop: Header=BB2_611 Depth=2
	s_or_b32 exec_lo, exec_lo, s22
	v_and_b32_e32 v98, 0xffff0000, v98
	s_wait_loadcnt_dscnt 0x0
	v_lshlrev_b32_e32 v103, 16, v103
	s_delay_alu instid0(VALU_DEP_1) | instskip(NEXT) | instid1(VALU_DEP_1)
	v_add_f32_e32 v103, v98, v103
	v_and_b32_e32 v98, 0x7f800000, v103
	s_delay_alu instid0(VALU_DEP_1) | instskip(SKIP_1) | instid1(SALU_CYCLE_1)
	v_cmp_ne_u32_e32 vcc_lo, 0x7f800000, v98
                                        ; implicit-def: $vgpr98
	s_and_saveexec_b32 s22, vcc_lo
	s_xor_b32 s22, exec_lo, s22
; %bb.632:                              ;   in Loop: Header=BB2_611 Depth=2
	v_bfe_u32 v98, v103, 16, 1
	s_delay_alu instid0(VALU_DEP_1)
	v_add3_u32 v98, v103, v98, 0x7fff
                                        ; implicit-def: $vgpr103
; %bb.633:                              ;   in Loop: Header=BB2_611 Depth=2
	s_and_not1_saveexec_b32 s22, s22
; %bb.634:                              ;   in Loop: Header=BB2_611 Depth=2
	v_and_b32_e32 v98, 0xffff, v103
	v_or_b32_e32 v112, 0x10000, v103
	s_delay_alu instid0(VALU_DEP_2) | instskip(NEXT) | instid1(VALU_DEP_2)
	v_cmp_eq_u32_e32 vcc_lo, 0, v98
	v_cndmask_b32_e32 v98, v112, v103, vcc_lo
; %bb.635:                              ;   in Loop: Header=BB2_611 Depth=2
	s_or_b32 exec_lo, exec_lo, s22
	v_and_b32_e32 v99, 0xffff0000, v99
	v_lshlrev_b32_e32 v102, 16, v102
	s_delay_alu instid0(VALU_DEP_1) | instskip(NEXT) | instid1(VALU_DEP_1)
	v_add_f32_e32 v102, v99, v102
	v_and_b32_e32 v99, 0x7f800000, v102
	s_delay_alu instid0(VALU_DEP_1) | instskip(SKIP_1) | instid1(SALU_CYCLE_1)
	v_cmp_ne_u32_e32 vcc_lo, 0x7f800000, v99
                                        ; implicit-def: $vgpr99
	s_and_saveexec_b32 s22, vcc_lo
	s_xor_b32 s22, exec_lo, s22
; %bb.636:                              ;   in Loop: Header=BB2_611 Depth=2
	v_bfe_u32 v99, v102, 16, 1
	s_delay_alu instid0(VALU_DEP_1)
	v_add3_u32 v99, v102, v99, 0x7fff
                                        ; implicit-def: $vgpr102
; %bb.637:                              ;   in Loop: Header=BB2_611 Depth=2
	s_and_not1_saveexec_b32 s22, s22
; %bb.638:                              ;   in Loop: Header=BB2_611 Depth=2
	v_and_b32_e32 v99, 0xffff, v102
	v_or_b32_e32 v103, 0x10000, v102
	s_delay_alu instid0(VALU_DEP_2) | instskip(NEXT) | instid1(VALU_DEP_2)
	v_cmp_eq_u32_e32 vcc_lo, 0, v99
	v_cndmask_b32_e32 v99, v103, v102, vcc_lo
; %bb.639:                              ;   in Loop: Header=BB2_611 Depth=2
	s_or_b32 exec_lo, exec_lo, s22
	v_and_b32_e32 v100, 0xffff0000, v100
	v_lshlrev_b32_e32 v101, 16, v101
	s_delay_alu instid0(VALU_DEP_1) | instskip(NEXT) | instid1(VALU_DEP_1)
	v_add_f32_e32 v101, v100, v101
	v_and_b32_e32 v100, 0x7f800000, v101
	s_delay_alu instid0(VALU_DEP_1) | instskip(SKIP_1) | instid1(SALU_CYCLE_1)
	v_cmp_ne_u32_e32 vcc_lo, 0x7f800000, v100
                                        ; implicit-def: $vgpr100
	s_and_saveexec_b32 s22, vcc_lo
	s_xor_b32 s22, exec_lo, s22
; %bb.640:                              ;   in Loop: Header=BB2_611 Depth=2
	v_bfe_u32 v100, v101, 16, 1
	s_delay_alu instid0(VALU_DEP_1)
	v_add3_u32 v100, v101, v100, 0x7fff
                                        ; implicit-def: $vgpr101
; %bb.641:                              ;   in Loop: Header=BB2_611 Depth=2
	s_and_not1_saveexec_b32 s22, s22
	s_cbranch_execz .LBB2_610
; %bb.642:                              ;   in Loop: Header=BB2_611 Depth=2
	v_and_b32_e32 v100, 0xffff, v101
	v_or_b32_e32 v102, 0x10000, v101
	s_delay_alu instid0(VALU_DEP_2) | instskip(NEXT) | instid1(VALU_DEP_2)
	v_cmp_eq_u32_e32 vcc_lo, 0, v100
	v_cndmask_b32_e32 v100, v102, v101, vcc_lo
	s_branch .LBB2_610
.LBB2_643:                              ;   in Loop: Header=BB2_397 Depth=1
	s_or_b32 exec_lo, exec_lo, s21
.LBB2_644:                              ;   in Loop: Header=BB2_397 Depth=1
	s_delay_alu instid0(SALU_CYCLE_1) | instskip(SKIP_1) | instid1(VALU_DEP_1)
	s_or_b32 exec_lo, exec_lo, s20
	v_lshlrev_b32_e32 v10, 8, v87
	v_cmp_ne_u32_e32 vcc_lo, v85, v10
	s_and_b32 exec_lo, exec_lo, vcc_lo
	s_cbranch_execz .LBB2_656
; %bb.645:                              ;   in Loop: Header=BB2_397 Depth=1
	v_dual_lshlrev_b32 v11, 5, v80 :: v_dual_lshlrev_b32 v12, 5, v81
	s_delay_alu instid0(VALU_DEP_1) | instskip(NEXT) | instid1(VALU_DEP_1)
	v_sub_nc_u32_e32 v11, v71, v11
	v_sub_nc_u32_e32 v11, v11, v12
	s_delay_alu instid0(VALU_DEP_1) | instskip(NEXT) | instid1(VALU_DEP_1)
	v_ashrrev_i32_e32 v12, 31, v11
	v_lshrrev_b32_e32 v12, 27, v12
	s_delay_alu instid0(VALU_DEP_1) | instskip(NEXT) | instid1(VALU_DEP_1)
	v_add_nc_u32_e32 v12, v11, v12
	v_and_b32_e32 v13, 0x7fffffe0, v12
	s_delay_alu instid0(VALU_DEP_1) | instskip(NEXT) | instid1(VALU_DEP_1)
	v_dual_lshlrev_b32 v12, 1, v12 :: v_dual_sub_nc_u32 v11, v11, v13
	v_and_b32_e32 v12, 0xffffffc0, v12
	s_delay_alu instid0(VALU_DEP_2) | instskip(NEXT) | instid1(VALU_DEP_1)
	v_lshlrev_b32_e32 v11, 1, v11
	v_add3_u32 v10, v12, v11, v10
	s_delay_alu instid0(VALU_DEP_1) | instskip(NEXT) | instid1(VALU_DEP_1)
	v_sub_nc_u32_e32 v68, v85, v10
	v_cmp_lt_i32_e32 vcc_lo, 1, v68
	s_and_b32 exec_lo, exec_lo, vcc_lo
	s_cbranch_execz .LBB2_656
; %bb.646:                              ;   in Loop: Header=BB2_397 Depth=1
	s_trap 2
	ds_load_b64 v[12:13], v0
	ds_load_b32 v69, v0
	v_add_nc_u32_e32 v70, v10, v70
	s_mov_b32 s20, 0
	s_delay_alu instid0(VALU_DEP_1) | instskip(NEXT) | instid1(VALU_DEP_1)
	v_ashrrev_i32_e32 v71, 31, v70
	v_add_nc_u64_e32 v[10:11], v[70:71], v[64:65]
	v_add_nc_u64_e32 v[64:65], v[70:71], v[66:67]
	s_wait_dscnt 0x0
	v_lshlrev_b32_e32 v66, 16, v69
	v_add_nc_u64_e32 v[12:13], v[12:13], v[70:71]
	s_branch .LBB2_648
.LBB2_647:                              ;   in Loop: Header=BB2_648 Depth=2
	s_or_b32 exec_lo, exec_lo, s21
	v_sub_nc_u32_e32 v68, v68, v50
	flat_store_d16_hi_b16 v[64:65], v67 th:TH_STORE_NT
	v_add_nc_u64_e32 v[10:11], v[10:11], v[50:51]
	v_add_nc_u64_e32 v[12:13], v[12:13], v[50:51]
	s_wait_xcnt 0x0
	v_add_nc_u64_e32 v[64:65], v[64:65], v[50:51]
	v_cmp_gt_i32_e32 vcc_lo, 2, v68
	s_or_b32 s20, vcc_lo, s20
	s_delay_alu instid0(SALU_CYCLE_1)
	s_and_not1_b32 exec_lo, exec_lo, s20
	s_cbranch_execz .LBB2_656
.LBB2_648:                              ;   Parent Loop BB2_397 Depth=1
                                        ; =>  This Inner Loop Header: Depth=2
	flat_load_u16 v67, v[10:11] th:TH_LOAD_NT
	s_wait_loadcnt_dscnt 0x0
	v_lshlrev_b32_e32 v67, 16, v67
	s_delay_alu instid0(VALU_DEP_1) | instskip(NEXT) | instid1(VALU_DEP_1)
	v_mul_f32_e32 v67, v66, v67
	v_and_b32_e32 v69, 0x7f800000, v67
	s_delay_alu instid0(VALU_DEP_1) | instskip(SKIP_2) | instid1(SALU_CYCLE_1)
	v_cmp_ne_u32_e32 vcc_lo, 0x7f800000, v69
                                        ; implicit-def: $vgpr69
	s_wait_xcnt 0x0
	s_and_saveexec_b32 s21, vcc_lo
	s_xor_b32 s21, exec_lo, s21
; %bb.649:                              ;   in Loop: Header=BB2_648 Depth=2
	v_bfe_u32 v69, v67, 16, 1
	s_delay_alu instid0(VALU_DEP_1)
	v_add3_u32 v69, v67, v69, 0x7fff
                                        ; implicit-def: $vgpr67
; %bb.650:                              ;   in Loop: Header=BB2_648 Depth=2
	s_and_not1_saveexec_b32 s21, s21
; %bb.651:                              ;   in Loop: Header=BB2_648 Depth=2
	v_and_b32_e32 v69, 0xffff, v67
	v_or_b32_e32 v70, 0x10000, v67
	s_delay_alu instid0(VALU_DEP_2) | instskip(NEXT) | instid1(VALU_DEP_2)
	v_cmp_eq_u32_e32 vcc_lo, 0, v69
	v_cndmask_b32_e32 v69, v70, v67, vcc_lo
; %bb.652:                              ;   in Loop: Header=BB2_648 Depth=2
	s_or_b32 exec_lo, exec_lo, s21
	flat_load_u16 v67, v[12:13] th:TH_LOAD_NT
	v_and_b32_e32 v69, 0xffff0000, v69
	s_wait_loadcnt_dscnt 0x0
	v_lshlrev_b32_e32 v67, 16, v67
	s_delay_alu instid0(VALU_DEP_1) | instskip(NEXT) | instid1(VALU_DEP_1)
	v_add_f32_e32 v69, v69, v67
	v_and_b32_e32 v67, 0x7f800000, v69
	s_delay_alu instid0(VALU_DEP_1) | instskip(SKIP_2) | instid1(SALU_CYCLE_1)
	v_cmp_ne_u32_e32 vcc_lo, 0x7f800000, v67
                                        ; implicit-def: $vgpr67
	s_wait_xcnt 0x0
	s_and_saveexec_b32 s21, vcc_lo
	s_xor_b32 s21, exec_lo, s21
; %bb.653:                              ;   in Loop: Header=BB2_648 Depth=2
	v_bfe_u32 v67, v69, 16, 1
	s_delay_alu instid0(VALU_DEP_1)
	v_add3_u32 v67, v69, v67, 0x7fff
                                        ; implicit-def: $vgpr69
; %bb.654:                              ;   in Loop: Header=BB2_648 Depth=2
	s_and_not1_saveexec_b32 s21, s21
	s_cbranch_execz .LBB2_647
; %bb.655:                              ;   in Loop: Header=BB2_648 Depth=2
	v_and_b32_e32 v67, 0xffff, v69
	v_or_b32_e32 v70, 0x10000, v69
	s_delay_alu instid0(VALU_DEP_2) | instskip(NEXT) | instid1(VALU_DEP_2)
	v_cmp_eq_u32_e32 vcc_lo, 0, v67
	v_cndmask_b32_e32 v67, v70, v69, vcc_lo
	s_branch .LBB2_647
.LBB2_656:                              ;   in Loop: Header=BB2_397 Depth=1
	s_or_b32 exec_lo, exec_lo, s7
	v_cmp_ne_u32_e64 s7, 0, v32
	s_and_saveexec_b32 s20, s2
	s_cbranch_execz .LBB2_675
.LBB2_657:                              ;   in Loop: Header=BB2_397 Depth=1
	s_and_saveexec_b32 s21, s3
	s_delay_alu instid0(SALU_CYCLE_1)
	s_xor_b32 s21, exec_lo, s21
	s_cbranch_execz .LBB2_672
; %bb.658:                              ;   in Loop: Header=BB2_397 Depth=1
	s_and_saveexec_b32 s22, s4
	s_cbranch_execz .LBB2_671
; %bb.659:                              ;   in Loop: Header=BB2_397 Depth=1
	s_mov_b32 s24, exec_lo
	s_mov_b32 s23, exec_lo
	v_mbcnt_lo_u32_b32 v10, s24, 0
	global_wb scope:SCOPE_DEV
	s_wait_storecnt 0x0
	s_wait_loadcnt_dscnt 0x0
	global_inv scope:SCOPE_DEV
	v_cmpx_eq_u32_e32 0, v10
	s_cbranch_execz .LBB2_661
; %bb.660:                              ;   in Loop: Header=BB2_397 Depth=1
	s_bcnt1_i32_b32 s24, s24
	s_delay_alu instid0(SALU_CYCLE_1)
	v_mov_b32_e32 v32, s24
	s_wait_loadcnt 0x0
	ds_add_u64 v0, v[32:33]
	s_trap 2
.LBB2_661:                              ;   in Loop: Header=BB2_397 Depth=1
	s_or_b32 exec_lo, exec_lo, s23
	s_trap 2
	ds_load_b64 v[10:11], v0
	s_wait_dscnt 0x0
	v_add_nc_u64_e32 v[24:25], v[24:25], v[34:35]
	s_mov_b32 s23, exec_lo
	s_delay_alu instid0(VALU_DEP_1)
	v_cmpx_lt_u64_e64 v[10:11], v[24:25]
	s_cbranch_execz .LBB2_670
; %bb.662:                              ;   in Loop: Header=BB2_397 Depth=1
	s_mov_b32 s24, 0
	s_mov_b32 s27, 0
                                        ; implicit-def: $sgpr25
                                        ; implicit-def: $sgpr26
	s_branch .LBB2_664
.LBB2_663:                              ;   in Loop: Header=BB2_664 Depth=2
	s_or_b32 exec_lo, exec_lo, s29
	s_delay_alu instid0(SALU_CYCLE_1) | instskip(NEXT) | instid1(SALU_CYCLE_1)
	s_and_b32 s28, exec_lo, s40
	s_or_b32 s24, s28, s24
	s_and_not1_b32 s25, s25, exec_lo
	s_and_b32 s28, s26, exec_lo
	s_delay_alu instid0(SALU_CYCLE_1)
	s_or_b32 s25, s25, s28
	s_and_not1_b32 exec_lo, exec_lo, s24
	s_cbranch_execz .LBB2_668
.LBB2_664:                              ;   Parent Loop BB2_397 Depth=1
                                        ; =>  This Inner Loop Header: Depth=2
	s_add_co_i32 s27, s27, 1
	s_delay_alu instid0(SALU_CYCLE_1) | instskip(SKIP_1) | instid1(SALU_CYCLE_1)
	s_cmp_lg_u32 s27, 0x2710
	s_cselect_b32 s28, -1, 0
	s_and_b32 vcc_lo, exec_lo, s28
	s_cbranch_vccz .LBB2_666
; %bb.665:                              ;   in Loop: Header=BB2_664 Depth=2
	s_mov_b32 s40, -1
	s_or_b32 s26, s26, exec_lo
	s_and_saveexec_b32 s29, s28
	s_cbranch_execz .LBB2_663
	s_branch .LBB2_667
.LBB2_666:                              ;   in Loop: Header=BB2_664 Depth=2
	s_trap 2
	ds_load_b64 v[10:11], v0
	s_and_not1_b32 s28, s28, exec_lo
	s_mov_b32 s27, 0
	s_wait_loadcnt_dscnt 0x0
	flat_load_b32 v10, v[10:11] scope:SCOPE_SYS
	s_wait_loadcnt_dscnt 0x0
	global_inv scope:SCOPE_SYS
	v_cmp_eq_u32_e32 vcc_lo, 0, v10
	s_and_b32 s29, vcc_lo, exec_lo
	s_delay_alu instid0(SALU_CYCLE_1)
	s_or_b32 s28, s28, s29
	s_mov_b32 s40, -1
	s_or_b32 s26, s26, exec_lo
	s_and_saveexec_b32 s29, s28
	s_cbranch_execz .LBB2_663
.LBB2_667:                              ;   in Loop: Header=BB2_664 Depth=2
	s_sleep 1
	s_trap 2
	ds_load_b64 v[10:11], v0
	s_wait_dscnt 0x0
	s_and_not1_b32 s26, s26, exec_lo
	v_cmp_ge_u64_e32 vcc_lo, v[10:11], v[24:25]
	s_or_not1_b32 s40, vcc_lo, exec_lo
	s_branch .LBB2_663
.LBB2_668:                              ;   in Loop: Header=BB2_397 Depth=1
	s_or_b32 exec_lo, exec_lo, s24
	s_and_saveexec_b32 s24, s25
	s_delay_alu instid0(SALU_CYCLE_1)
	s_xor_b32 s24, exec_lo, s24
	s_cbranch_execz .LBB2_670
; %bb.669:                              ;   in Loop: Header=BB2_397 Depth=1
	ds_store_b32 v0, v84
	s_trap 2
.LBB2_670:                              ;   in Loop: Header=BB2_397 Depth=1
	s_or_b32 exec_lo, exec_lo, s23
	;;#ASMSTART
	s_wakeup
	;;#ASMEND
.LBB2_671:                              ;   in Loop: Header=BB2_397 Depth=1
	s_or_b32 exec_lo, exec_lo, s22
.LBB2_672:                              ;   in Loop: Header=BB2_397 Depth=1
	s_and_not1_saveexec_b32 s21, s21
	s_cbranch_execz .LBB2_674
; %bb.673:                              ;   in Loop: Header=BB2_397 Depth=1
	global_wb scope:SCOPE_DEV
	s_wait_storecnt 0x0
	s_wait_loadcnt_dscnt 0x0
	global_inv scope:SCOPE_DEV
	s_barrier_signal -1
	s_barrier_wait -1
.LBB2_674:                              ;   in Loop: Header=BB2_397 Depth=1
	s_or_b32 exec_lo, exec_lo, s21
.LBB2_675:                              ;   in Loop: Header=BB2_397 Depth=1
	s_delay_alu instid0(SALU_CYCLE_1) | instskip(SKIP_1) | instid1(VALU_DEP_1)
	s_or_b32 exec_lo, exec_lo, s20
	v_and_b32_e32 v10, 16, v30
	v_cmp_ne_u32_e32 vcc_lo, 0, v10
	s_and_b32 s20, vcc_lo, s7
	s_delay_alu instid0(SALU_CYCLE_1)
	s_and_saveexec_b32 s7, s20
	s_cbranch_execz .LBB2_677
; %bb.676:                              ;   in Loop: Header=BB2_397 Depth=1
	global_wb scope:SCOPE_SYS
	s_wait_storecnt 0x0
	s_wait_loadcnt_dscnt 0x0
	global_inv scope:SCOPE_SYS
.LBB2_677:                              ;   in Loop: Header=BB2_397 Depth=1
	s_or_b32 exec_lo, exec_lo, s7
	v_and_b32_e32 v10, 32, v30
	s_mov_b32 s7, exec_lo
	s_delay_alu instid0(VALU_DEP_1)
	v_cmpx_ne_u32_e32 0, v10
	s_cbranch_execz .LBB2_679
; %bb.678:                              ;   in Loop: Header=BB2_397 Depth=1
	v_add_nc_u64_e32 v[8:9], 1, v[8:9]
	global_wb scope:SCOPE_SYS
	s_wait_storecnt 0x0
	s_wait_loadcnt_dscnt 0x0
	flat_store_b64 v[18:19], v[8:9] scope:SCOPE_SYS
.LBB2_679:                              ;   in Loop: Header=BB2_397 Depth=1
	s_wait_xcnt 0x0
	s_or_b32 exec_lo, exec_lo, s7
	v_mov_b32_e32 v64, v55
.LBB2_680:                              ;   in Loop: Header=BB2_397 Depth=1
	s_or_b32 exec_lo, exec_lo, s19
	s_and_saveexec_b32 s19, s18
	s_cbranch_execz .LBB2_396
; %bb.681:                              ;   in Loop: Header=BB2_397 Depth=1
	v_and_b32_e32 v10, 4, v30
	s_mov_b32 s18, exec_lo
	s_delay_alu instid0(VALU_DEP_1)
	v_cmpx_ne_u32_e32 0, v10
	s_cbranch_execz .LBB2_703
; %bb.682:                              ;   in Loop: Header=BB2_397 Depth=1
	v_add_nc_u64_e32 v[10:11], 1, v[8:9]
	s_mov_b32 s20, exec_lo
	s_wait_loadcnt 0x0
	s_delay_alu instid0(VALU_DEP_1)
	v_cmpx_lt_u64_e64 v[26:27], v[10:11]
	s_cbranch_execz .LBB2_694
; %bb.683:                              ;   in Loop: Header=BB2_397 Depth=1
	v_and_b32_e32 v9, 64, v30
	s_mov_b32 s21, 0
	s_mov_b32 s25, 0
                                        ; implicit-def: $sgpr22
                                        ; implicit-def: $sgpr23
                                        ; implicit-def: $sgpr24
	s_delay_alu instid0(VALU_DEP_1)
	v_cmp_eq_u32_e32 vcc_lo, 0, v9
	s_branch .LBB2_687
.LBB2_684:                              ;   in Loop: Header=BB2_687 Depth=2
	s_wait_loadcnt_dscnt 0x0
	v_cmp_ge_u64_e64 s7, v[26:27], v[10:11]
	s_or_b32 s28, s28, exec_lo
	s_or_not1_b32 s27, s7, exec_lo
.LBB2_685:                              ;   in Loop: Header=BB2_687 Depth=2
	s_or_b32 exec_lo, exec_lo, s40
	s_delay_alu instid0(SALU_CYCLE_1)
	s_and_not1_b32 s7, s24, exec_lo
	s_and_b32 s24, s28, exec_lo
	s_and_not1_b32 s23, s23, exec_lo
	s_and_b32 s27, s27, exec_lo
	s_or_b32 s24, s7, s24
	s_or_b32 s23, s23, s27
.LBB2_686:                              ;   in Loop: Header=BB2_687 Depth=2
	s_or_b32 exec_lo, exec_lo, s26
	s_delay_alu instid0(SALU_CYCLE_1) | instskip(NEXT) | instid1(SALU_CYCLE_1)
	s_and_b32 s7, exec_lo, s23
	s_or_b32 s21, s7, s21
	s_and_not1_b32 s7, s22, exec_lo
	s_and_b32 s22, s24, exec_lo
	s_delay_alu instid0(SALU_CYCLE_1)
	s_or_b32 s22, s7, s22
	s_and_not1_b32 exec_lo, exec_lo, s21
	s_cbranch_execz .LBB2_691
.LBB2_687:                              ;   Parent Loop BB2_397 Depth=1
                                        ; =>  This Inner Loop Header: Depth=2
	s_sleep 1
	s_wait_loadcnt_dscnt 0x0
	flat_load_b64 v[26:27], v[18:19] scope:SCOPE_SYS
	s_or_b32 s24, s24, exec_lo
	s_or_b32 s23, s23, exec_lo
                                        ; implicit-def: $vgpr9
	s_wait_xcnt 0x0
	s_and_saveexec_b32 s26, vcc_lo
	s_cbranch_execz .LBB2_686
; %bb.688:                              ;   in Loop: Header=BB2_687 Depth=2
	s_cmp_lt_i32 s25, 0x270f
	s_mov_b32 s27, -1
	s_cselect_b32 s29, -1, 0
	s_cmp_gt_i32 s25, 0x270e
	s_cbranch_scc0 .LBB2_690
; %bb.689:                              ;   in Loop: Header=BB2_687 Depth=2
	s_trap 2
	ds_load_b64 v[12:13], v0
	s_and_not1_b32 s25, s29, exec_lo
	s_mov_b32 s28, 0
	s_wait_storecnt 0x0
	s_wait_loadcnt_dscnt 0x0
	flat_load_b32 v9, v[12:13] scope:SCOPE_SYS
	s_wait_loadcnt_dscnt 0x0
	global_inv scope:SCOPE_SYS
	v_cmp_eq_u32_e64 s7, 0, v9
	s_and_b32 s7, s7, exec_lo
	s_delay_alu instid0(SALU_CYCLE_1)
	s_or_b32 s29, s25, s7
	s_mov_b32 s25, 0
	s_and_saveexec_b32 s40, s29
	s_cbranch_execz .LBB2_685
	s_branch .LBB2_684
.LBB2_690:                              ;   in Loop: Header=BB2_687 Depth=2
	s_add_co_i32 s25, s25, 1
	s_mov_b32 s28, -1
                                        ; implicit-def: $vgpr9
	s_and_saveexec_b32 s40, s29
	s_cbranch_execz .LBB2_685
	s_branch .LBB2_684
.LBB2_691:                              ;   in Loop: Header=BB2_397 Depth=1
	s_or_b32 exec_lo, exec_lo, s21
	s_xor_b32 s7, s22, -1
	s_delay_alu instid0(SALU_CYCLE_1) | instskip(NEXT) | instid1(SALU_CYCLE_1)
	s_and_saveexec_b32 s21, s7
	s_xor_b32 s7, exec_lo, s21
	s_cbranch_execz .LBB2_693
; %bb.692:                              ;   in Loop: Header=BB2_397 Depth=1
	v_or_b32_e32 v30, 64, v30
	s_wait_storecnt 0x0
	s_wait_loadcnt_dscnt 0x0
	ds_store_b32 v0, v9
	s_trap 2
.LBB2_693:                              ;   in Loop: Header=BB2_397 Depth=1
	s_or_b32 exec_lo, exec_lo, s7
.LBB2_694:                              ;   in Loop: Header=BB2_397 Depth=1
	s_delay_alu instid0(SALU_CYCLE_1) | instskip(SKIP_4) | instid1(VALU_DEP_2)
	s_or_b32 exec_lo, exec_lo, s20
	v_and_b32_e32 v9, 0x100, v30
	v_and_b32_e32 v32, 7, v8
	s_mov_b32 s7, -1
	;;#ASMSTART
	s_wakeup
	;;#ASMEND
	v_cmp_ne_u32_e32 vcc_lo, 0, v9
                                        ; implicit-def: $vgpr8_vgpr9
	s_and_saveexec_b32 s20, vcc_lo
	s_cbranch_execz .LBB2_698
; %bb.695:                              ;   in Loop: Header=BB2_397 Depth=1
	v_mad_nc_u64_u32 v[12:13], v32, 24, v[6:7]
	flat_load_b32 v8, v[12:13]
	s_wait_loadcnt_dscnt 0x0
	v_cmp_eq_u32_e64 s7, 1, v8
	v_cmp_ne_u32_e32 vcc_lo, 1, v8
                                        ; implicit-def: $vgpr8_vgpr9
	s_wait_xcnt 0x0
	s_and_saveexec_b32 s21, s7
	s_cbranch_execz .LBB2_697
; %bb.696:                              ;   in Loop: Header=BB2_397 Depth=1
	flat_load_b32 v8, v[12:13] offset:4 scope:SCOPE_SYS
	s_wait_loadcnt_dscnt 0x0
	v_ashrrev_i32_e32 v9, 31, v8
	s_delay_alu instid0(VALU_DEP_1)
	v_lshrrev_b64 v[8:9], 1, v[8:9]
.LBB2_697:                              ;   in Loop: Header=BB2_397 Depth=1
	s_wait_xcnt 0x0
	s_or_b32 exec_lo, exec_lo, s21
	s_delay_alu instid0(SALU_CYCLE_1)
	s_or_not1_b32 s7, vcc_lo, exec_lo
.LBB2_698:                              ;   in Loop: Header=BB2_397 Depth=1
	s_or_b32 exec_lo, exec_lo, s20
	s_and_saveexec_b32 s20, s7
; %bb.699:                              ;   in Loop: Header=BB2_397 Depth=1
	v_mul_u64_e32 v[8:9], v[32:33], v[20:21]
; %bb.700:                              ;   in Loop: Header=BB2_397 Depth=1
	s_or_b32 exec_lo, exec_lo, s20
	v_and_b32_e32 v12, 0x2000, v30
	s_delay_alu instid0(VALU_DEP_2)
	v_lshl_add_u64 v[8:9], v[8:9], 1, v[22:23]
	s_mov_b32 s7, exec_lo
	ds_store_b64 v0, v[8:9] offset:728
	v_cmpx_ne_u32_e32 0, v12
	s_cbranch_execz .LBB2_702
; %bb.701:                              ;   in Loop: Header=BB2_397 Depth=1
	ds_load_b64 v[8:9], v0 offset:872
	s_wait_dscnt 0x0
	v_add_nc_u64_e32 v[8:9], 1, v[8:9]
	ds_store_b64 v0, v[8:9] offset:872
.LBB2_702:                              ;   in Loop: Header=BB2_397 Depth=1
	s_or_b32 exec_lo, exec_lo, s7
	v_mov_b64_e32 v[8:9], v[10:11]
.LBB2_703:                              ;   in Loop: Header=BB2_397 Depth=1
	s_or_b32 exec_lo, exec_lo, s18
	s_and_saveexec_b32 s7, s2
	s_cbranch_execz .LBB2_722
; %bb.704:                              ;   in Loop: Header=BB2_397 Depth=1
	s_and_saveexec_b32 s18, s3
	s_delay_alu instid0(SALU_CYCLE_1)
	s_xor_b32 s18, exec_lo, s18
	s_cbranch_execz .LBB2_719
; %bb.705:                              ;   in Loop: Header=BB2_397 Depth=1
	s_and_saveexec_b32 s20, s4
	s_cbranch_execz .LBB2_718
; %bb.706:                              ;   in Loop: Header=BB2_397 Depth=1
	s_mov_b32 s22, exec_lo
	s_mov_b32 s21, exec_lo
	v_mbcnt_lo_u32_b32 v10, s22, 0
	global_wb scope:SCOPE_DEV
	s_wait_storecnt 0x0
	s_wait_loadcnt_dscnt 0x0
	global_inv scope:SCOPE_DEV
	v_cmpx_eq_u32_e32 0, v10
	s_cbranch_execz .LBB2_708
; %bb.707:                              ;   in Loop: Header=BB2_397 Depth=1
	s_bcnt1_i32_b32 s22, s22
	s_delay_alu instid0(SALU_CYCLE_1)
	v_mov_b32_e32 v32, s22
	s_wait_loadcnt 0x0
	ds_add_u64 v0, v[32:33]
	s_trap 2
.LBB2_708:                              ;   in Loop: Header=BB2_397 Depth=1
	s_or_b32 exec_lo, exec_lo, s21
	s_trap 2
	ds_load_b64 v[10:11], v0
	s_wait_dscnt 0x0
	v_add_nc_u64_e32 v[24:25], v[24:25], v[34:35]
	s_mov_b32 s21, exec_lo
	s_delay_alu instid0(VALU_DEP_1)
	v_cmpx_lt_u64_e64 v[10:11], v[24:25]
	s_cbranch_execz .LBB2_717
; %bb.709:                              ;   in Loop: Header=BB2_397 Depth=1
	s_mov_b32 s22, 0
	s_mov_b32 s25, 0
                                        ; implicit-def: $sgpr23
                                        ; implicit-def: $sgpr24
	s_branch .LBB2_711
.LBB2_710:                              ;   in Loop: Header=BB2_711 Depth=2
	s_or_b32 exec_lo, exec_lo, s27
	s_delay_alu instid0(SALU_CYCLE_1) | instskip(NEXT) | instid1(SALU_CYCLE_1)
	s_and_b32 s26, exec_lo, s28
	s_or_b32 s22, s26, s22
	s_and_not1_b32 s23, s23, exec_lo
	s_and_b32 s26, s24, exec_lo
	s_delay_alu instid0(SALU_CYCLE_1)
	s_or_b32 s23, s23, s26
	s_and_not1_b32 exec_lo, exec_lo, s22
	s_cbranch_execz .LBB2_715
.LBB2_711:                              ;   Parent Loop BB2_397 Depth=1
                                        ; =>  This Inner Loop Header: Depth=2
	s_add_co_i32 s25, s25, 1
	s_delay_alu instid0(SALU_CYCLE_1) | instskip(SKIP_1) | instid1(SALU_CYCLE_1)
	s_cmp_lg_u32 s25, 0x2710
	s_cselect_b32 s26, -1, 0
	s_and_b32 vcc_lo, exec_lo, s26
	s_cbranch_vccz .LBB2_713
; %bb.712:                              ;   in Loop: Header=BB2_711 Depth=2
	s_mov_b32 s28, -1
	s_or_b32 s24, s24, exec_lo
	s_and_saveexec_b32 s27, s26
	s_cbranch_execz .LBB2_710
	s_branch .LBB2_714
.LBB2_713:                              ;   in Loop: Header=BB2_711 Depth=2
	s_trap 2
	ds_load_b64 v[10:11], v0
	s_and_not1_b32 s26, s26, exec_lo
	s_mov_b32 s25, 0
	s_wait_loadcnt_dscnt 0x0
	flat_load_b32 v10, v[10:11] scope:SCOPE_SYS
	s_wait_loadcnt_dscnt 0x0
	global_inv scope:SCOPE_SYS
	v_cmp_eq_u32_e32 vcc_lo, 0, v10
	s_and_b32 s27, vcc_lo, exec_lo
	s_delay_alu instid0(SALU_CYCLE_1)
	s_or_b32 s26, s26, s27
	s_mov_b32 s28, -1
	s_or_b32 s24, s24, exec_lo
	s_and_saveexec_b32 s27, s26
	s_cbranch_execz .LBB2_710
.LBB2_714:                              ;   in Loop: Header=BB2_711 Depth=2
	s_sleep 1
	s_trap 2
	ds_load_b64 v[10:11], v0
	s_wait_dscnt 0x0
	s_and_not1_b32 s24, s24, exec_lo
	v_cmp_ge_u64_e32 vcc_lo, v[10:11], v[24:25]
	s_or_not1_b32 s28, vcc_lo, exec_lo
	s_branch .LBB2_710
.LBB2_715:                              ;   in Loop: Header=BB2_397 Depth=1
	s_or_b32 exec_lo, exec_lo, s22
	s_and_saveexec_b32 s22, s23
	s_delay_alu instid0(SALU_CYCLE_1)
	s_xor_b32 s22, exec_lo, s22
	s_cbranch_execz .LBB2_717
; %bb.716:                              ;   in Loop: Header=BB2_397 Depth=1
	ds_store_b32 v0, v84
	s_trap 2
.LBB2_717:                              ;   in Loop: Header=BB2_397 Depth=1
	s_or_b32 exec_lo, exec_lo, s21
	;;#ASMSTART
	s_wakeup
	;;#ASMEND
.LBB2_718:                              ;   in Loop: Header=BB2_397 Depth=1
	s_or_b32 exec_lo, exec_lo, s20
.LBB2_719:                              ;   in Loop: Header=BB2_397 Depth=1
	s_and_not1_saveexec_b32 s18, s18
	s_cbranch_execz .LBB2_721
; %bb.720:                              ;   in Loop: Header=BB2_397 Depth=1
	global_wb scope:SCOPE_DEV
	s_wait_storecnt 0x0
	s_wait_loadcnt_dscnt 0x0
	global_inv scope:SCOPE_DEV
	s_barrier_signal -1
	s_barrier_wait -1
.LBB2_721:                              ;   in Loop: Header=BB2_397 Depth=1
	s_or_b32 exec_lo, exec_lo, s18
.LBB2_722:                              ;   in Loop: Header=BB2_397 Depth=1
	s_delay_alu instid0(SALU_CYCLE_1)
	s_or_b32 exec_lo, exec_lo, s7
	s_trap 2
	ds_load_b32 v10, v0
	v_sub_nc_u32_e32 v11, v54, v64
	s_wait_dscnt 0x0
	v_readfirstlane_b32 s7, v10
	v_and_b32_e32 v10, 16, v30
	s_delay_alu instid0(VALU_DEP_3) | instskip(SKIP_1) | instid1(VALU_DEP_2)
	v_min_i32_e32 v11, v55, v11
	s_cmp_eq_u32 s7, 0
	v_cmp_ne_u32_e64 s7, 0, v10
	s_delay_alu instid0(VALU_DEP_2) | instskip(SKIP_1) | instid1(SALU_CYCLE_1)
	v_cmp_lt_i32_e32 vcc_lo, 0, v11
	s_cselect_b32 s18, -1, 0
	s_and_b32 s18, vcc_lo, s18
	s_delay_alu instid0(SALU_CYCLE_1) | instskip(NEXT) | instid1(SALU_CYCLE_1)
	s_and_b32 s18, s7, s18
	s_and_saveexec_b32 s7, s18
	s_cbranch_execz .LBB2_724
; %bb.723:                              ;   in Loop: Header=BB2_397 Depth=1
	global_wb scope:SCOPE_SYS
	s_wait_loadcnt 0x0
	s_wait_storecnt 0x0
	global_inv scope:SCOPE_SYS
.LBB2_724:                              ;   in Loop: Header=BB2_397 Depth=1
	s_or_b32 exec_lo, exec_lo, s7
	v_and_b32_e32 v10, 32, v30
	s_mov_b32 s7, exec_lo
	s_delay_alu instid0(VALU_DEP_1)
	v_cmpx_ne_u32_e32 0, v10
	s_cbranch_execz .LBB2_395
; %bb.725:                              ;   in Loop: Header=BB2_397 Depth=1
	v_add_nc_u64_e32 v[8:9], 1, v[8:9]
	global_wb scope:SCOPE_SYS
	s_wait_loadcnt 0x0
	s_wait_storecnt 0x0
	flat_store_b64 v[18:19], v[8:9] scope:SCOPE_SYS
	s_branch .LBB2_395
.LBB2_726:
	s_or_b32 exec_lo, exec_lo, s15
.LBB2_727:
	s_delay_alu instid0(SALU_CYCLE_1)
	s_or_b32 exec_lo, exec_lo, s14
.LBB2_728:
	s_delay_alu instid0(SALU_CYCLE_1)
	s_or_b32 exec_lo, exec_lo, s13
                                        ; implicit-def: $vgpr14_vgpr15
                                        ; implicit-def: $vgpr4_vgpr5
                                        ; implicit-def: $vgpr32_vgpr33
                                        ; implicit-def: $vgpr20
                                        ; implicit-def: $vgpr26_vgpr27
                                        ; implicit-def: $vgpr22_vgpr23
                                        ; implicit-def: $vgpr18_vgpr19
                                        ; implicit-def: $vgpr0
                                        ; implicit-def: $vgpr38
                                        ; implicit-def: $vgpr28_vgpr29
.LBB2_729:
	s_and_not1_saveexec_b32 s12, s12
	s_cbranch_execz .LBB2_1019
; %bb.730:
	v_mov_b64_e32 v[24:25], 0
	s_mov_b32 s13, exec_lo
	v_cmpx_ne_u64_e32 0, v[4:5]
	s_cbranch_execz .LBB2_1018
; %bb.731:
	v_dual_ashrrev_i32 v21, 31, v20 :: v_dual_bitop2_b32 v10, 31, v31 bitop3:0x40
	v_dual_mov_b32 v35, 0 :: v_dual_bitop2_b32 v87, 31, v0 bitop3:0x40
	v_dual_lshrrev_b32 v96, 5, v0 :: v_dual_lshrrev_b32 v36, 5, v1
	s_delay_alu instid0(VALU_DEP_3) | instskip(NEXT) | instid1(VALU_DEP_3)
	v_cmp_eq_u32_e64 s4, 0, v10
	v_dual_mov_b32 v37, v35 :: v_dual_lshlrev_b32 v10, 4, v87
	s_delay_alu instid0(VALU_DEP_3) | instskip(SKIP_2) | instid1(VALU_DEP_3)
	v_dual_lshlrev_b32 v11, 1, v1 :: v_dual_lshlrev_b32 v48, 9, v36
	s_lshr_b32 s2, s10, 27
	v_cmp_eq_u32_e32 vcc_lo, 32, v1
	v_lshl_or_b32 v34, v96, 10, v10
	v_mov_b64_e32 v[54:55], 0
	v_cmp_ne_u64_e64 s7, 0, v[32:33]
	v_mov_b64_e32 v[64:65], 0
	v_mov_b64_e32 v[24:25], 0
	;; [unrolled: 1-line block ×3, first 2 shown]
	v_cmp_ge_u32_e64 s1, v0, v1
	s_add_co_i32 s10, s10, s2
	v_cmp_ne_u32_e64 s2, 32, v1
	v_cmp_ne_u32_e64 s3, v1, v86
	v_cmp_eq_u32_e64 s5, 0, v87
	v_cmp_lt_u32_e64 s6, v87, v38
	v_dual_mov_b32 v39, v35 :: v_dual_lshlrev_b32 v38, 10, v36
	v_dual_mov_b32 v49, v35 :: v_dual_lshlrev_b32 v50, 8, v36
	v_dual_mov_b32 v51, v35 :: v_dual_mov_b32 v53, v35
	v_and_b32_e32 v52, 0x3fc0, v11
	v_mov_b32_e32 v97, 1
	s_ashr_i32 s15, s10, 5
	s_mov_b32 s14, 0
	s_xor_b32 s16, vcc_lo, -1
	s_trap 2
	s_branch .LBB2_735
.LBB2_732:                              ;   in Loop: Header=BB2_735 Depth=1
	s_wait_xcnt 0x0
	s_or_b32 exec_lo, exec_lo, s17
	v_add_nc_u64_e32 v[8:9], 1, v[8:9]
	global_wb scope:SCOPE_SYS
	s_wait_storecnt 0x0
	s_wait_loadcnt_dscnt 0x0
	flat_store_b64 v[18:19], v[8:9] scope:SCOPE_SYS
.LBB2_733:                              ;   in Loop: Header=BB2_735 Depth=1
	s_wait_xcnt 0x0
	s_or_b32 exec_lo, exec_lo, s10
.LBB2_734:                              ;   in Loop: Header=BB2_735 Depth=1
	s_delay_alu instid0(SALU_CYCLE_1) | instskip(SKIP_1) | instid1(VALU_DEP_1)
	s_or_b32 exec_lo, exec_lo, s18
	v_add_nc_u64_e32 v[64:65], v[64:65], v[28:29]
	v_cmp_ge_u64_e32 vcc_lo, v[64:65], v[4:5]
	s_or_b32 s14, vcc_lo, s14
	s_delay_alu instid0(SALU_CYCLE_1)
	s_and_not1_b32 exec_lo, exec_lo, s14
	s_cbranch_execz .LBB2_1017
.LBB2_735:                              ; =>This Loop Header: Depth=1
                                        ;     Child Loop BB2_744 Depth 2
                                        ;     Child Loop BB2_768 Depth 2
	;; [unrolled: 1-line block ×10, first 2 shown]
	v_sub_nc_u64_e32 v[10:11], v[4:5], v[64:65]
	s_delay_alu instid0(VALU_DEP_1) | instskip(NEXT) | instid1(VALU_DEP_1)
	v_min_u64 v[68:69], v[28:29], v[10:11]
	v_add_nc_u32_e32 v10, 15, v68
	s_delay_alu instid0(VALU_DEP_2) | instskip(NEXT) | instid1(VALU_DEP_2)
	v_cmp_eq_u64_e32 vcc_lo, 0, v[68:69]
	v_and_b32_e32 v10, 0x3ffffff0, v10
	s_or_b32 s17, s1, vcc_lo
	s_delay_alu instid0(SALU_CYCLE_1) | instskip(NEXT) | instid1(VALU_DEP_1)
	s_xor_b32 s10, s17, -1
	v_dual_mov_b32 v10, 0 :: v_dual_max_i32 v69, s15, v10
	s_and_saveexec_b32 s18, s10
	s_cbranch_execz .LBB2_968
; %bb.736:                              ;   in Loop: Header=BB2_735 Depth=1
	s_and_saveexec_b32 s10, s0
	s_cbranch_execz .LBB2_738
; %bb.737:                              ;   in Loop: Header=BB2_735 Depth=1
	s_trap 2
	ds_load_b64 v[10:11], v0
	s_wait_dscnt 0x0
	v_lshl_add_u64 v[10:11], v[14:15], 1, v[10:11]
	s_delay_alu instid0(VALU_DEP_1)
	v_lshl_add_u64 v[10:11], v[64:65], 1, v[10:11]
	ds_store_b64 v0, v[10:11]
	ds_store_b64 v0, v[54:55]
.LBB2_738:                              ;   in Loop: Header=BB2_735 Depth=1
	s_or_b32 exec_lo, exec_lo, s10
	v_and_b32_e32 v10, 8, v30
	v_min_u32_e32 v69, v69, v68
	s_mov_b32 s19, exec_lo
	s_delay_alu instid0(VALU_DEP_2)
	v_cmpx_ne_u32_e32 0, v10
	s_cbranch_execz .LBB2_760
; %bb.739:                              ;   in Loop: Header=BB2_735 Depth=1
	s_wait_loadcnt 0x0
	v_add_nc_u64_e32 v[12:13], 8, v[26:27]
	v_add_nc_u64_e32 v[10:11], 1, v[8:9]
	s_mov_b32 s20, exec_lo
	s_delay_alu instid0(VALU_DEP_1)
	v_cmpx_lt_u64_e64 v[12:13], v[10:11]
	s_cbranch_execz .LBB2_751
; %bb.740:                              ;   in Loop: Header=BB2_735 Depth=1
	v_and_b32_e32 v9, 64, v30
	s_mov_b32 s21, 0
	s_mov_b32 s25, 0
                                        ; implicit-def: $sgpr22
                                        ; implicit-def: $sgpr23
                                        ; implicit-def: $sgpr24
	s_delay_alu instid0(VALU_DEP_1)
	v_cmp_eq_u32_e32 vcc_lo, 0, v9
	s_branch .LBB2_744
.LBB2_741:                              ;   in Loop: Header=BB2_744 Depth=2
	s_wait_loadcnt_dscnt 0x0
	v_add_nc_u64_e32 v[12:13], 8, v[26:27]
	s_or_b32 s28, s28, exec_lo
	s_delay_alu instid0(VALU_DEP_1)
	v_cmp_ge_u64_e64 s10, v[12:13], v[10:11]
	s_or_not1_b32 s27, s10, exec_lo
.LBB2_742:                              ;   in Loop: Header=BB2_744 Depth=2
	s_or_b32 exec_lo, exec_lo, s40
	s_delay_alu instid0(SALU_CYCLE_1)
	s_and_not1_b32 s10, s24, exec_lo
	s_and_b32 s24, s28, exec_lo
	s_and_not1_b32 s23, s23, exec_lo
	s_and_b32 s27, s27, exec_lo
	s_or_b32 s24, s10, s24
	s_or_b32 s23, s23, s27
.LBB2_743:                              ;   in Loop: Header=BB2_744 Depth=2
	s_or_b32 exec_lo, exec_lo, s26
	s_delay_alu instid0(SALU_CYCLE_1) | instskip(NEXT) | instid1(SALU_CYCLE_1)
	s_and_b32 s10, exec_lo, s23
	s_or_b32 s21, s10, s21
	s_and_not1_b32 s10, s22, exec_lo
	s_and_b32 s22, s24, exec_lo
	s_delay_alu instid0(SALU_CYCLE_1)
	s_or_b32 s22, s10, s22
	s_and_not1_b32 exec_lo, exec_lo, s21
	s_cbranch_execz .LBB2_748
.LBB2_744:                              ;   Parent Loop BB2_735 Depth=1
                                        ; =>  This Inner Loop Header: Depth=2
	s_sleep 1
	s_wait_loadcnt_dscnt 0x0
	flat_load_b64 v[26:27], v[18:19] scope:SCOPE_SYS
	s_or_b32 s24, s24, exec_lo
	s_or_b32 s23, s23, exec_lo
                                        ; implicit-def: $vgpr9
	s_wait_xcnt 0x0
	s_and_saveexec_b32 s26, vcc_lo
	s_cbranch_execz .LBB2_743
; %bb.745:                              ;   in Loop: Header=BB2_744 Depth=2
	s_cmp_lt_i32 s25, 0x270f
	s_mov_b32 s27, -1
	s_cselect_b32 s29, -1, 0
	s_cmp_gt_i32 s25, 0x270e
	s_cbranch_scc0 .LBB2_747
; %bb.746:                              ;   in Loop: Header=BB2_744 Depth=2
	s_trap 2
	ds_load_b64 v[12:13], v0
	s_and_not1_b32 s25, s29, exec_lo
	s_mov_b32 s28, 0
	s_wait_storecnt 0x0
	s_wait_loadcnt_dscnt 0x0
	flat_load_b32 v9, v[12:13] scope:SCOPE_SYS
	s_wait_loadcnt_dscnt 0x0
	global_inv scope:SCOPE_SYS
	v_cmp_eq_u32_e64 s10, 0, v9
	s_and_b32 s10, s10, exec_lo
	s_delay_alu instid0(SALU_CYCLE_1)
	s_or_b32 s29, s25, s10
	s_mov_b32 s25, 0
	s_and_saveexec_b32 s40, s29
	s_cbranch_execz .LBB2_742
	s_branch .LBB2_741
.LBB2_747:                              ;   in Loop: Header=BB2_744 Depth=2
	s_add_co_i32 s25, s25, 1
	s_mov_b32 s28, -1
                                        ; implicit-def: $vgpr9
	s_and_saveexec_b32 s40, s29
	s_cbranch_execz .LBB2_742
	s_branch .LBB2_741
.LBB2_748:                              ;   in Loop: Header=BB2_735 Depth=1
	s_or_b32 exec_lo, exec_lo, s21
	s_xor_b32 s10, s22, -1
	s_delay_alu instid0(SALU_CYCLE_1) | instskip(NEXT) | instid1(SALU_CYCLE_1)
	s_and_saveexec_b32 s21, s10
	s_xor_b32 s10, exec_lo, s21
	s_cbranch_execz .LBB2_750
; %bb.749:                              ;   in Loop: Header=BB2_735 Depth=1
	v_or_b32_e32 v30, 64, v30
	s_wait_storecnt 0x0
	s_wait_loadcnt_dscnt 0x0
	ds_store_b32 v0, v9
	s_trap 2
.LBB2_750:                              ;   in Loop: Header=BB2_735 Depth=1
	s_or_b32 exec_lo, exec_lo, s10
.LBB2_751:                              ;   in Loop: Header=BB2_735 Depth=1
	s_delay_alu instid0(SALU_CYCLE_1) | instskip(SKIP_4) | instid1(VALU_DEP_2)
	s_or_b32 exec_lo, exec_lo, s20
	v_and_b32_e32 v9, 0x100, v30
	v_and_b32_e32 v34, 7, v8
	s_mov_b32 s10, -1
	;;#ASMSTART
	s_wakeup
	;;#ASMEND
	v_cmp_ne_u32_e32 vcc_lo, 0, v9
                                        ; implicit-def: $vgpr8_vgpr9
	s_and_saveexec_b32 s20, vcc_lo
	s_cbranch_execz .LBB2_755
; %bb.752:                              ;   in Loop: Header=BB2_735 Depth=1
	v_mad_nc_u64_u32 v[12:13], v34, 24, v[6:7]
	v_dual_mov_b32 v9, v35 :: v_dual_lshlrev_b32 v8, 1, v69
	s_mov_b32 s21, exec_lo
	s_clause 0x1
	flat_load_b32 v70, v[12:13]
	flat_store_b64 v[12:13], v[8:9] offset:8
                                        ; implicit-def: $vgpr8_vgpr9
	s_wait_loadcnt_dscnt 0x1
	v_cmp_ne_u32_e32 vcc_lo, 1, v70
	s_wait_xcnt 0x0
	v_cmpx_eq_u32_e32 1, v70
	s_cbranch_execz .LBB2_754
; %bb.753:                              ;   in Loop: Header=BB2_735 Depth=1
	flat_load_b32 v8, v[12:13] offset:4 scope:SCOPE_SYS
	s_wait_loadcnt_dscnt 0x0
	v_ashrrev_i32_e32 v9, 31, v8
	s_delay_alu instid0(VALU_DEP_1)
	v_lshrrev_b64 v[8:9], 1, v[8:9]
.LBB2_754:                              ;   in Loop: Header=BB2_735 Depth=1
	s_wait_xcnt 0x0
	s_or_b32 exec_lo, exec_lo, s21
	s_delay_alu instid0(SALU_CYCLE_1)
	s_or_not1_b32 s10, vcc_lo, exec_lo
.LBB2_755:                              ;   in Loop: Header=BB2_735 Depth=1
	s_or_b32 exec_lo, exec_lo, s20
	s_and_saveexec_b32 s20, s10
; %bb.756:                              ;   in Loop: Header=BB2_735 Depth=1
	v_mul_u64_e32 v[8:9], v[34:35], v[20:21]
; %bb.757:                              ;   in Loop: Header=BB2_735 Depth=1
	s_or_b32 exec_lo, exec_lo, s20
	v_and_b32_e32 v12, 0x2000, v30
	s_delay_alu instid0(VALU_DEP_2)
	v_lshl_add_u64 v[8:9], v[8:9], 1, v[22:23]
	s_mov_b32 s10, exec_lo
	ds_store_b64 v0, v[8:9] offset:784
	v_cmpx_ne_u32_e32 0, v12
	s_cbranch_execz .LBB2_759
; %bb.758:                              ;   in Loop: Header=BB2_735 Depth=1
	ds_load_b64 v[8:9], v0 offset:872
	s_wait_dscnt 0x0
	v_add_nc_u64_e32 v[8:9], 1, v[8:9]
	ds_store_b64 v0, v[8:9] offset:872
.LBB2_759:                              ;   in Loop: Header=BB2_735 Depth=1
	s_or_b32 exec_lo, exec_lo, s10
	v_mov_b64_e32 v[8:9], v[10:11]
.LBB2_760:                              ;   in Loop: Header=BB2_735 Depth=1
	s_or_b32 exec_lo, exec_lo, s19
	s_and_saveexec_b32 s10, s2
	s_cbranch_execz .LBB2_779
; %bb.761:                              ;   in Loop: Header=BB2_735 Depth=1
	s_and_saveexec_b32 s19, s3
	s_delay_alu instid0(SALU_CYCLE_1)
	s_xor_b32 s19, exec_lo, s19
	s_cbranch_execz .LBB2_776
; %bb.762:                              ;   in Loop: Header=BB2_735 Depth=1
	s_and_saveexec_b32 s20, s4
	s_cbranch_execz .LBB2_775
; %bb.763:                              ;   in Loop: Header=BB2_735 Depth=1
	s_mov_b32 s22, exec_lo
	s_mov_b32 s21, exec_lo
	v_mbcnt_lo_u32_b32 v10, s22, 0
	global_wb scope:SCOPE_DEV
	s_wait_storecnt 0x0
	s_wait_loadcnt_dscnt 0x0
	global_inv scope:SCOPE_DEV
	v_cmpx_eq_u32_e32 0, v10
	s_cbranch_execz .LBB2_765
; %bb.764:                              ;   in Loop: Header=BB2_735 Depth=1
	s_bcnt1_i32_b32 s22, s22
	s_delay_alu instid0(SALU_CYCLE_1)
	v_mov_b32_e32 v34, s22
	s_wait_loadcnt 0x0
	ds_add_u64 v0, v[34:35]
	s_trap 2
.LBB2_765:                              ;   in Loop: Header=BB2_735 Depth=1
	s_or_b32 exec_lo, exec_lo, s21
	s_trap 2
	ds_load_b64 v[10:11], v0
	s_wait_dscnt 0x0
	v_add_nc_u64_e32 v[24:25], v[24:25], v[36:37]
	s_mov_b32 s21, exec_lo
	s_delay_alu instid0(VALU_DEP_1)
	v_cmpx_lt_u64_e64 v[10:11], v[24:25]
	s_cbranch_execz .LBB2_774
; %bb.766:                              ;   in Loop: Header=BB2_735 Depth=1
	s_mov_b32 s22, 0
	s_mov_b32 s25, 0
                                        ; implicit-def: $sgpr23
                                        ; implicit-def: $sgpr24
	s_branch .LBB2_768
.LBB2_767:                              ;   in Loop: Header=BB2_768 Depth=2
	s_or_b32 exec_lo, exec_lo, s27
	s_delay_alu instid0(SALU_CYCLE_1) | instskip(NEXT) | instid1(SALU_CYCLE_1)
	s_and_b32 s26, exec_lo, s28
	s_or_b32 s22, s26, s22
	s_and_not1_b32 s23, s23, exec_lo
	s_and_b32 s26, s24, exec_lo
	s_delay_alu instid0(SALU_CYCLE_1)
	s_or_b32 s23, s23, s26
	s_and_not1_b32 exec_lo, exec_lo, s22
	s_cbranch_execz .LBB2_772
.LBB2_768:                              ;   Parent Loop BB2_735 Depth=1
                                        ; =>  This Inner Loop Header: Depth=2
	s_add_co_i32 s25, s25, 1
	s_delay_alu instid0(SALU_CYCLE_1) | instskip(SKIP_1) | instid1(SALU_CYCLE_1)
	s_cmp_lg_u32 s25, 0x2710
	s_cselect_b32 s26, -1, 0
	s_and_b32 vcc_lo, exec_lo, s26
	s_cbranch_vccz .LBB2_770
; %bb.769:                              ;   in Loop: Header=BB2_768 Depth=2
	s_mov_b32 s28, -1
	s_or_b32 s24, s24, exec_lo
	s_and_saveexec_b32 s27, s26
	s_cbranch_execz .LBB2_767
	s_branch .LBB2_771
.LBB2_770:                              ;   in Loop: Header=BB2_768 Depth=2
	s_trap 2
	ds_load_b64 v[10:11], v0
	s_and_not1_b32 s26, s26, exec_lo
	s_mov_b32 s25, 0
	s_wait_loadcnt_dscnt 0x0
	flat_load_b32 v10, v[10:11] scope:SCOPE_SYS
	s_wait_loadcnt_dscnt 0x0
	global_inv scope:SCOPE_SYS
	v_cmp_eq_u32_e32 vcc_lo, 0, v10
	s_and_b32 s27, vcc_lo, exec_lo
	s_delay_alu instid0(SALU_CYCLE_1)
	s_or_b32 s26, s26, s27
	s_mov_b32 s28, -1
	s_or_b32 s24, s24, exec_lo
	s_and_saveexec_b32 s27, s26
	s_cbranch_execz .LBB2_767
.LBB2_771:                              ;   in Loop: Header=BB2_768 Depth=2
	s_sleep 1
	s_trap 2
	ds_load_b64 v[10:11], v0
	s_wait_dscnt 0x0
	s_and_not1_b32 s24, s24, exec_lo
	v_cmp_ge_u64_e32 vcc_lo, v[10:11], v[24:25]
	s_or_not1_b32 s28, vcc_lo, exec_lo
	s_branch .LBB2_767
.LBB2_772:                              ;   in Loop: Header=BB2_735 Depth=1
	s_or_b32 exec_lo, exec_lo, s22
	s_and_saveexec_b32 s22, s23
	s_delay_alu instid0(SALU_CYCLE_1)
	s_xor_b32 s22, exec_lo, s22
	s_cbranch_execz .LBB2_774
; %bb.773:                              ;   in Loop: Header=BB2_735 Depth=1
	ds_store_b32 v0, v97
	s_trap 2
.LBB2_774:                              ;   in Loop: Header=BB2_735 Depth=1
	s_or_b32 exec_lo, exec_lo, s21
	;;#ASMSTART
	s_wakeup
	;;#ASMEND
.LBB2_775:                              ;   in Loop: Header=BB2_735 Depth=1
	s_or_b32 exec_lo, exec_lo, s20
.LBB2_776:                              ;   in Loop: Header=BB2_735 Depth=1
	s_and_not1_saveexec_b32 s19, s19
	s_cbranch_execz .LBB2_778
; %bb.777:                              ;   in Loop: Header=BB2_735 Depth=1
	global_wb scope:SCOPE_DEV
	s_wait_storecnt 0x0
	s_wait_loadcnt_dscnt 0x0
	global_inv scope:SCOPE_DEV
	s_barrier_signal -1
	s_barrier_wait -1
.LBB2_778:                              ;   in Loop: Header=BB2_735 Depth=1
	s_or_b32 exec_lo, exec_lo, s19
.LBB2_779:                              ;   in Loop: Header=BB2_735 Depth=1
	s_delay_alu instid0(SALU_CYCLE_1) | instskip(SKIP_3) | instid1(VALU_DEP_1)
	s_or_b32 exec_lo, exec_lo, s10
	s_trap 2
	ds_load_b32 v10, v0
	v_and_b32_e32 v11, 0x4000, v30
	v_cmp_ne_u32_e32 vcc_lo, 0, v11
	s_and_b32 s19, s16, vcc_lo
	s_delay_alu instid0(SALU_CYCLE_1)
	s_and_saveexec_b32 s10, s19
	s_cbranch_execz .LBB2_798
; %bb.780:                              ;   in Loop: Header=BB2_735 Depth=1
	s_and_saveexec_b32 s19, s3
	s_delay_alu instid0(SALU_CYCLE_1)
	s_xor_b32 s19, exec_lo, s19
	s_cbranch_execz .LBB2_795
; %bb.781:                              ;   in Loop: Header=BB2_735 Depth=1
	s_and_saveexec_b32 s20, s4
	s_cbranch_execz .LBB2_794
; %bb.782:                              ;   in Loop: Header=BB2_735 Depth=1
	s_mov_b32 s22, exec_lo
	s_mov_b32 s21, exec_lo
	v_mbcnt_lo_u32_b32 v11, s22, 0
	global_wb scope:SCOPE_DEV
	s_wait_storecnt 0x0
	s_wait_loadcnt_dscnt 0x0
	global_inv scope:SCOPE_DEV
	v_cmpx_eq_u32_e32 0, v11
	s_cbranch_execz .LBB2_784
; %bb.783:                              ;   in Loop: Header=BB2_735 Depth=1
	s_bcnt1_i32_b32 s22, s22
	s_delay_alu instid0(SALU_CYCLE_1)
	v_mov_b32_e32 v34, s22
	s_wait_loadcnt 0x0
	ds_add_u64 v0, v[34:35]
	s_trap 2
.LBB2_784:                              ;   in Loop: Header=BB2_735 Depth=1
	s_or_b32 exec_lo, exec_lo, s21
	s_trap 2
	ds_load_b64 v[12:13], v0
	s_wait_dscnt 0x0
	v_add_nc_u64_e32 v[24:25], v[24:25], v[36:37]
	s_mov_b32 s21, exec_lo
	s_delay_alu instid0(VALU_DEP_1)
	v_cmpx_lt_u64_e64 v[12:13], v[24:25]
	s_cbranch_execz .LBB2_793
; %bb.785:                              ;   in Loop: Header=BB2_735 Depth=1
	s_mov_b32 s22, 0
	s_mov_b32 s25, 0
                                        ; implicit-def: $sgpr23
                                        ; implicit-def: $sgpr24
	s_branch .LBB2_787
.LBB2_786:                              ;   in Loop: Header=BB2_787 Depth=2
	s_or_b32 exec_lo, exec_lo, s27
	s_delay_alu instid0(SALU_CYCLE_1) | instskip(NEXT) | instid1(SALU_CYCLE_1)
	s_and_b32 s26, exec_lo, s28
	s_or_b32 s22, s26, s22
	s_and_not1_b32 s23, s23, exec_lo
	s_and_b32 s26, s24, exec_lo
	s_delay_alu instid0(SALU_CYCLE_1)
	s_or_b32 s23, s23, s26
	s_and_not1_b32 exec_lo, exec_lo, s22
	s_cbranch_execz .LBB2_791
.LBB2_787:                              ;   Parent Loop BB2_735 Depth=1
                                        ; =>  This Inner Loop Header: Depth=2
	s_add_co_i32 s25, s25, 1
	s_delay_alu instid0(SALU_CYCLE_1) | instskip(SKIP_1) | instid1(SALU_CYCLE_1)
	s_cmp_lg_u32 s25, 0x2710
	s_cselect_b32 s26, -1, 0
	s_and_b32 vcc_lo, exec_lo, s26
	s_cbranch_vccz .LBB2_789
; %bb.788:                              ;   in Loop: Header=BB2_787 Depth=2
	s_mov_b32 s28, -1
	s_or_b32 s24, s24, exec_lo
	s_and_saveexec_b32 s27, s26
	s_cbranch_execz .LBB2_786
	s_branch .LBB2_790
.LBB2_789:                              ;   in Loop: Header=BB2_787 Depth=2
	s_trap 2
	ds_load_b64 v[12:13], v0
	s_and_not1_b32 s26, s26, exec_lo
	s_mov_b32 s25, 0
	s_wait_loadcnt_dscnt 0x0
	flat_load_b32 v11, v[12:13] scope:SCOPE_SYS
	s_wait_loadcnt_dscnt 0x0
	global_inv scope:SCOPE_SYS
	v_cmp_eq_u32_e32 vcc_lo, 0, v11
	s_and_b32 s27, vcc_lo, exec_lo
	s_delay_alu instid0(SALU_CYCLE_1)
	s_or_b32 s26, s26, s27
	s_mov_b32 s28, -1
	s_or_b32 s24, s24, exec_lo
	s_and_saveexec_b32 s27, s26
	s_cbranch_execz .LBB2_786
.LBB2_790:                              ;   in Loop: Header=BB2_787 Depth=2
	s_sleep 1
	s_trap 2
	ds_load_b64 v[12:13], v0
	s_wait_dscnt 0x0
	s_and_not1_b32 s24, s24, exec_lo
	v_cmp_ge_u64_e32 vcc_lo, v[12:13], v[24:25]
	s_or_not1_b32 s28, vcc_lo, exec_lo
	s_branch .LBB2_786
.LBB2_791:                              ;   in Loop: Header=BB2_735 Depth=1
	s_or_b32 exec_lo, exec_lo, s22
	s_and_saveexec_b32 s22, s23
	s_delay_alu instid0(SALU_CYCLE_1)
	s_xor_b32 s22, exec_lo, s22
	s_cbranch_execz .LBB2_793
; %bb.792:                              ;   in Loop: Header=BB2_735 Depth=1
	ds_store_b32 v0, v97
	s_trap 2
.LBB2_793:                              ;   in Loop: Header=BB2_735 Depth=1
	s_or_b32 exec_lo, exec_lo, s21
	;;#ASMSTART
	s_wakeup
	;;#ASMEND
.LBB2_794:                              ;   in Loop: Header=BB2_735 Depth=1
	s_or_b32 exec_lo, exec_lo, s20
.LBB2_795:                              ;   in Loop: Header=BB2_735 Depth=1
	s_and_not1_saveexec_b32 s19, s19
	s_cbranch_execz .LBB2_797
; %bb.796:                              ;   in Loop: Header=BB2_735 Depth=1
	global_wb scope:SCOPE_DEV
	s_wait_storecnt 0x0
	s_wait_loadcnt_dscnt 0x0
	global_inv scope:SCOPE_DEV
	s_barrier_signal -1
	s_barrier_wait -1
.LBB2_797:                              ;   in Loop: Header=BB2_735 Depth=1
	s_or_b32 exec_lo, exec_lo, s19
.LBB2_798:                              ;   in Loop: Header=BB2_735 Depth=1
	s_delay_alu instid0(SALU_CYCLE_1)
	s_or_b32 exec_lo, exec_lo, s10
	s_trap 2
	ds_load_b64 v[70:71], v0
	s_wait_dscnt 0x0
	v_cmp_eq_u64_e32 vcc_lo, 0, v[70:71]
	s_cbranch_vccnz .LBB2_806
; %bb.799:                              ;   in Loop: Header=BB2_735 Depth=1
	s_trap 2
	ds_load_b64 v[80:81], v0
	s_wait_dscnt 0x0
	v_cmp_eq_u64_e32 vcc_lo, 0, v[80:81]
	s_cbranch_vccnz .LBB2_806
; %bb.800:                              ;   in Loop: Header=BB2_735 Depth=1
	s_mov_b32 s10, -1
	s_and_saveexec_b32 s19, s5
	s_cbranch_execz .LBB2_802
; %bb.801:                              ;   in Loop: Header=BB2_735 Depth=1
	ds_load_b32 v11, v0 offset:720
	s_wait_dscnt 0x0
	v_and_b32_e32 v11, 15, v11
	s_delay_alu instid0(VALU_DEP_1)
	v_cmp_eq_u32_e32 vcc_lo, 0, v11
	s_or_not1_b32 s10, vcc_lo, exec_lo
.LBB2_802:                              ;   in Loop: Header=BB2_735 Depth=1
	s_or_b32 exec_lo, exec_lo, s19
	s_and_saveexec_b32 s19, s6
	s_cbranch_execz .LBB2_804
; %bb.803:                              ;   in Loop: Header=BB2_735 Depth=1
	ds_load_b32 v11, v0 offset:784
	s_wait_dscnt 0x0
	v_and_b32_e32 v11, 15, v11
	s_delay_alu instid0(VALU_DEP_1) | instskip(SKIP_3) | instid1(SALU_CYCLE_1)
	v_cmp_eq_u32_e32 vcc_lo, 0, v11
	s_and_b32 s20, s10, vcc_lo
	s_and_not1_b32 s10, s10, exec_lo
	s_and_b32 s20, s20, exec_lo
	s_or_b32 s10, s10, s20
.LBB2_804:                              ;   in Loop: Header=BB2_735 Depth=1
	s_or_b32 exec_lo, exec_lo, s19
	v_cmp_eq_u32_e32 vcc_lo, 0, v10
	s_xor_b32 s10, s10, -1
	s_mov_b32 s20, -1
	v_cndmask_b32_e64 v11, 0, 1, s10
	v_dual_mov_b32 v100, 0 :: v_dual_cndmask_b32 v34, 0, v69, vcc_lo
	s_delay_alu instid0(VALU_DEP_2) | instskip(NEXT) | instid1(VALU_DEP_2)
	v_cmp_ne_u32_e32 vcc_lo, 0, v11
	v_lshlrev_b32_e32 v98, 1, v34
	s_cbranch_vccz .LBB2_807
; %bb.805:                              ;   in Loop: Header=BB2_735 Depth=1
	v_mov_b32_e32 v101, v0
	s_and_saveexec_b32 s10, s20
	s_cbranch_execnz .LBB2_914
	s_branch .LBB2_942
.LBB2_806:                              ;   in Loop: Header=BB2_735 Depth=1
	s_mov_b32 s10, 0
	s_and_saveexec_b32 s19, s2
	s_cbranch_execnz .LBB2_943
	s_branch .LBB2_961
.LBB2_807:                              ;   in Loop: Header=BB2_735 Depth=1
	v_lshrrev_b32_e32 v100, 9, v34
	s_mov_b32 s10, exec_lo
	s_delay_alu instid0(VALU_DEP_1) | instskip(NEXT) | instid1(VALU_DEP_1)
	v_sub_nc_u32_e32 v99, v100, v96
	v_cmpx_lt_i32_e32 0, v99
	s_cbranch_execz .LBB2_875
; %bb.808:                              ;   in Loop: Header=BB2_735 Depth=1
	s_trap 2
	ds_load_b32 v10, v0
	v_mov_b64_e32 v[82:83], v[66:67]
	s_mov_b32 s19, 0
	s_wait_dscnt 0x0
	v_lshlrev_b32_e32 v101, 16, v10
	s_branch .LBB2_810
.LBB2_809:                              ;   in Loop: Header=BB2_810 Depth=2
	s_or_b32 exec_lo, exec_lo, s20
	v_dual_lshrrev_b32 v114, 16, v114 :: v_dual_lshrrev_b32 v116, 16, v116
	v_dual_lshrrev_b32 v85, 16, v85 :: v_dual_lshrrev_b32 v84, 16, v84
	v_dual_lshrrev_b32 v112, 16, v112 :: v_dual_lshrrev_b32 v102, 16, v102
	s_delay_alu instid0(VALU_DEP_3) | instskip(NEXT) | instid1(VALU_DEP_4)
	v_and_or_b32 v114, 0xffff0000, v115, v114
	v_and_or_b32 v115, 0xffff0000, v117, v116
	v_dual_lshrrev_b32 v116, 16, v118 :: v_dual_sub_nc_u32 v99, v99, v36
	v_and_or_b32 v11, 0xffff0000, v11, v85
	v_lshrrev_b32_e32 v85, 16, v119
	v_and_or_b32 v113, 0xffff0000, v113, v112
	v_and_or_b32 v112, 0xffff0000, v103, v102
	v_add_nc_u64_e32 v[102:103], v[80:81], v[82:83]
	v_cmp_gt_i32_e32 vcc_lo, 1, v99
	v_add_nc_u64_e32 v[82:83], v[82:83], v[38:39]
	v_and_or_b32 v10, 0xffff0000, v10, v84
	v_and_or_b32 v12, 0xffff0000, v12, v116
	;; [unrolled: 1-line block ×3, first 2 shown]
	s_or_b32 s19, vcc_lo, s19
	s_clause 0x1
	global_store_b128 v[102:103], v[112:115], off th:TH_STORE_NT
	global_store_b128 v[102:103], v[10:13], off offset:512 th:TH_STORE_NT
	s_wait_xcnt 0x0
	s_and_not1_b32 exec_lo, exec_lo, s19
	s_cbranch_execz .LBB2_874
.LBB2_810:                              ;   Parent Loop BB2_735 Depth=1
                                        ; =>  This Inner Loop Header: Depth=2
	s_delay_alu instid0(VALU_DEP_2) | instskip(SKIP_3) | instid1(VALU_DEP_1)
	v_add_nc_u64_e32 v[84:85], v[70:71], v[82:83]
	global_load_b128 v[10:13], v[84:85], off th:TH_LOAD_NT
	s_wait_loadcnt 0x0
	v_lshlrev_b32_e32 v102, 16, v10
	v_mul_f32_e32 v103, v101, v102
	s_delay_alu instid0(VALU_DEP_1) | instskip(NEXT) | instid1(VALU_DEP_1)
	v_and_b32_e32 v102, 0x7f800000, v103
	v_cmp_ne_u32_e32 vcc_lo, 0x7f800000, v102
                                        ; implicit-def: $vgpr102
	s_wait_xcnt 0x0
	s_and_saveexec_b32 s20, vcc_lo
	s_delay_alu instid0(SALU_CYCLE_1)
	s_xor_b32 s20, exec_lo, s20
; %bb.811:                              ;   in Loop: Header=BB2_810 Depth=2
	v_bfe_u32 v102, v103, 16, 1
	s_delay_alu instid0(VALU_DEP_1)
	v_add3_u32 v102, v103, v102, 0x7fff
                                        ; implicit-def: $vgpr103
; %bb.812:                              ;   in Loop: Header=BB2_810 Depth=2
	s_and_not1_saveexec_b32 s20, s20
; %bb.813:                              ;   in Loop: Header=BB2_810 Depth=2
	v_and_b32_e32 v102, 0xffff, v103
	v_or_b32_e32 v112, 0x10000, v103
	s_delay_alu instid0(VALU_DEP_2) | instskip(NEXT) | instid1(VALU_DEP_2)
	v_cmp_eq_u32_e32 vcc_lo, 0, v102
	v_cndmask_b32_e32 v102, v112, v103, vcc_lo
; %bb.814:                              ;   in Loop: Header=BB2_810 Depth=2
	s_or_b32 exec_lo, exec_lo, s20
	v_and_b32_e32 v10, 0xffff0000, v10
	s_delay_alu instid0(VALU_DEP_1) | instskip(NEXT) | instid1(VALU_DEP_1)
	v_mul_f32_e32 v10, v101, v10
	v_and_b32_e32 v103, 0x7f800000, v10
	s_delay_alu instid0(VALU_DEP_1) | instskip(SKIP_1) | instid1(SALU_CYCLE_1)
	v_cmp_ne_u32_e32 vcc_lo, 0x7f800000, v103
                                        ; implicit-def: $vgpr103
	s_and_saveexec_b32 s20, vcc_lo
	s_xor_b32 s20, exec_lo, s20
; %bb.815:                              ;   in Loop: Header=BB2_810 Depth=2
	v_bfe_u32 v103, v10, 16, 1
	s_delay_alu instid0(VALU_DEP_1)
	v_add3_u32 v103, v10, v103, 0x7fff
                                        ; implicit-def: $vgpr10
; %bb.816:                              ;   in Loop: Header=BB2_810 Depth=2
	s_and_not1_saveexec_b32 s20, s20
; %bb.817:                              ;   in Loop: Header=BB2_810 Depth=2
	v_and_b32_e32 v103, 0xffff, v10
	v_or_b32_e32 v112, 0x10000, v10
	s_delay_alu instid0(VALU_DEP_2) | instskip(NEXT) | instid1(VALU_DEP_2)
	v_cmp_eq_u32_e32 vcc_lo, 0, v103
	v_cndmask_b32_e32 v103, v112, v10, vcc_lo
; %bb.818:                              ;   in Loop: Header=BB2_810 Depth=2
	s_or_b32 exec_lo, exec_lo, s20
	v_lshlrev_b32_e32 v10, 16, v11
	s_delay_alu instid0(VALU_DEP_1) | instskip(NEXT) | instid1(VALU_DEP_1)
	v_mul_f32_e32 v10, v101, v10
	v_and_b32_e32 v112, 0x7f800000, v10
	s_delay_alu instid0(VALU_DEP_1) | instskip(SKIP_1) | instid1(SALU_CYCLE_1)
	v_cmp_ne_u32_e32 vcc_lo, 0x7f800000, v112
                                        ; implicit-def: $vgpr112
	s_and_saveexec_b32 s20, vcc_lo
	s_xor_b32 s20, exec_lo, s20
; %bb.819:                              ;   in Loop: Header=BB2_810 Depth=2
	v_bfe_u32 v112, v10, 16, 1
	s_delay_alu instid0(VALU_DEP_1)
	v_add3_u32 v112, v10, v112, 0x7fff
                                        ; implicit-def: $vgpr10
; %bb.820:                              ;   in Loop: Header=BB2_810 Depth=2
	s_and_not1_saveexec_b32 s20, s20
; %bb.821:                              ;   in Loop: Header=BB2_810 Depth=2
	v_and_b32_e32 v112, 0xffff, v10
	v_or_b32_e32 v113, 0x10000, v10
	s_delay_alu instid0(VALU_DEP_2) | instskip(NEXT) | instid1(VALU_DEP_2)
	v_cmp_eq_u32_e32 vcc_lo, 0, v112
	v_cndmask_b32_e32 v112, v113, v10, vcc_lo
; %bb.822:                              ;   in Loop: Header=BB2_810 Depth=2
	s_or_b32 exec_lo, exec_lo, s20
	v_and_b32_e32 v10, 0xffff0000, v11
	s_mov_b32 s20, exec_lo
                                        ; implicit-def: $vgpr113
	s_delay_alu instid0(VALU_DEP_1) | instskip(NEXT) | instid1(VALU_DEP_1)
	v_mul_f32_e32 v10, v101, v10
	v_and_b32_e32 v11, 0x7f800000, v10
	s_delay_alu instid0(VALU_DEP_1)
	v_cmpx_ne_u32_e32 0x7f800000, v11
	s_xor_b32 s20, exec_lo, s20
; %bb.823:                              ;   in Loop: Header=BB2_810 Depth=2
	v_bfe_u32 v11, v10, 16, 1
	s_delay_alu instid0(VALU_DEP_1)
	v_add3_u32 v113, v10, v11, 0x7fff
                                        ; implicit-def: $vgpr10
; %bb.824:                              ;   in Loop: Header=BB2_810 Depth=2
	s_and_not1_saveexec_b32 s20, s20
; %bb.825:                              ;   in Loop: Header=BB2_810 Depth=2
	v_and_b32_e32 v11, 0xffff, v10
	v_or_b32_e32 v113, 0x10000, v10
	s_delay_alu instid0(VALU_DEP_2) | instskip(NEXT) | instid1(VALU_DEP_2)
	v_cmp_eq_u32_e32 vcc_lo, 0, v11
	v_cndmask_b32_e32 v113, v113, v10, vcc_lo
; %bb.826:                              ;   in Loop: Header=BB2_810 Depth=2
	s_or_b32 exec_lo, exec_lo, s20
	v_lshlrev_b32_e32 v10, 16, v12
	s_mov_b32 s20, exec_lo
                                        ; implicit-def: $vgpr114
	s_delay_alu instid0(VALU_DEP_1) | instskip(NEXT) | instid1(VALU_DEP_1)
	v_mul_f32_e32 v10, v101, v10
	v_and_b32_e32 v11, 0x7f800000, v10
	s_delay_alu instid0(VALU_DEP_1)
	v_cmpx_ne_u32_e32 0x7f800000, v11
	s_xor_b32 s20, exec_lo, s20
; %bb.827:                              ;   in Loop: Header=BB2_810 Depth=2
	v_bfe_u32 v11, v10, 16, 1
	s_delay_alu instid0(VALU_DEP_1)
	v_add3_u32 v114, v10, v11, 0x7fff
                                        ; implicit-def: $vgpr10
; %bb.828:                              ;   in Loop: Header=BB2_810 Depth=2
	s_and_not1_saveexec_b32 s20, s20
; %bb.829:                              ;   in Loop: Header=BB2_810 Depth=2
	v_and_b32_e32 v11, 0xffff, v10
	v_or_b32_e32 v114, 0x10000, v10
	s_delay_alu instid0(VALU_DEP_2) | instskip(NEXT) | instid1(VALU_DEP_2)
	v_cmp_eq_u32_e32 vcc_lo, 0, v11
	v_cndmask_b32_e32 v114, v114, v10, vcc_lo
; %bb.830:                              ;   in Loop: Header=BB2_810 Depth=2
	s_or_b32 exec_lo, exec_lo, s20
	v_and_b32_e32 v10, 0xffff0000, v12
	s_mov_b32 s20, exec_lo
                                        ; implicit-def: $vgpr115
	s_delay_alu instid0(VALU_DEP_1) | instskip(NEXT) | instid1(VALU_DEP_1)
	v_mul_f32_e32 v10, v101, v10
	v_and_b32_e32 v11, 0x7f800000, v10
	s_delay_alu instid0(VALU_DEP_1)
	v_cmpx_ne_u32_e32 0x7f800000, v11
	s_xor_b32 s20, exec_lo, s20
; %bb.831:                              ;   in Loop: Header=BB2_810 Depth=2
	v_bfe_u32 v11, v10, 16, 1
	s_delay_alu instid0(VALU_DEP_1)
	v_add3_u32 v115, v10, v11, 0x7fff
                                        ; implicit-def: $vgpr10
; %bb.832:                              ;   in Loop: Header=BB2_810 Depth=2
	s_and_not1_saveexec_b32 s20, s20
; %bb.833:                              ;   in Loop: Header=BB2_810 Depth=2
	v_and_b32_e32 v11, 0xffff, v10
	v_or_b32_e32 v12, 0x10000, v10
	s_delay_alu instid0(VALU_DEP_2) | instskip(NEXT) | instid1(VALU_DEP_2)
	v_cmp_eq_u32_e32 vcc_lo, 0, v11
	v_cndmask_b32_e32 v115, v12, v10, vcc_lo
; %bb.834:                              ;   in Loop: Header=BB2_810 Depth=2
	s_or_b32 exec_lo, exec_lo, s20
	v_lshlrev_b32_e32 v10, 16, v13
	s_mov_b32 s20, exec_lo
                                        ; implicit-def: $vgpr116
	s_delay_alu instid0(VALU_DEP_1) | instskip(NEXT) | instid1(VALU_DEP_1)
	v_mul_f32_e32 v10, v101, v10
	v_and_b32_e32 v11, 0x7f800000, v10
	s_delay_alu instid0(VALU_DEP_1)
	v_cmpx_ne_u32_e32 0x7f800000, v11
	s_xor_b32 s20, exec_lo, s20
; %bb.835:                              ;   in Loop: Header=BB2_810 Depth=2
	v_bfe_u32 v11, v10, 16, 1
	s_delay_alu instid0(VALU_DEP_1)
	v_add3_u32 v116, v10, v11, 0x7fff
                                        ; implicit-def: $vgpr10
; %bb.836:                              ;   in Loop: Header=BB2_810 Depth=2
	s_and_not1_saveexec_b32 s20, s20
; %bb.837:                              ;   in Loop: Header=BB2_810 Depth=2
	v_and_b32_e32 v11, 0xffff, v10
	v_or_b32_e32 v12, 0x10000, v10
	s_delay_alu instid0(VALU_DEP_2) | instskip(NEXT) | instid1(VALU_DEP_2)
	v_cmp_eq_u32_e32 vcc_lo, 0, v11
	v_cndmask_b32_e32 v116, v12, v10, vcc_lo
; %bb.838:                              ;   in Loop: Header=BB2_810 Depth=2
	s_or_b32 exec_lo, exec_lo, s20
	v_and_b32_e32 v10, 0xffff0000, v13
	s_mov_b32 s20, exec_lo
                                        ; implicit-def: $vgpr117
	s_delay_alu instid0(VALU_DEP_1) | instskip(NEXT) | instid1(VALU_DEP_1)
	v_mul_f32_e32 v10, v101, v10
	v_and_b32_e32 v11, 0x7f800000, v10
	s_delay_alu instid0(VALU_DEP_1)
	v_cmpx_ne_u32_e32 0x7f800000, v11
	s_xor_b32 s20, exec_lo, s20
; %bb.839:                              ;   in Loop: Header=BB2_810 Depth=2
	v_bfe_u32 v11, v10, 16, 1
	s_delay_alu instid0(VALU_DEP_1)
	v_add3_u32 v117, v10, v11, 0x7fff
                                        ; implicit-def: $vgpr10
; %bb.840:                              ;   in Loop: Header=BB2_810 Depth=2
	s_and_not1_saveexec_b32 s20, s20
; %bb.841:                              ;   in Loop: Header=BB2_810 Depth=2
	v_and_b32_e32 v11, 0xffff, v10
	v_or_b32_e32 v12, 0x10000, v10
	s_delay_alu instid0(VALU_DEP_2) | instskip(NEXT) | instid1(VALU_DEP_2)
	v_cmp_eq_u32_e32 vcc_lo, 0, v11
	v_cndmask_b32_e32 v117, v12, v10, vcc_lo
; %bb.842:                              ;   in Loop: Header=BB2_810 Depth=2
	s_or_b32 exec_lo, exec_lo, s20
	global_load_b128 v[10:13], v[84:85], off offset:512 th:TH_LOAD_NT
	s_wait_loadcnt 0x0
	v_lshlrev_b32_e32 v84, 16, v10
	s_delay_alu instid0(VALU_DEP_1) | instskip(NEXT) | instid1(VALU_DEP_1)
	v_mul_f32_e32 v85, v101, v84
	v_and_b32_e32 v84, 0x7f800000, v85
	s_delay_alu instid0(VALU_DEP_1) | instskip(SKIP_1) | instid1(SALU_CYCLE_1)
	v_cmp_ne_u32_e32 vcc_lo, 0x7f800000, v84
                                        ; implicit-def: $vgpr84
	s_and_saveexec_b32 s20, vcc_lo
	s_xor_b32 s20, exec_lo, s20
; %bb.843:                              ;   in Loop: Header=BB2_810 Depth=2
	v_bfe_u32 v84, v85, 16, 1
	s_delay_alu instid0(VALU_DEP_1)
	v_add3_u32 v84, v85, v84, 0x7fff
                                        ; implicit-def: $vgpr85
; %bb.844:                              ;   in Loop: Header=BB2_810 Depth=2
	s_and_not1_saveexec_b32 s20, s20
; %bb.845:                              ;   in Loop: Header=BB2_810 Depth=2
	v_and_b32_e32 v84, 0xffff, v85
	v_or_b32_e32 v118, 0x10000, v85
	s_delay_alu instid0(VALU_DEP_2) | instskip(NEXT) | instid1(VALU_DEP_2)
	v_cmp_eq_u32_e32 vcc_lo, 0, v84
	v_cndmask_b32_e32 v84, v118, v85, vcc_lo
; %bb.846:                              ;   in Loop: Header=BB2_810 Depth=2
	s_or_b32 exec_lo, exec_lo, s20
	v_and_b32_e32 v10, 0xffff0000, v10
	s_delay_alu instid0(VALU_DEP_1) | instskip(NEXT) | instid1(VALU_DEP_1)
	v_mul_f32_e32 v85, v101, v10
	v_and_b32_e32 v10, 0x7f800000, v85
	s_delay_alu instid0(VALU_DEP_1) | instskip(SKIP_1) | instid1(SALU_CYCLE_1)
	v_cmp_ne_u32_e32 vcc_lo, 0x7f800000, v10
                                        ; implicit-def: $vgpr10
	s_and_saveexec_b32 s20, vcc_lo
	s_xor_b32 s20, exec_lo, s20
; %bb.847:                              ;   in Loop: Header=BB2_810 Depth=2
	v_bfe_u32 v10, v85, 16, 1
	s_delay_alu instid0(VALU_DEP_1)
	v_add3_u32 v10, v85, v10, 0x7fff
                                        ; implicit-def: $vgpr85
; %bb.848:                              ;   in Loop: Header=BB2_810 Depth=2
	s_and_not1_saveexec_b32 s20, s20
; %bb.849:                              ;   in Loop: Header=BB2_810 Depth=2
	v_and_b32_e32 v10, 0xffff, v85
	v_or_b32_e32 v118, 0x10000, v85
	s_delay_alu instid0(VALU_DEP_2) | instskip(NEXT) | instid1(VALU_DEP_2)
	v_cmp_eq_u32_e32 vcc_lo, 0, v10
	v_cndmask_b32_e32 v10, v118, v85, vcc_lo
; %bb.850:                              ;   in Loop: Header=BB2_810 Depth=2
	s_or_b32 exec_lo, exec_lo, s20
	v_lshlrev_b32_e32 v85, 16, v11
	s_delay_alu instid0(VALU_DEP_1) | instskip(NEXT) | instid1(VALU_DEP_1)
	v_mul_f32_e32 v118, v101, v85
	v_and_b32_e32 v85, 0x7f800000, v118
	s_delay_alu instid0(VALU_DEP_1) | instskip(SKIP_1) | instid1(SALU_CYCLE_1)
	v_cmp_ne_u32_e32 vcc_lo, 0x7f800000, v85
                                        ; implicit-def: $vgpr85
	s_and_saveexec_b32 s20, vcc_lo
	s_xor_b32 s20, exec_lo, s20
; %bb.851:                              ;   in Loop: Header=BB2_810 Depth=2
	v_bfe_u32 v85, v118, 16, 1
	s_delay_alu instid0(VALU_DEP_1)
	v_add3_u32 v85, v118, v85, 0x7fff
                                        ; implicit-def: $vgpr118
; %bb.852:                              ;   in Loop: Header=BB2_810 Depth=2
	s_and_not1_saveexec_b32 s20, s20
; %bb.853:                              ;   in Loop: Header=BB2_810 Depth=2
	v_and_b32_e32 v85, 0xffff, v118
	v_or_b32_e32 v119, 0x10000, v118
	s_delay_alu instid0(VALU_DEP_2) | instskip(NEXT) | instid1(VALU_DEP_2)
	v_cmp_eq_u32_e32 vcc_lo, 0, v85
	v_cndmask_b32_e32 v85, v119, v118, vcc_lo
; %bb.854:                              ;   in Loop: Header=BB2_810 Depth=2
	s_or_b32 exec_lo, exec_lo, s20
	v_and_b32_e32 v11, 0xffff0000, v11
	s_delay_alu instid0(VALU_DEP_1) | instskip(NEXT) | instid1(VALU_DEP_1)
	v_mul_f32_e32 v118, v101, v11
	v_and_b32_e32 v11, 0x7f800000, v118
	s_delay_alu instid0(VALU_DEP_1) | instskip(SKIP_1) | instid1(SALU_CYCLE_1)
	v_cmp_ne_u32_e32 vcc_lo, 0x7f800000, v11
                                        ; implicit-def: $vgpr11
	s_and_saveexec_b32 s20, vcc_lo
	s_xor_b32 s20, exec_lo, s20
; %bb.855:                              ;   in Loop: Header=BB2_810 Depth=2
	v_bfe_u32 v11, v118, 16, 1
	s_delay_alu instid0(VALU_DEP_1)
	v_add3_u32 v11, v118, v11, 0x7fff
                                        ; implicit-def: $vgpr118
; %bb.856:                              ;   in Loop: Header=BB2_810 Depth=2
	s_and_not1_saveexec_b32 s20, s20
; %bb.857:                              ;   in Loop: Header=BB2_810 Depth=2
	v_and_b32_e32 v11, 0xffff, v118
	v_or_b32_e32 v119, 0x10000, v118
	s_delay_alu instid0(VALU_DEP_2) | instskip(NEXT) | instid1(VALU_DEP_2)
	v_cmp_eq_u32_e32 vcc_lo, 0, v11
	v_cndmask_b32_e32 v11, v119, v118, vcc_lo
; %bb.858:                              ;   in Loop: Header=BB2_810 Depth=2
	s_or_b32 exec_lo, exec_lo, s20
	v_lshlrev_b32_e32 v118, 16, v12
	s_delay_alu instid0(VALU_DEP_1) | instskip(NEXT) | instid1(VALU_DEP_1)
	v_mul_f32_e32 v119, v101, v118
	v_and_b32_e32 v118, 0x7f800000, v119
	s_delay_alu instid0(VALU_DEP_1) | instskip(SKIP_1) | instid1(SALU_CYCLE_1)
	v_cmp_ne_u32_e32 vcc_lo, 0x7f800000, v118
                                        ; implicit-def: $vgpr118
	s_and_saveexec_b32 s20, vcc_lo
	s_xor_b32 s20, exec_lo, s20
; %bb.859:                              ;   in Loop: Header=BB2_810 Depth=2
	v_bfe_u32 v118, v119, 16, 1
	s_delay_alu instid0(VALU_DEP_1)
	v_add3_u32 v118, v119, v118, 0x7fff
                                        ; implicit-def: $vgpr119
; %bb.860:                              ;   in Loop: Header=BB2_810 Depth=2
	s_and_not1_saveexec_b32 s20, s20
; %bb.861:                              ;   in Loop: Header=BB2_810 Depth=2
	v_and_b32_e32 v118, 0xffff, v119
	v_or_b32_e32 v40, 0x10000, v119
	s_delay_alu instid0(VALU_DEP_2) | instskip(NEXT) | instid1(VALU_DEP_2)
	v_cmp_eq_u32_e32 vcc_lo, 0, v118
	v_cndmask_b32_e32 v118, v40, v119, vcc_lo
; %bb.862:                              ;   in Loop: Header=BB2_810 Depth=2
	s_or_b32 exec_lo, exec_lo, s20
	v_and_b32_e32 v12, 0xffff0000, v12
	s_delay_alu instid0(VALU_DEP_1) | instskip(NEXT) | instid1(VALU_DEP_1)
	v_mul_f32_e32 v119, v101, v12
	v_and_b32_e32 v12, 0x7f800000, v119
	s_delay_alu instid0(VALU_DEP_1) | instskip(SKIP_1) | instid1(SALU_CYCLE_1)
	v_cmp_ne_u32_e32 vcc_lo, 0x7f800000, v12
                                        ; implicit-def: $vgpr12
	s_and_saveexec_b32 s20, vcc_lo
	s_xor_b32 s20, exec_lo, s20
; %bb.863:                              ;   in Loop: Header=BB2_810 Depth=2
	v_bfe_u32 v12, v119, 16, 1
	s_delay_alu instid0(VALU_DEP_1)
	v_add3_u32 v12, v119, v12, 0x7fff
                                        ; implicit-def: $vgpr119
; %bb.864:                              ;   in Loop: Header=BB2_810 Depth=2
	s_and_not1_saveexec_b32 s20, s20
; %bb.865:                              ;   in Loop: Header=BB2_810 Depth=2
	v_and_b32_e32 v12, 0xffff, v119
	v_or_b32_e32 v40, 0x10000, v119
	s_delay_alu instid0(VALU_DEP_2) | instskip(NEXT) | instid1(VALU_DEP_2)
	v_cmp_eq_u32_e32 vcc_lo, 0, v12
	v_cndmask_b32_e32 v12, v40, v119, vcc_lo
; %bb.866:                              ;   in Loop: Header=BB2_810 Depth=2
	s_or_b32 exec_lo, exec_lo, s20
	v_lshlrev_b32_e32 v119, 16, v13
	s_delay_alu instid0(VALU_DEP_1) | instskip(NEXT) | instid1(VALU_DEP_1)
	v_mul_f32_e32 v40, v101, v119
	v_and_b32_e32 v119, 0x7f800000, v40
	s_delay_alu instid0(VALU_DEP_1) | instskip(SKIP_1) | instid1(SALU_CYCLE_1)
	v_cmp_ne_u32_e32 vcc_lo, 0x7f800000, v119
                                        ; implicit-def: $vgpr119
	s_and_saveexec_b32 s20, vcc_lo
	s_xor_b32 s20, exec_lo, s20
; %bb.867:                              ;   in Loop: Header=BB2_810 Depth=2
	v_bfe_u32 v119, v40, 16, 1
	s_delay_alu instid0(VALU_DEP_1)
	v_add3_u32 v119, v40, v119, 0x7fff
                                        ; implicit-def: $vgpr40
; %bb.868:                              ;   in Loop: Header=BB2_810 Depth=2
	s_and_not1_saveexec_b32 s20, s20
; %bb.869:                              ;   in Loop: Header=BB2_810 Depth=2
	v_and_b32_e32 v119, 0xffff, v40
	v_or_b32_e32 v41, 0x10000, v40
	s_delay_alu instid0(VALU_DEP_2) | instskip(NEXT) | instid1(VALU_DEP_2)
	v_cmp_eq_u32_e32 vcc_lo, 0, v119
	v_cndmask_b32_e32 v119, v41, v40, vcc_lo
; %bb.870:                              ;   in Loop: Header=BB2_810 Depth=2
	s_or_b32 exec_lo, exec_lo, s20
	v_and_b32_e32 v13, 0xffff0000, v13
	s_delay_alu instid0(VALU_DEP_1) | instskip(NEXT) | instid1(VALU_DEP_1)
	v_mul_f32_e32 v40, v101, v13
	v_and_b32_e32 v13, 0x7f800000, v40
	s_delay_alu instid0(VALU_DEP_1) | instskip(SKIP_1) | instid1(SALU_CYCLE_1)
	v_cmp_ne_u32_e32 vcc_lo, 0x7f800000, v13
                                        ; implicit-def: $vgpr13
	s_and_saveexec_b32 s20, vcc_lo
	s_xor_b32 s20, exec_lo, s20
; %bb.871:                              ;   in Loop: Header=BB2_810 Depth=2
	v_bfe_u32 v13, v40, 16, 1
	s_delay_alu instid0(VALU_DEP_1)
	v_add3_u32 v13, v40, v13, 0x7fff
                                        ; implicit-def: $vgpr40
; %bb.872:                              ;   in Loop: Header=BB2_810 Depth=2
	s_and_not1_saveexec_b32 s20, s20
	s_cbranch_execz .LBB2_809
; %bb.873:                              ;   in Loop: Header=BB2_810 Depth=2
	v_and_b32_e32 v13, 0xffff, v40
	v_or_b32_e32 v41, 0x10000, v40
	s_delay_alu instid0(VALU_DEP_2) | instskip(NEXT) | instid1(VALU_DEP_2)
	v_cmp_eq_u32_e32 vcc_lo, 0, v13
	v_cndmask_b32_e32 v13, v41, v40, vcc_lo
	s_branch .LBB2_809
.LBB2_874:                              ;   in Loop: Header=BB2_735 Depth=1
	s_or_b32 exec_lo, exec_lo, s19
.LBB2_875:                              ;   in Loop: Header=BB2_735 Depth=1
	s_delay_alu instid0(SALU_CYCLE_1) | instskip(SKIP_3) | instid1(VALU_DEP_1)
	s_or_b32 exec_lo, exec_lo, s10
	v_dual_lshlrev_b32 v84, 10, v100 :: v_dual_mov_b32 v100, 0
	s_mov_b32 s20, 0
	s_mov_b32 s19, exec_lo
                                        ; implicit-def: $vgpr101
	v_cmpx_ne_u32_e64 v98, v84
	s_cbranch_execz .LBB2_913
; %bb.876:                              ;   in Loop: Header=BB2_735 Depth=1
	v_dual_lshlrev_b32 v10, 5, v99 :: v_dual_sub_nc_u32 v12, v98, v84
	s_mov_b32 s20, exec_lo
	s_delay_alu instid0(VALU_DEP_1) | instskip(NEXT) | instid1(VALU_DEP_1)
	v_dual_sub_nc_u32 v10, v87, v10 :: v_dual_ashrrev_i32 v13, 31, v12
	v_dual_ashrrev_i32 v11, 31, v10 :: v_dual_lshrrev_b32 v13, 23, v13
	s_delay_alu instid0(VALU_DEP_1) | instskip(NEXT) | instid1(VALU_DEP_1)
	v_lshrrev_b32_e32 v11, 27, v11
	v_add_nc_u32_e32 v11, v10, v11
	s_delay_alu instid0(VALU_DEP_1) | instskip(NEXT) | instid1(VALU_DEP_1)
	v_and_b32_e32 v82, 0xffffffe0, v11
	v_dual_add_nc_u32 v13, v12, v13 :: v_dual_sub_nc_u32 v85, v10, v82
	s_delay_alu instid0(VALU_DEP_1) | instskip(SKIP_1) | instid1(VALU_DEP_2)
	v_and_b32_e32 v99, 0xfffffe00, v13
	v_dual_ashrrev_i32 v11, 5, v11 :: v_dual_ashrrev_i32 v13, 9, v13
	v_dual_lshlrev_b32 v10, 4, v85 :: v_dual_sub_nc_u32 v100, v12, v99
	s_delay_alu instid0(VALU_DEP_1) | instskip(NEXT) | instid1(VALU_DEP_2)
	v_lshl_add_u32 v10, v11, 9, v10
	v_cmp_lt_i32_e32 vcc_lo, 15, v100
	s_delay_alu instid0(VALU_DEP_4) | instskip(NEXT) | instid1(VALU_DEP_1)
	v_add_co_ci_u32_e64 v13, null, 0, v13, vcc_lo
	v_dual_sub_nc_u32 v102, v12, v10 :: v_dual_sub_nc_u32 v101, v13, v11
	s_delay_alu instid0(VALU_DEP_1)
	v_cmpx_lt_i32_e32 15, v102
	s_cbranch_execz .LBB2_912
; %bb.877:                              ;   in Loop: Header=BB2_735 Depth=1
	s_trap 2
	ds_load_b32 v11, v0
	v_add_nc_u32_e32 v82, v10, v84
	s_mov_b32 s21, 0
	s_wait_dscnt 0x0
	s_delay_alu instid0(VALU_DEP_1)
	v_dual_lshlrev_b32 v103, 16, v11 :: v_dual_ashrrev_i32 v83, 31, v82
	s_branch .LBB2_879
.LBB2_878:                              ;   in Loop: Header=BB2_879 Depth=2
	s_or_b32 exec_lo, exec_lo, s22
	v_dual_lshrrev_b32 v113, 16, v113 :: v_dual_lshrrev_b32 v112, 16, v112
	v_dual_lshrrev_b32 v114, 16, v114 :: v_dual_sub_nc_u32 v102, v102, v48
	v_add_nc_u64_e32 v[116:117], v[80:81], v[82:83]
	s_delay_alu instid0(VALU_DEP_3) | instskip(SKIP_1) | instid1(VALU_DEP_4)
	v_and_or_b32 v11, 0xffff0000, v11, v113
	v_dual_lshrrev_b32 v113, 16, v115 :: v_dual_sub_nc_u32 v101, v101, v36
	v_cmp_gt_i32_e64 s10, 16, v102
	v_add_nc_u64_e32 v[82:83], v[82:83], v[48:49]
	v_and_or_b32 v10, 0xffff0000, v10, v112
	v_and_or_b32 v12, 0xffff0000, v12, v114
	;; [unrolled: 1-line block ×3, first 2 shown]
	s_or_b32 s21, s10, s21
	global_store_b128 v[116:117], v[10:13], off th:TH_STORE_NT
	s_wait_xcnt 0x0
	s_and_not1_b32 exec_lo, exec_lo, s21
	s_cbranch_execz .LBB2_911
.LBB2_879:                              ;   Parent Loop BB2_735 Depth=1
                                        ; =>  This Inner Loop Header: Depth=2
	s_delay_alu instid0(VALU_DEP_1) | instskip(SKIP_3) | instid1(VALU_DEP_1)
	v_add_nc_u64_e32 v[10:11], v[70:71], v[82:83]
	global_load_b128 v[10:13], v[10:11], off th:TH_LOAD_NT
	s_wait_loadcnt 0x0
	v_lshlrev_b32_e32 v112, 16, v10
	v_mul_f32_e32 v113, v103, v112
	s_delay_alu instid0(VALU_DEP_1) | instskip(NEXT) | instid1(VALU_DEP_1)
	v_and_b32_e32 v112, 0x7f800000, v113
	v_cmp_ne_u32_e64 s10, 0x7f800000, v112
                                        ; implicit-def: $vgpr112
	s_wait_xcnt 0x0
	s_and_saveexec_b32 s22, s10
	s_delay_alu instid0(SALU_CYCLE_1)
	s_xor_b32 s10, exec_lo, s22
; %bb.880:                              ;   in Loop: Header=BB2_879 Depth=2
	v_bfe_u32 v112, v113, 16, 1
	s_delay_alu instid0(VALU_DEP_1)
	v_add3_u32 v112, v113, v112, 0x7fff
                                        ; implicit-def: $vgpr113
; %bb.881:                              ;   in Loop: Header=BB2_879 Depth=2
	s_and_not1_saveexec_b32 s22, s10
; %bb.882:                              ;   in Loop: Header=BB2_879 Depth=2
	v_and_b32_e32 v112, 0xffff, v113
	v_or_b32_e32 v114, 0x10000, v113
	s_delay_alu instid0(VALU_DEP_2) | instskip(NEXT) | instid1(VALU_DEP_1)
	v_cmp_eq_u32_e64 s10, 0, v112
	v_cndmask_b32_e64 v112, v114, v113, s10
; %bb.883:                              ;   in Loop: Header=BB2_879 Depth=2
	s_or_b32 exec_lo, exec_lo, s22
	v_and_b32_e32 v10, 0xffff0000, v10
	s_delay_alu instid0(VALU_DEP_1) | instskip(NEXT) | instid1(VALU_DEP_1)
	v_mul_f32_e32 v113, v103, v10
	v_and_b32_e32 v10, 0x7f800000, v113
	s_delay_alu instid0(VALU_DEP_1) | instskip(SKIP_1) | instid1(SALU_CYCLE_1)
	v_cmp_ne_u32_e64 s10, 0x7f800000, v10
                                        ; implicit-def: $vgpr10
	s_and_saveexec_b32 s22, s10
	s_xor_b32 s10, exec_lo, s22
; %bb.884:                              ;   in Loop: Header=BB2_879 Depth=2
	v_bfe_u32 v10, v113, 16, 1
	s_delay_alu instid0(VALU_DEP_1)
	v_add3_u32 v10, v113, v10, 0x7fff
                                        ; implicit-def: $vgpr113
; %bb.885:                              ;   in Loop: Header=BB2_879 Depth=2
	s_and_not1_saveexec_b32 s22, s10
; %bb.886:                              ;   in Loop: Header=BB2_879 Depth=2
	v_and_b32_e32 v10, 0xffff, v113
	v_or_b32_e32 v114, 0x10000, v113
	s_delay_alu instid0(VALU_DEP_2) | instskip(NEXT) | instid1(VALU_DEP_1)
	v_cmp_eq_u32_e64 s10, 0, v10
	v_cndmask_b32_e64 v10, v114, v113, s10
; %bb.887:                              ;   in Loop: Header=BB2_879 Depth=2
	s_or_b32 exec_lo, exec_lo, s22
	v_lshlrev_b32_e32 v113, 16, v11
	s_delay_alu instid0(VALU_DEP_1) | instskip(NEXT) | instid1(VALU_DEP_1)
	v_mul_f32_e32 v114, v103, v113
	v_and_b32_e32 v113, 0x7f800000, v114
	s_delay_alu instid0(VALU_DEP_1) | instskip(SKIP_1) | instid1(SALU_CYCLE_1)
	v_cmp_ne_u32_e64 s10, 0x7f800000, v113
                                        ; implicit-def: $vgpr113
	s_and_saveexec_b32 s22, s10
	s_xor_b32 s10, exec_lo, s22
; %bb.888:                              ;   in Loop: Header=BB2_879 Depth=2
	v_bfe_u32 v113, v114, 16, 1
	s_delay_alu instid0(VALU_DEP_1)
	v_add3_u32 v113, v114, v113, 0x7fff
                                        ; implicit-def: $vgpr114
; %bb.889:                              ;   in Loop: Header=BB2_879 Depth=2
	s_and_not1_saveexec_b32 s22, s10
; %bb.890:                              ;   in Loop: Header=BB2_879 Depth=2
	v_and_b32_e32 v113, 0xffff, v114
	v_or_b32_e32 v115, 0x10000, v114
	s_delay_alu instid0(VALU_DEP_2) | instskip(NEXT) | instid1(VALU_DEP_1)
	v_cmp_eq_u32_e64 s10, 0, v113
	v_cndmask_b32_e64 v113, v115, v114, s10
; %bb.891:                              ;   in Loop: Header=BB2_879 Depth=2
	s_or_b32 exec_lo, exec_lo, s22
	v_and_b32_e32 v11, 0xffff0000, v11
	s_delay_alu instid0(VALU_DEP_1) | instskip(NEXT) | instid1(VALU_DEP_1)
	v_mul_f32_e32 v114, v103, v11
	v_and_b32_e32 v11, 0x7f800000, v114
	s_delay_alu instid0(VALU_DEP_1) | instskip(SKIP_1) | instid1(SALU_CYCLE_1)
	v_cmp_ne_u32_e64 s10, 0x7f800000, v11
                                        ; implicit-def: $vgpr11
	s_and_saveexec_b32 s22, s10
	s_xor_b32 s10, exec_lo, s22
; %bb.892:                              ;   in Loop: Header=BB2_879 Depth=2
	v_bfe_u32 v11, v114, 16, 1
	s_delay_alu instid0(VALU_DEP_1)
	v_add3_u32 v11, v114, v11, 0x7fff
                                        ; implicit-def: $vgpr114
; %bb.893:                              ;   in Loop: Header=BB2_879 Depth=2
	s_and_not1_saveexec_b32 s22, s10
; %bb.894:                              ;   in Loop: Header=BB2_879 Depth=2
	v_and_b32_e32 v11, 0xffff, v114
	v_or_b32_e32 v115, 0x10000, v114
	s_delay_alu instid0(VALU_DEP_2) | instskip(NEXT) | instid1(VALU_DEP_1)
	v_cmp_eq_u32_e64 s10, 0, v11
	v_cndmask_b32_e64 v11, v115, v114, s10
; %bb.895:                              ;   in Loop: Header=BB2_879 Depth=2
	s_or_b32 exec_lo, exec_lo, s22
	v_lshlrev_b32_e32 v114, 16, v12
	s_delay_alu instid0(VALU_DEP_1) | instskip(NEXT) | instid1(VALU_DEP_1)
	v_mul_f32_e32 v115, v103, v114
	v_and_b32_e32 v114, 0x7f800000, v115
	s_delay_alu instid0(VALU_DEP_1) | instskip(SKIP_1) | instid1(SALU_CYCLE_1)
	v_cmp_ne_u32_e64 s10, 0x7f800000, v114
                                        ; implicit-def: $vgpr114
	s_and_saveexec_b32 s22, s10
	s_xor_b32 s10, exec_lo, s22
; %bb.896:                              ;   in Loop: Header=BB2_879 Depth=2
	v_bfe_u32 v114, v115, 16, 1
	s_delay_alu instid0(VALU_DEP_1)
	v_add3_u32 v114, v115, v114, 0x7fff
                                        ; implicit-def: $vgpr115
; %bb.897:                              ;   in Loop: Header=BB2_879 Depth=2
	s_and_not1_saveexec_b32 s22, s10
; %bb.898:                              ;   in Loop: Header=BB2_879 Depth=2
	v_and_b32_e32 v114, 0xffff, v115
	v_or_b32_e32 v116, 0x10000, v115
	s_delay_alu instid0(VALU_DEP_2) | instskip(NEXT) | instid1(VALU_DEP_1)
	v_cmp_eq_u32_e64 s10, 0, v114
	v_cndmask_b32_e64 v114, v116, v115, s10
; %bb.899:                              ;   in Loop: Header=BB2_879 Depth=2
	s_or_b32 exec_lo, exec_lo, s22
	v_and_b32_e32 v12, 0xffff0000, v12
	s_delay_alu instid0(VALU_DEP_1) | instskip(NEXT) | instid1(VALU_DEP_1)
	v_mul_f32_e32 v115, v103, v12
	v_and_b32_e32 v12, 0x7f800000, v115
	s_delay_alu instid0(VALU_DEP_1) | instskip(SKIP_1) | instid1(SALU_CYCLE_1)
	v_cmp_ne_u32_e64 s10, 0x7f800000, v12
                                        ; implicit-def: $vgpr12
	s_and_saveexec_b32 s22, s10
	s_xor_b32 s10, exec_lo, s22
; %bb.900:                              ;   in Loop: Header=BB2_879 Depth=2
	v_bfe_u32 v12, v115, 16, 1
	s_delay_alu instid0(VALU_DEP_1)
	v_add3_u32 v12, v115, v12, 0x7fff
                                        ; implicit-def: $vgpr115
; %bb.901:                              ;   in Loop: Header=BB2_879 Depth=2
	s_and_not1_saveexec_b32 s22, s10
; %bb.902:                              ;   in Loop: Header=BB2_879 Depth=2
	v_and_b32_e32 v12, 0xffff, v115
	v_or_b32_e32 v116, 0x10000, v115
	s_delay_alu instid0(VALU_DEP_2) | instskip(NEXT) | instid1(VALU_DEP_1)
	v_cmp_eq_u32_e64 s10, 0, v12
	v_cndmask_b32_e64 v12, v116, v115, s10
; %bb.903:                              ;   in Loop: Header=BB2_879 Depth=2
	s_or_b32 exec_lo, exec_lo, s22
	v_lshlrev_b32_e32 v115, 16, v13
	s_delay_alu instid0(VALU_DEP_1) | instskip(NEXT) | instid1(VALU_DEP_1)
	v_mul_f32_e32 v116, v103, v115
	v_and_b32_e32 v115, 0x7f800000, v116
	s_delay_alu instid0(VALU_DEP_1) | instskip(SKIP_1) | instid1(SALU_CYCLE_1)
	v_cmp_ne_u32_e64 s10, 0x7f800000, v115
                                        ; implicit-def: $vgpr115
	s_and_saveexec_b32 s22, s10
	s_xor_b32 s10, exec_lo, s22
; %bb.904:                              ;   in Loop: Header=BB2_879 Depth=2
	v_bfe_u32 v115, v116, 16, 1
	s_delay_alu instid0(VALU_DEP_1)
	v_add3_u32 v115, v116, v115, 0x7fff
                                        ; implicit-def: $vgpr116
; %bb.905:                              ;   in Loop: Header=BB2_879 Depth=2
	s_and_not1_saveexec_b32 s22, s10
; %bb.906:                              ;   in Loop: Header=BB2_879 Depth=2
	v_and_b32_e32 v115, 0xffff, v116
	v_or_b32_e32 v117, 0x10000, v116
	s_delay_alu instid0(VALU_DEP_2) | instskip(NEXT) | instid1(VALU_DEP_1)
	v_cmp_eq_u32_e64 s10, 0, v115
	v_cndmask_b32_e64 v115, v117, v116, s10
; %bb.907:                              ;   in Loop: Header=BB2_879 Depth=2
	s_or_b32 exec_lo, exec_lo, s22
	v_and_b32_e32 v13, 0xffff0000, v13
	s_delay_alu instid0(VALU_DEP_1) | instskip(NEXT) | instid1(VALU_DEP_1)
	v_mul_f32_e32 v116, v103, v13
	v_and_b32_e32 v13, 0x7f800000, v116
	s_delay_alu instid0(VALU_DEP_1) | instskip(SKIP_1) | instid1(SALU_CYCLE_1)
	v_cmp_ne_u32_e64 s10, 0x7f800000, v13
                                        ; implicit-def: $vgpr13
	s_and_saveexec_b32 s22, s10
	s_xor_b32 s10, exec_lo, s22
; %bb.908:                              ;   in Loop: Header=BB2_879 Depth=2
	v_bfe_u32 v13, v116, 16, 1
	s_delay_alu instid0(VALU_DEP_1)
	v_add3_u32 v13, v116, v13, 0x7fff
                                        ; implicit-def: $vgpr116
; %bb.909:                              ;   in Loop: Header=BB2_879 Depth=2
	s_and_not1_saveexec_b32 s22, s10
	s_cbranch_execz .LBB2_878
; %bb.910:                              ;   in Loop: Header=BB2_879 Depth=2
	v_and_b32_e32 v13, 0xffff, v116
	v_or_b32_e32 v117, 0x10000, v116
	s_delay_alu instid0(VALU_DEP_2) | instskip(NEXT) | instid1(VALU_DEP_1)
	v_cmp_eq_u32_e64 s10, 0, v13
	v_cndmask_b32_e64 v13, v117, v116, s10
	s_branch .LBB2_878
.LBB2_911:                              ;   in Loop: Header=BB2_735 Depth=1
	s_or_b32 exec_lo, exec_lo, s21
.LBB2_912:                              ;   in Loop: Header=BB2_735 Depth=1
	s_delay_alu instid0(SALU_CYCLE_1) | instskip(NEXT) | instid1(VALU_DEP_2)
	s_or_b32 exec_lo, exec_lo, s20
	v_cmp_lt_i32_e64 s10, 0, v101
	s_delay_alu instid0(VALU_DEP_1) | instskip(NEXT) | instid1(VALU_DEP_1)
	v_dual_cndmask_b32 v12, 0, v36, s10 :: v_dual_bitop2_b32 v10, 14, v98 bitop3:0x40
	v_dual_cndmask_b32 v98, v100, v10 :: v_dual_sub_nc_u32 v11, v100, v10
	s_delay_alu instid0(VALU_DEP_1) | instskip(NEXT) | instid1(VALU_DEP_2)
	v_dual_cndmask_b32 v10, 0, v11 :: v_dual_sub_nc_u32 v11, v12, v101
	v_cmp_ne_u32_e32 vcc_lo, 0, v98
	s_delay_alu instid0(VALU_DEP_2) | instskip(NEXT) | instid1(VALU_DEP_3)
	v_add3_u32 v100, v99, v84, v10
	v_lshl_add_u32 v101, v11, 5, v85
	s_and_b32 s20, vcc_lo, exec_lo
.LBB2_913:                              ;   in Loop: Header=BB2_735 Depth=1
	s_or_b32 exec_lo, exec_lo, s19
	s_and_saveexec_b32 s10, s20
	s_cbranch_execz .LBB2_942
.LBB2_914:                              ;   in Loop: Header=BB2_735 Depth=1
	s_delay_alu instid0(VALU_DEP_1) | instskip(SKIP_1) | instid1(VALU_DEP_1)
	v_dual_ashrrev_i32 v10, 31, v101 :: v_dual_ashrrev_i32 v11, 31, v98
	s_mov_b32 s19, exec_lo
	v_dual_lshrrev_b32 v10, 27, v10 :: v_dual_lshrrev_b32 v11, 24, v11
	s_delay_alu instid0(VALU_DEP_1) | instskip(NEXT) | instid1(VALU_DEP_1)
	v_dual_add_nc_u32 v10, v101, v10 :: v_dual_add_nc_u32 v11, v98, v11
	v_dual_ashrrev_i32 v99, 5, v10 :: v_dual_ashrrev_i32 v103, 8, v11
	s_delay_alu instid0(VALU_DEP_1) | instskip(NEXT) | instid1(VALU_DEP_1)
	v_sub_nc_u32_e32 v102, v103, v99
	v_cmpx_lt_i32_e32 0, v102
	s_cbranch_execz .LBB2_934
; %bb.915:                              ;   in Loop: Header=BB2_735 Depth=1
	s_trap 2
	ds_load_b32 v82, v0
	v_and_b32_e32 v10, 0x7fffffe0, v10
	v_mov_b64_e32 v[12:13], v[80:81]
	s_mov_b32 s20, 0
	s_delay_alu instid0(VALU_DEP_2) | instskip(NEXT) | instid1(VALU_DEP_1)
	v_dual_lshlrev_b32 v11, 8, v99 :: v_dual_sub_nc_u32 v10, v101, v10
	v_lshlrev_b32_e32 v10, 1, v10
	s_delay_alu instid0(VALU_DEP_1) | instskip(SKIP_3) | instid1(VALU_DEP_3)
	v_add3_u32 v10, v10, v100, v11
	s_wait_dscnt 0x0
	v_lshlrev_b32_e32 v112, 16, v82
	v_mov_b64_e32 v[82:83], v[70:71]
	v_ashrrev_i32_e32 v11, 31, v10
	s_branch .LBB2_917
.LBB2_916:                              ;   in Loop: Header=BB2_917 Depth=2
	s_or_b32 exec_lo, exec_lo, s21
	v_sub_nc_u32_e32 v102, v102, v36
	v_add_nc_u64_e32 v[116:117], v[10:11], v[12:13]
	v_add_nc_u64_e32 v[82:83], v[82:83], v[50:51]
	;; [unrolled: 1-line block ×3, first 2 shown]
	s_clause 0x3
	flat_store_d16_hi_b16 v[116:117], v113 th:TH_STORE_NT
	flat_store_d16_hi_b16 v[116:117], v114 offset:64 th:TH_STORE_NT
	flat_store_d16_hi_b16 v[116:117], v115 offset:128 th:TH_STORE_NT
	;; [unrolled: 1-line block ×3, first 2 shown]
	v_cmp_gt_i32_e32 vcc_lo, 1, v102
	s_or_b32 s20, vcc_lo, s20
	s_wait_xcnt 0x0
	s_and_not1_b32 exec_lo, exec_lo, s20
	s_cbranch_execz .LBB2_933
.LBB2_917:                              ;   Parent Loop BB2_735 Depth=1
                                        ; =>  This Inner Loop Header: Depth=2
	s_delay_alu instid0(VALU_DEP_1) | instskip(SKIP_3) | instid1(VALU_DEP_1)
	v_add_nc_u64_e32 v[84:85], v[10:11], v[82:83]
	flat_load_u16 v113, v[84:85] th:TH_LOAD_NT
	s_wait_loadcnt_dscnt 0x0
	v_lshlrev_b32_e32 v113, 16, v113
	v_mul_f32_e32 v114, v112, v113
	s_delay_alu instid0(VALU_DEP_1) | instskip(NEXT) | instid1(VALU_DEP_1)
	v_and_b32_e32 v113, 0x7f800000, v114
	v_cmp_ne_u32_e32 vcc_lo, 0x7f800000, v113
                                        ; implicit-def: $vgpr113
	s_wait_xcnt 0x0
	s_and_saveexec_b32 s21, vcc_lo
	s_delay_alu instid0(SALU_CYCLE_1)
	s_xor_b32 s21, exec_lo, s21
; %bb.918:                              ;   in Loop: Header=BB2_917 Depth=2
	v_bfe_u32 v113, v114, 16, 1
	s_delay_alu instid0(VALU_DEP_1)
	v_add3_u32 v113, v114, v113, 0x7fff
                                        ; implicit-def: $vgpr114
; %bb.919:                              ;   in Loop: Header=BB2_917 Depth=2
	s_and_not1_saveexec_b32 s21, s21
; %bb.920:                              ;   in Loop: Header=BB2_917 Depth=2
	v_and_b32_e32 v113, 0xffff, v114
	v_or_b32_e32 v115, 0x10000, v114
	s_delay_alu instid0(VALU_DEP_2) | instskip(NEXT) | instid1(VALU_DEP_2)
	v_cmp_eq_u32_e32 vcc_lo, 0, v113
	v_cndmask_b32_e32 v113, v115, v114, vcc_lo
; %bb.921:                              ;   in Loop: Header=BB2_917 Depth=2
	s_or_b32 exec_lo, exec_lo, s21
	flat_load_u16 v114, v[84:85] offset:64 th:TH_LOAD_NT
	s_wait_loadcnt_dscnt 0x0
	v_lshlrev_b32_e32 v114, 16, v114
	s_delay_alu instid0(VALU_DEP_1) | instskip(NEXT) | instid1(VALU_DEP_1)
	v_mul_f32_e32 v115, v112, v114
	v_and_b32_e32 v114, 0x7f800000, v115
	s_delay_alu instid0(VALU_DEP_1) | instskip(SKIP_2) | instid1(SALU_CYCLE_1)
	v_cmp_ne_u32_e32 vcc_lo, 0x7f800000, v114
                                        ; implicit-def: $vgpr114
	s_wait_xcnt 0x0
	s_and_saveexec_b32 s21, vcc_lo
	s_xor_b32 s21, exec_lo, s21
; %bb.922:                              ;   in Loop: Header=BB2_917 Depth=2
	v_bfe_u32 v114, v115, 16, 1
	s_delay_alu instid0(VALU_DEP_1)
	v_add3_u32 v114, v115, v114, 0x7fff
                                        ; implicit-def: $vgpr115
; %bb.923:                              ;   in Loop: Header=BB2_917 Depth=2
	s_and_not1_saveexec_b32 s21, s21
; %bb.924:                              ;   in Loop: Header=BB2_917 Depth=2
	v_and_b32_e32 v114, 0xffff, v115
	v_or_b32_e32 v116, 0x10000, v115
	s_delay_alu instid0(VALU_DEP_2) | instskip(NEXT) | instid1(VALU_DEP_2)
	v_cmp_eq_u32_e32 vcc_lo, 0, v114
	v_cndmask_b32_e32 v114, v116, v115, vcc_lo
; %bb.925:                              ;   in Loop: Header=BB2_917 Depth=2
	s_or_b32 exec_lo, exec_lo, s21
	flat_load_u16 v115, v[84:85] offset:128 th:TH_LOAD_NT
	s_wait_loadcnt_dscnt 0x0
	v_lshlrev_b32_e32 v115, 16, v115
	s_delay_alu instid0(VALU_DEP_1) | instskip(NEXT) | instid1(VALU_DEP_1)
	v_mul_f32_e32 v116, v112, v115
	v_and_b32_e32 v115, 0x7f800000, v116
	s_delay_alu instid0(VALU_DEP_1) | instskip(SKIP_2) | instid1(SALU_CYCLE_1)
	v_cmp_ne_u32_e32 vcc_lo, 0x7f800000, v115
                                        ; implicit-def: $vgpr115
	s_wait_xcnt 0x0
	s_and_saveexec_b32 s21, vcc_lo
	s_xor_b32 s21, exec_lo, s21
; %bb.926:                              ;   in Loop: Header=BB2_917 Depth=2
	v_bfe_u32 v115, v116, 16, 1
	s_delay_alu instid0(VALU_DEP_1)
	v_add3_u32 v115, v116, v115, 0x7fff
                                        ; implicit-def: $vgpr116
; %bb.927:                              ;   in Loop: Header=BB2_917 Depth=2
	s_and_not1_saveexec_b32 s21, s21
; %bb.928:                              ;   in Loop: Header=BB2_917 Depth=2
	v_and_b32_e32 v115, 0xffff, v116
	v_or_b32_e32 v117, 0x10000, v116
	s_delay_alu instid0(VALU_DEP_2) | instskip(NEXT) | instid1(VALU_DEP_2)
	v_cmp_eq_u32_e32 vcc_lo, 0, v115
	v_cndmask_b32_e32 v115, v117, v116, vcc_lo
; %bb.929:                              ;   in Loop: Header=BB2_917 Depth=2
	s_or_b32 exec_lo, exec_lo, s21
	flat_load_u16 v84, v[84:85] offset:192 th:TH_LOAD_NT
	s_wait_loadcnt_dscnt 0x0
	v_lshlrev_b32_e32 v84, 16, v84
	s_delay_alu instid0(VALU_DEP_1) | instskip(NEXT) | instid1(VALU_DEP_1)
	v_mul_f32_e32 v85, v112, v84
	v_and_b32_e32 v84, 0x7f800000, v85
	s_delay_alu instid0(VALU_DEP_1) | instskip(SKIP_1) | instid1(SALU_CYCLE_1)
	v_cmp_ne_u32_e32 vcc_lo, 0x7f800000, v84
                                        ; implicit-def: $vgpr84
	s_and_saveexec_b32 s21, vcc_lo
	s_xor_b32 s21, exec_lo, s21
; %bb.930:                              ;   in Loop: Header=BB2_917 Depth=2
	v_bfe_u32 v84, v85, 16, 1
	s_delay_alu instid0(VALU_DEP_1)
	v_add3_u32 v84, v85, v84, 0x7fff
                                        ; implicit-def: $vgpr85
; %bb.931:                              ;   in Loop: Header=BB2_917 Depth=2
	s_and_not1_saveexec_b32 s21, s21
	s_cbranch_execz .LBB2_916
; %bb.932:                              ;   in Loop: Header=BB2_917 Depth=2
	v_and_b32_e32 v84, 0xffff, v85
	v_or_b32_e32 v116, 0x10000, v85
	s_delay_alu instid0(VALU_DEP_2) | instskip(NEXT) | instid1(VALU_DEP_2)
	v_cmp_eq_u32_e32 vcc_lo, 0, v84
	v_cndmask_b32_e32 v84, v116, v85, vcc_lo
	s_branch .LBB2_916
.LBB2_933:                              ;   in Loop: Header=BB2_735 Depth=1
	s_or_b32 exec_lo, exec_lo, s20
.LBB2_934:                              ;   in Loop: Header=BB2_735 Depth=1
	s_delay_alu instid0(SALU_CYCLE_1) | instskip(SKIP_1) | instid1(VALU_DEP_1)
	s_or_b32 exec_lo, exec_lo, s19
	v_lshlrev_b32_e32 v10, 8, v103
	v_cmp_ne_u32_e32 vcc_lo, v98, v10
	s_and_b32 exec_lo, exec_lo, vcc_lo
	s_cbranch_execz .LBB2_942
; %bb.935:                              ;   in Loop: Header=BB2_735 Depth=1
	v_dual_lshlrev_b32 v11, 5, v99 :: v_dual_lshlrev_b32 v12, 5, v102
	s_delay_alu instid0(VALU_DEP_1) | instskip(NEXT) | instid1(VALU_DEP_1)
	v_sub_nc_u32_e32 v11, v101, v11
	v_sub_nc_u32_e32 v11, v11, v12
	s_delay_alu instid0(VALU_DEP_1) | instskip(NEXT) | instid1(VALU_DEP_1)
	v_ashrrev_i32_e32 v12, 31, v11
	v_lshrrev_b32_e32 v12, 27, v12
	s_delay_alu instid0(VALU_DEP_1) | instskip(NEXT) | instid1(VALU_DEP_1)
	v_add_nc_u32_e32 v12, v11, v12
	v_and_b32_e32 v13, 0x7fffffe0, v12
	s_delay_alu instid0(VALU_DEP_1) | instskip(NEXT) | instid1(VALU_DEP_1)
	v_dual_lshlrev_b32 v12, 1, v12 :: v_dual_sub_nc_u32 v11, v11, v13
	v_and_b32_e32 v12, 0xffffffc0, v12
	s_delay_alu instid0(VALU_DEP_2) | instskip(NEXT) | instid1(VALU_DEP_1)
	v_lshlrev_b32_e32 v11, 1, v11
	v_add3_u32 v10, v12, v11, v10
	s_delay_alu instid0(VALU_DEP_1) | instskip(NEXT) | instid1(VALU_DEP_1)
	v_sub_nc_u32_e32 v12, v98, v10
	v_cmp_lt_i32_e32 vcc_lo, 1, v12
	s_and_b32 exec_lo, exec_lo, vcc_lo
	s_cbranch_execz .LBB2_942
; %bb.936:                              ;   in Loop: Header=BB2_735 Depth=1
	s_trap 2
	ds_load_b32 v13, v0
	v_add_nc_u32_e32 v10, v10, v100
	s_mov_b32 s19, 0
	s_wait_dscnt 0x0
	s_delay_alu instid0(VALU_DEP_1)
	v_dual_lshlrev_b32 v13, 16, v13 :: v_dual_ashrrev_i32 v11, 31, v10
	s_branch .LBB2_938
.LBB2_937:                              ;   in Loop: Header=BB2_938 Depth=2
	s_or_b32 exec_lo, exec_lo, s20
	v_sub_nc_u32_e32 v12, v12, v52
	v_add_nc_u64_e32 v[84:85], v[80:81], v[10:11]
	v_add_nc_u64_e32 v[10:11], v[10:11], v[52:53]
	s_delay_alu instid0(VALU_DEP_3)
	v_cmp_gt_i32_e32 vcc_lo, 2, v12
	flat_store_d16_hi_b16 v[84:85], v82 th:TH_STORE_NT
	s_or_b32 s19, vcc_lo, s19
	s_wait_xcnt 0x0
	s_and_not1_b32 exec_lo, exec_lo, s19
	s_cbranch_execz .LBB2_942
.LBB2_938:                              ;   Parent Loop BB2_735 Depth=1
                                        ; =>  This Inner Loop Header: Depth=2
	s_delay_alu instid0(VALU_DEP_1) | instskip(SKIP_4) | instid1(VALU_DEP_1)
	v_add_nc_u64_e32 v[82:83], v[70:71], v[10:11]
	flat_load_u16 v82, v[82:83] th:TH_LOAD_NT
	s_wait_loadcnt_dscnt 0x0
	s_wait_xcnt 0x0
	v_lshlrev_b32_e32 v82, 16, v82
	v_mul_f32_e32 v83, v13, v82
	s_delay_alu instid0(VALU_DEP_1) | instskip(NEXT) | instid1(VALU_DEP_1)
	v_and_b32_e32 v82, 0x7f800000, v83
	v_cmp_ne_u32_e32 vcc_lo, 0x7f800000, v82
                                        ; implicit-def: $vgpr82
	s_and_saveexec_b32 s20, vcc_lo
	s_delay_alu instid0(SALU_CYCLE_1)
	s_xor_b32 s20, exec_lo, s20
; %bb.939:                              ;   in Loop: Header=BB2_938 Depth=2
	v_bfe_u32 v82, v83, 16, 1
	s_delay_alu instid0(VALU_DEP_1)
	v_add3_u32 v82, v83, v82, 0x7fff
                                        ; implicit-def: $vgpr83
; %bb.940:                              ;   in Loop: Header=BB2_938 Depth=2
	s_and_not1_saveexec_b32 s20, s20
	s_cbranch_execz .LBB2_937
; %bb.941:                              ;   in Loop: Header=BB2_938 Depth=2
	v_and_b32_e32 v82, 0xffff, v83
	v_or_b32_e32 v84, 0x10000, v83
	s_delay_alu instid0(VALU_DEP_2) | instskip(NEXT) | instid1(VALU_DEP_2)
	v_cmp_eq_u32_e32 vcc_lo, 0, v82
	v_cndmask_b32_e32 v82, v84, v83, vcc_lo
	s_branch .LBB2_937
.LBB2_942:                              ;   in Loop: Header=BB2_735 Depth=1
	s_or_b32 exec_lo, exec_lo, s10
	v_cmp_ne_u32_e64 s10, 0, v34
	s_and_saveexec_b32 s19, s2
	s_cbranch_execz .LBB2_961
.LBB2_943:                              ;   in Loop: Header=BB2_735 Depth=1
	s_and_saveexec_b32 s20, s3
	s_delay_alu instid0(SALU_CYCLE_1)
	s_xor_b32 s20, exec_lo, s20
	s_cbranch_execz .LBB2_958
; %bb.944:                              ;   in Loop: Header=BB2_735 Depth=1
	s_and_saveexec_b32 s21, s4
	s_cbranch_execz .LBB2_957
; %bb.945:                              ;   in Loop: Header=BB2_735 Depth=1
	s_mov_b32 s23, exec_lo
	s_mov_b32 s22, exec_lo
	v_mbcnt_lo_u32_b32 v10, s23, 0
	global_wb scope:SCOPE_DEV
	s_wait_storecnt 0x0
	s_wait_loadcnt_dscnt 0x0
	global_inv scope:SCOPE_DEV
	v_cmpx_eq_u32_e32 0, v10
	s_cbranch_execz .LBB2_947
; %bb.946:                              ;   in Loop: Header=BB2_735 Depth=1
	s_bcnt1_i32_b32 s23, s23
	s_delay_alu instid0(SALU_CYCLE_1)
	v_mov_b32_e32 v34, s23
	s_wait_loadcnt 0x0
	ds_add_u64 v0, v[34:35]
	s_trap 2
.LBB2_947:                              ;   in Loop: Header=BB2_735 Depth=1
	s_or_b32 exec_lo, exec_lo, s22
	s_trap 2
	ds_load_b64 v[10:11], v0
	s_wait_dscnt 0x0
	v_add_nc_u64_e32 v[24:25], v[24:25], v[36:37]
	s_mov_b32 s22, exec_lo
	s_delay_alu instid0(VALU_DEP_1)
	v_cmpx_lt_u64_e64 v[10:11], v[24:25]
	s_cbranch_execz .LBB2_956
; %bb.948:                              ;   in Loop: Header=BB2_735 Depth=1
	s_mov_b32 s23, 0
	s_mov_b32 s26, 0
                                        ; implicit-def: $sgpr24
                                        ; implicit-def: $sgpr25
	s_branch .LBB2_950
.LBB2_949:                              ;   in Loop: Header=BB2_950 Depth=2
	s_or_b32 exec_lo, exec_lo, s28
	s_delay_alu instid0(SALU_CYCLE_1) | instskip(NEXT) | instid1(SALU_CYCLE_1)
	s_and_b32 s27, exec_lo, s29
	s_or_b32 s23, s27, s23
	s_and_not1_b32 s24, s24, exec_lo
	s_and_b32 s27, s25, exec_lo
	s_delay_alu instid0(SALU_CYCLE_1)
	s_or_b32 s24, s24, s27
	s_and_not1_b32 exec_lo, exec_lo, s23
	s_cbranch_execz .LBB2_954
.LBB2_950:                              ;   Parent Loop BB2_735 Depth=1
                                        ; =>  This Inner Loop Header: Depth=2
	s_add_co_i32 s26, s26, 1
	s_delay_alu instid0(SALU_CYCLE_1) | instskip(SKIP_1) | instid1(SALU_CYCLE_1)
	s_cmp_lg_u32 s26, 0x2710
	s_cselect_b32 s27, -1, 0
	s_and_b32 vcc_lo, exec_lo, s27
	s_cbranch_vccz .LBB2_952
; %bb.951:                              ;   in Loop: Header=BB2_950 Depth=2
	s_mov_b32 s29, -1
	s_or_b32 s25, s25, exec_lo
	s_and_saveexec_b32 s28, s27
	s_cbranch_execz .LBB2_949
	s_branch .LBB2_953
.LBB2_952:                              ;   in Loop: Header=BB2_950 Depth=2
	s_trap 2
	ds_load_b64 v[10:11], v0
	s_and_not1_b32 s27, s27, exec_lo
	s_mov_b32 s26, 0
	s_wait_loadcnt_dscnt 0x0
	flat_load_b32 v10, v[10:11] scope:SCOPE_SYS
	s_wait_loadcnt_dscnt 0x0
	global_inv scope:SCOPE_SYS
	v_cmp_eq_u32_e32 vcc_lo, 0, v10
	s_and_b32 s28, vcc_lo, exec_lo
	s_delay_alu instid0(SALU_CYCLE_1)
	s_or_b32 s27, s27, s28
	s_mov_b32 s29, -1
	s_or_b32 s25, s25, exec_lo
	s_and_saveexec_b32 s28, s27
	s_cbranch_execz .LBB2_949
.LBB2_953:                              ;   in Loop: Header=BB2_950 Depth=2
	s_sleep 1
	s_trap 2
	ds_load_b64 v[10:11], v0
	s_wait_dscnt 0x0
	s_and_not1_b32 s25, s25, exec_lo
	v_cmp_ge_u64_e32 vcc_lo, v[10:11], v[24:25]
	s_or_not1_b32 s29, vcc_lo, exec_lo
	s_branch .LBB2_949
.LBB2_954:                              ;   in Loop: Header=BB2_735 Depth=1
	s_or_b32 exec_lo, exec_lo, s23
	s_and_saveexec_b32 s23, s24
	s_delay_alu instid0(SALU_CYCLE_1)
	s_xor_b32 s23, exec_lo, s23
	s_cbranch_execz .LBB2_956
; %bb.955:                              ;   in Loop: Header=BB2_735 Depth=1
	ds_store_b32 v0, v97
	s_trap 2
.LBB2_956:                              ;   in Loop: Header=BB2_735 Depth=1
	s_or_b32 exec_lo, exec_lo, s22
	;;#ASMSTART
	s_wakeup
	;;#ASMEND
.LBB2_957:                              ;   in Loop: Header=BB2_735 Depth=1
	s_or_b32 exec_lo, exec_lo, s21
.LBB2_958:                              ;   in Loop: Header=BB2_735 Depth=1
	s_and_not1_saveexec_b32 s20, s20
	s_cbranch_execz .LBB2_960
; %bb.959:                              ;   in Loop: Header=BB2_735 Depth=1
	global_wb scope:SCOPE_DEV
	s_wait_storecnt 0x0
	s_wait_loadcnt_dscnt 0x0
	global_inv scope:SCOPE_DEV
	s_barrier_signal -1
	s_barrier_wait -1
.LBB2_960:                              ;   in Loop: Header=BB2_735 Depth=1
	s_or_b32 exec_lo, exec_lo, s20
.LBB2_961:                              ;   in Loop: Header=BB2_735 Depth=1
	s_delay_alu instid0(SALU_CYCLE_1) | instskip(SKIP_1) | instid1(VALU_DEP_1)
	s_or_b32 exec_lo, exec_lo, s19
	v_and_b32_e32 v10, 16, v30
	v_cmp_ne_u32_e32 vcc_lo, 0, v10
	s_and_b32 s19, vcc_lo, s10
	s_delay_alu instid0(SALU_CYCLE_1)
	s_and_saveexec_b32 s10, s19
	s_cbranch_execz .LBB2_963
; %bb.962:                              ;   in Loop: Header=BB2_735 Depth=1
	global_wb scope:SCOPE_SYS
	s_wait_storecnt 0x0
	s_wait_loadcnt_dscnt 0x0
	global_inv scope:SCOPE_SYS
.LBB2_963:                              ;   in Loop: Header=BB2_735 Depth=1
	s_or_b32 exec_lo, exec_lo, s10
	s_delay_alu instid0(SALU_CYCLE_1)
	s_mov_b32 s10, exec_lo
	v_cmpx_ne_u32_e32 0, v10
	s_cbranch_execz .LBB2_967
; %bb.964:                              ;   in Loop: Header=BB2_735 Depth=1
	s_and_saveexec_b32 s19, s7
	s_cbranch_execz .LBB2_966
; %bb.965:                              ;   in Loop: Header=BB2_735 Depth=1
	global_wb scope:SCOPE_SYS
	s_wait_storecnt 0x0
	s_wait_loadcnt_dscnt 0x0
	flat_store_b32 v[32:33], v97 scope:SCOPE_SYS
.LBB2_966:                              ;   in Loop: Header=BB2_735 Depth=1
	s_wait_xcnt 0x0
	s_or_b32 exec_lo, exec_lo, s19
	v_add_nc_u64_e32 v[8:9], 1, v[8:9]
	global_wb scope:SCOPE_SYS
	s_wait_storecnt 0x0
	s_wait_loadcnt_dscnt 0x0
	flat_store_b64 v[18:19], v[8:9] scope:SCOPE_SYS
.LBB2_967:                              ;   in Loop: Header=BB2_735 Depth=1
	s_wait_xcnt 0x0
	s_or_b32 exec_lo, exec_lo, s10
	v_mov_b32_e32 v10, v69
.LBB2_968:                              ;   in Loop: Header=BB2_735 Depth=1
	s_or_b32 exec_lo, exec_lo, s18
	s_and_saveexec_b32 s18, s17
	s_cbranch_execz .LBB2_734
; %bb.969:                              ;   in Loop: Header=BB2_735 Depth=1
	s_delay_alu instid0(VALU_DEP_1) | instskip(SKIP_2) | instid1(VALU_DEP_2)
	v_sub_nc_u32_e32 v10, v68, v10
	v_and_b32_e32 v11, 8, v30
	s_mov_b32 s17, exec_lo
	v_min_i32_e32 v10, v69, v10
	s_delay_alu instid0(VALU_DEP_2)
	v_cmpx_ne_u32_e32 0, v11
	s_cbranch_execz .LBB2_991
; %bb.970:                              ;   in Loop: Header=BB2_735 Depth=1
	s_wait_loadcnt 0x0
	v_add_nc_u64_e32 v[68:69], 8, v[26:27]
	v_add_nc_u64_e32 v[12:13], 1, v[8:9]
	s_mov_b32 s19, exec_lo
	s_delay_alu instid0(VALU_DEP_1)
	v_cmpx_lt_u64_e64 v[68:69], v[12:13]
	s_cbranch_execz .LBB2_982
; %bb.971:                              ;   in Loop: Header=BB2_735 Depth=1
	v_and_b32_e32 v9, 64, v30
	s_mov_b32 s20, 0
	s_mov_b32 s24, 0
                                        ; implicit-def: $sgpr21
                                        ; implicit-def: $sgpr22
                                        ; implicit-def: $sgpr23
	s_delay_alu instid0(VALU_DEP_1)
	v_cmp_eq_u32_e32 vcc_lo, 0, v9
	s_branch .LBB2_975
.LBB2_972:                              ;   in Loop: Header=BB2_975 Depth=2
	s_wait_loadcnt_dscnt 0x0
	v_add_nc_u64_e32 v[68:69], 8, v[26:27]
	s_or_b32 s27, s27, exec_lo
	s_delay_alu instid0(VALU_DEP_1)
	v_cmp_ge_u64_e64 s10, v[68:69], v[12:13]
	s_or_not1_b32 s26, s10, exec_lo
.LBB2_973:                              ;   in Loop: Header=BB2_975 Depth=2
	s_or_b32 exec_lo, exec_lo, s29
	s_delay_alu instid0(SALU_CYCLE_1)
	s_and_not1_b32 s10, s23, exec_lo
	s_and_b32 s23, s27, exec_lo
	s_and_not1_b32 s22, s22, exec_lo
	s_and_b32 s26, s26, exec_lo
	s_or_b32 s23, s10, s23
	s_or_b32 s22, s22, s26
.LBB2_974:                              ;   in Loop: Header=BB2_975 Depth=2
	s_or_b32 exec_lo, exec_lo, s25
	s_delay_alu instid0(SALU_CYCLE_1) | instskip(NEXT) | instid1(SALU_CYCLE_1)
	s_and_b32 s10, exec_lo, s22
	s_or_b32 s20, s10, s20
	s_and_not1_b32 s10, s21, exec_lo
	s_and_b32 s21, s23, exec_lo
	s_delay_alu instid0(SALU_CYCLE_1)
	s_or_b32 s21, s10, s21
	s_and_not1_b32 exec_lo, exec_lo, s20
	s_cbranch_execz .LBB2_979
.LBB2_975:                              ;   Parent Loop BB2_735 Depth=1
                                        ; =>  This Inner Loop Header: Depth=2
	s_sleep 1
	s_wait_loadcnt_dscnt 0x0
	flat_load_b64 v[26:27], v[18:19] scope:SCOPE_SYS
	s_or_b32 s23, s23, exec_lo
	s_or_b32 s22, s22, exec_lo
                                        ; implicit-def: $vgpr9
	s_wait_xcnt 0x0
	s_and_saveexec_b32 s25, vcc_lo
	s_cbranch_execz .LBB2_974
; %bb.976:                              ;   in Loop: Header=BB2_975 Depth=2
	s_cmp_lt_i32 s24, 0x270f
	s_mov_b32 s26, -1
	s_cselect_b32 s28, -1, 0
	s_cmp_gt_i32 s24, 0x270e
	s_cbranch_scc0 .LBB2_978
; %bb.977:                              ;   in Loop: Header=BB2_975 Depth=2
	s_trap 2
	ds_load_b64 v[68:69], v0
	s_and_not1_b32 s24, s28, exec_lo
	s_mov_b32 s27, 0
	s_wait_storecnt 0x0
	s_wait_loadcnt_dscnt 0x0
	flat_load_b32 v9, v[68:69] scope:SCOPE_SYS
	s_wait_loadcnt_dscnt 0x0
	global_inv scope:SCOPE_SYS
	v_cmp_eq_u32_e64 s10, 0, v9
	s_and_b32 s10, s10, exec_lo
	s_delay_alu instid0(SALU_CYCLE_1)
	s_or_b32 s28, s24, s10
	s_mov_b32 s24, 0
	s_and_saveexec_b32 s29, s28
	s_cbranch_execz .LBB2_973
	s_branch .LBB2_972
.LBB2_978:                              ;   in Loop: Header=BB2_975 Depth=2
	s_add_co_i32 s24, s24, 1
	s_mov_b32 s27, -1
                                        ; implicit-def: $vgpr9
	s_and_saveexec_b32 s29, s28
	s_cbranch_execz .LBB2_973
	s_branch .LBB2_972
.LBB2_979:                              ;   in Loop: Header=BB2_735 Depth=1
	s_or_b32 exec_lo, exec_lo, s20
	s_xor_b32 s10, s21, -1
	s_delay_alu instid0(SALU_CYCLE_1) | instskip(NEXT) | instid1(SALU_CYCLE_1)
	s_and_saveexec_b32 s20, s10
	s_xor_b32 s10, exec_lo, s20
	s_cbranch_execz .LBB2_981
; %bb.980:                              ;   in Loop: Header=BB2_735 Depth=1
	v_or_b32_e32 v30, 64, v30
	s_wait_storecnt 0x0
	s_wait_loadcnt_dscnt 0x0
	ds_store_b32 v0, v9
	s_trap 2
.LBB2_981:                              ;   in Loop: Header=BB2_735 Depth=1
	s_or_b32 exec_lo, exec_lo, s10
.LBB2_982:                              ;   in Loop: Header=BB2_735 Depth=1
	s_delay_alu instid0(SALU_CYCLE_1) | instskip(SKIP_4) | instid1(VALU_DEP_2)
	s_or_b32 exec_lo, exec_lo, s19
	v_and_b32_e32 v9, 0x100, v30
	v_and_b32_e32 v34, 7, v8
	s_mov_b32 s19, 0
	;;#ASMSTART
	s_wakeup
	;;#ASMEND
	v_cmp_ne_u32_e32 vcc_lo, 0, v9
                                        ; implicit-def: $vgpr8_vgpr9
	s_and_saveexec_b32 s10, vcc_lo
	s_delay_alu instid0(SALU_CYCLE_1)
	s_xor_b32 s10, exec_lo, s10
	s_cbranch_execz .LBB2_1003
; %bb.983:                              ;   in Loop: Header=BB2_735 Depth=1
	v_mad_nc_u64_u32 v[68:69], v34, 24, v[6:7]
	v_ashrrev_i32_e32 v11, 31, v10
	s_mov_b32 s19, -1
	s_mov_b32 s20, exec_lo
	s_delay_alu instid0(VALU_DEP_1)
	v_lshlrev_b64_e32 v[8:9], 1, v[10:11]
	s_clause 0x1
	flat_load_b32 v70, v[68:69]
	flat_store_b64 v[68:69], v[8:9] offset:8
                                        ; implicit-def: $vgpr8_vgpr9
	s_wait_loadcnt_dscnt 0x1
	v_cmpx_eq_u32_e32 1, v70
	s_cbranch_execz .LBB2_985
; %bb.984:                              ;   in Loop: Header=BB2_735 Depth=1
	flat_load_b32 v8, v[68:69] offset:4 scope:SCOPE_SYS
	s_xor_b32 s19, exec_lo, -1
	s_wait_loadcnt_dscnt 0x0
	v_ashrrev_i32_e32 v9, 31, v8
	s_delay_alu instid0(VALU_DEP_1)
	v_lshrrev_b64 v[8:9], 1, v[8:9]
.LBB2_985:                              ;   in Loop: Header=BB2_735 Depth=1
	s_wait_xcnt 0x0
	s_or_b32 exec_lo, exec_lo, s20
	s_delay_alu instid0(SALU_CYCLE_1)
	s_and_b32 s19, s19, exec_lo
	s_and_not1_saveexec_b32 s10, s10
	s_cbranch_execnz .LBB2_1004
.LBB2_986:                              ;   in Loop: Header=BB2_735 Depth=1
	s_or_b32 exec_lo, exec_lo, s10
	s_and_saveexec_b32 s10, s19
.LBB2_987:                              ;   in Loop: Header=BB2_735 Depth=1
	v_mul_u64_e32 v[8:9], v[34:35], v[20:21]
.LBB2_988:                              ;   in Loop: Header=BB2_735 Depth=1
	s_or_b32 exec_lo, exec_lo, s10
	v_and_b32_e32 v11, 0x2000, v30
	s_delay_alu instid0(VALU_DEP_2)
	v_lshl_add_u64 v[8:9], v[8:9], 1, v[22:23]
	s_mov_b32 s10, exec_lo
	ds_store_b64 v0, v[8:9] offset:784
	v_cmpx_ne_u32_e32 0, v11
	s_cbranch_execz .LBB2_990
; %bb.989:                              ;   in Loop: Header=BB2_735 Depth=1
	ds_load_b64 v[8:9], v0 offset:872
	s_wait_dscnt 0x0
	v_add_nc_u64_e32 v[8:9], 1, v[8:9]
	ds_store_b64 v0, v[8:9] offset:872
.LBB2_990:                              ;   in Loop: Header=BB2_735 Depth=1
	s_or_b32 exec_lo, exec_lo, s10
	v_mov_b64_e32 v[8:9], v[12:13]
.LBB2_991:                              ;   in Loop: Header=BB2_735 Depth=1
	s_or_b32 exec_lo, exec_lo, s17
	s_and_saveexec_b32 s10, s2
	s_cbranch_execz .LBB2_1012
; %bb.992:                              ;   in Loop: Header=BB2_735 Depth=1
	s_and_saveexec_b32 s17, s3
	s_delay_alu instid0(SALU_CYCLE_1)
	s_xor_b32 s17, exec_lo, s17
	s_cbranch_execz .LBB2_1009
; %bb.993:                              ;   in Loop: Header=BB2_735 Depth=1
	s_and_saveexec_b32 s19, s4
	s_cbranch_execz .LBB2_1008
; %bb.994:                              ;   in Loop: Header=BB2_735 Depth=1
	s_mov_b32 s21, exec_lo
	s_mov_b32 s20, exec_lo
	v_mbcnt_lo_u32_b32 v11, s21, 0
	global_wb scope:SCOPE_DEV
	s_wait_storecnt 0x0
	s_wait_loadcnt_dscnt 0x0
	global_inv scope:SCOPE_DEV
	v_cmpx_eq_u32_e32 0, v11
	s_cbranch_execz .LBB2_996
; %bb.995:                              ;   in Loop: Header=BB2_735 Depth=1
	s_bcnt1_i32_b32 s21, s21
	s_delay_alu instid0(SALU_CYCLE_1)
	v_mov_b32_e32 v34, s21
	s_wait_loadcnt 0x0
	ds_add_u64 v0, v[34:35]
	s_trap 2
.LBB2_996:                              ;   in Loop: Header=BB2_735 Depth=1
	s_or_b32 exec_lo, exec_lo, s20
	s_trap 2
	ds_load_b64 v[12:13], v0
	s_wait_dscnt 0x0
	v_add_nc_u64_e32 v[24:25], v[24:25], v[36:37]
	s_mov_b32 s20, exec_lo
	s_delay_alu instid0(VALU_DEP_1)
	v_cmpx_lt_u64_e64 v[12:13], v[24:25]
	s_cbranch_execz .LBB2_1007
; %bb.997:                              ;   in Loop: Header=BB2_735 Depth=1
	s_mov_b32 s21, 0
	s_mov_b32 s24, 0
                                        ; implicit-def: $sgpr22
                                        ; implicit-def: $sgpr23
	s_branch .LBB2_999
.LBB2_998:                              ;   in Loop: Header=BB2_999 Depth=2
	s_or_b32 exec_lo, exec_lo, s26
	s_delay_alu instid0(SALU_CYCLE_1) | instskip(NEXT) | instid1(SALU_CYCLE_1)
	s_and_b32 s25, exec_lo, s27
	s_or_b32 s21, s25, s21
	s_and_not1_b32 s22, s22, exec_lo
	s_and_b32 s25, s23, exec_lo
	s_delay_alu instid0(SALU_CYCLE_1)
	s_or_b32 s22, s22, s25
	s_and_not1_b32 exec_lo, exec_lo, s21
	s_cbranch_execz .LBB2_1005
.LBB2_999:                              ;   Parent Loop BB2_735 Depth=1
                                        ; =>  This Inner Loop Header: Depth=2
	s_add_co_i32 s24, s24, 1
	s_delay_alu instid0(SALU_CYCLE_1) | instskip(SKIP_1) | instid1(SALU_CYCLE_1)
	s_cmp_lg_u32 s24, 0x2710
	s_cselect_b32 s25, -1, 0
	s_and_b32 vcc_lo, exec_lo, s25
	s_cbranch_vccz .LBB2_1001
; %bb.1000:                             ;   in Loop: Header=BB2_999 Depth=2
	s_mov_b32 s27, -1
	s_or_b32 s23, s23, exec_lo
	s_and_saveexec_b32 s26, s25
	s_cbranch_execz .LBB2_998
	s_branch .LBB2_1002
.LBB2_1001:                             ;   in Loop: Header=BB2_999 Depth=2
	s_trap 2
	ds_load_b64 v[12:13], v0
	s_and_not1_b32 s25, s25, exec_lo
	s_mov_b32 s24, 0
	s_wait_loadcnt_dscnt 0x0
	flat_load_b32 v11, v[12:13] scope:SCOPE_SYS
	s_wait_loadcnt_dscnt 0x0
	global_inv scope:SCOPE_SYS
	v_cmp_eq_u32_e32 vcc_lo, 0, v11
	s_and_b32 s26, vcc_lo, exec_lo
	s_delay_alu instid0(SALU_CYCLE_1)
	s_or_b32 s25, s25, s26
	s_mov_b32 s27, -1
	s_or_b32 s23, s23, exec_lo
	s_and_saveexec_b32 s26, s25
	s_cbranch_execz .LBB2_998
.LBB2_1002:                             ;   in Loop: Header=BB2_999 Depth=2
	s_sleep 1
	s_trap 2
	ds_load_b64 v[12:13], v0
	s_wait_dscnt 0x0
	s_and_not1_b32 s23, s23, exec_lo
	v_cmp_ge_u64_e32 vcc_lo, v[12:13], v[24:25]
	s_or_not1_b32 s27, vcc_lo, exec_lo
	s_branch .LBB2_998
.LBB2_1003:                             ;   in Loop: Header=BB2_735 Depth=1
	s_and_not1_saveexec_b32 s10, s10
	s_cbranch_execz .LBB2_986
.LBB2_1004:                             ;   in Loop: Header=BB2_735 Depth=1
	s_or_b32 s19, s19, exec_lo
	s_or_b32 exec_lo, exec_lo, s10
	s_and_saveexec_b32 s10, s19
	s_cbranch_execnz .LBB2_987
	s_branch .LBB2_988
.LBB2_1005:                             ;   in Loop: Header=BB2_735 Depth=1
	s_or_b32 exec_lo, exec_lo, s21
	s_and_saveexec_b32 s21, s22
	s_delay_alu instid0(SALU_CYCLE_1)
	s_xor_b32 s21, exec_lo, s21
	s_cbranch_execz .LBB2_1007
; %bb.1006:                             ;   in Loop: Header=BB2_735 Depth=1
	ds_store_b32 v0, v97
	s_trap 2
.LBB2_1007:                             ;   in Loop: Header=BB2_735 Depth=1
	s_or_b32 exec_lo, exec_lo, s20
	;;#ASMSTART
	s_wakeup
	;;#ASMEND
.LBB2_1008:                             ;   in Loop: Header=BB2_735 Depth=1
	s_or_b32 exec_lo, exec_lo, s19
.LBB2_1009:                             ;   in Loop: Header=BB2_735 Depth=1
	s_and_not1_saveexec_b32 s17, s17
	s_cbranch_execz .LBB2_1011
; %bb.1010:                             ;   in Loop: Header=BB2_735 Depth=1
	global_wb scope:SCOPE_DEV
	s_wait_storecnt 0x0
	s_wait_loadcnt_dscnt 0x0
	global_inv scope:SCOPE_DEV
	s_barrier_signal -1
	s_barrier_wait -1
.LBB2_1011:                             ;   in Loop: Header=BB2_735 Depth=1
	s_or_b32 exec_lo, exec_lo, s17
.LBB2_1012:                             ;   in Loop: Header=BB2_735 Depth=1
	s_delay_alu instid0(SALU_CYCLE_1)
	s_or_b32 exec_lo, exec_lo, s10
	s_trap 2
	ds_load_b32 v11, v0
	v_cmp_lt_i32_e32 vcc_lo, 0, v10
	s_wait_dscnt 0x0
	v_readfirstlane_b32 s10, v11
	v_and_b32_e32 v11, 16, v30
	s_cmp_eq_u32 s10, 0
	s_delay_alu instid0(VALU_DEP_1) | instskip(SKIP_1) | instid1(SALU_CYCLE_1)
	v_cmp_ne_u32_e64 s10, 0, v11
	s_cselect_b32 s17, -1, 0
	s_and_b32 s17, vcc_lo, s17
	s_delay_alu instid0(SALU_CYCLE_1) | instskip(NEXT) | instid1(SALU_CYCLE_1)
	s_and_b32 s17, s10, s17
	s_and_saveexec_b32 s10, s17
	s_cbranch_execz .LBB2_1014
; %bb.1013:                             ;   in Loop: Header=BB2_735 Depth=1
	global_wb scope:SCOPE_SYS
	s_wait_loadcnt 0x0
	s_wait_storecnt 0x0
	global_inv scope:SCOPE_SYS
.LBB2_1014:                             ;   in Loop: Header=BB2_735 Depth=1
	s_or_b32 exec_lo, exec_lo, s10
	s_delay_alu instid0(SALU_CYCLE_1)
	s_mov_b32 s10, exec_lo
	v_cmpx_ne_u32_e32 0, v11
	s_cbranch_execz .LBB2_733
; %bb.1015:                             ;   in Loop: Header=BB2_735 Depth=1
	s_and_saveexec_b32 s17, s7
	s_cbranch_execz .LBB2_732
; %bb.1016:                             ;   in Loop: Header=BB2_735 Depth=1
	global_wb scope:SCOPE_SYS
	s_wait_loadcnt 0x0
	s_wait_storecnt 0x0
	flat_store_b32 v[32:33], v97 scope:SCOPE_SYS
	s_branch .LBB2_732
.LBB2_1017:
	s_or_b32 exec_lo, exec_lo, s14
.LBB2_1018:
	s_delay_alu instid0(SALU_CYCLE_1)
	s_or_b32 exec_lo, exec_lo, s13
.LBB2_1019:
	s_delay_alu instid0(SALU_CYCLE_1) | instskip(SKIP_2) | instid1(VALU_DEP_1)
	s_or_b32 exec_lo, exec_lo, s12
	v_and_b32_e32 v0, 0x800, v30
	s_mov_b32 s1, exec_lo
	v_cmpx_eq_u32_e32 0, v0
	s_cbranch_execz .LBB2_1052
; %bb.1020:
	v_and_b32_e32 v0, 48, v30
	s_mov_b32 s0, exec_lo
	s_delay_alu instid0(VALU_DEP_1)
	v_cmpx_ne_u32_e32 0, v0
	s_cbranch_execz .LBB2_1022
; %bb.1021:
	flat_store_b64 v[16:17], v[8:9] offset:104
.LBB2_1022:
	s_wait_xcnt 0x0
	s_or_b32 exec_lo, exec_lo, s0
	v_and_b32_e32 v0, 0x88, v30
	s_mov_b32 s2, exec_lo
	s_delay_alu instid0(VALU_DEP_1)
	v_cmpx_eq_u32_e32 0x88, v0
	s_cbranch_execz .LBB2_1032
; %bb.1023:
	v_add_nc_u32_e32 v0, -1, v8
	s_mov_b32 s3, 0
	s_delay_alu instid0(VALU_DEP_1) | instskip(NEXT) | instid1(VALU_DEP_1)
	v_and_b32_e32 v0, 7, v0
	v_mad_nc_u64_u32 v[4:5], v0, 24, v[6:7]
	v_and_b32_e32 v0, 64, v30
	s_delay_alu instid0(VALU_DEP_1)
	v_cmp_eq_u32_e64 s0, 0, v0
	flat_load_b64 v[6:7], v[4:5] offset:8 scope:SCOPE_SYS
	s_wait_loadcnt_dscnt 0x0
	v_cmp_ne_u64_e32 vcc_lo, -1, v[6:7]
	s_and_b32 s0, vcc_lo, s0
	s_wait_xcnt 0x0
	s_and_b32 exec_lo, exec_lo, s0
	s_cbranch_execz .LBB2_1032
; %bb.1024:
	s_mov_b32 s5, 0
                                        ; implicit-def: $sgpr0
                                        ; implicit-def: $sgpr4
	s_branch .LBB2_1027
.LBB2_1025:                             ;   in Loop: Header=BB2_1027 Depth=1
	flat_load_b64 v[6:7], v[4:5] offset:8 scope:SCOPE_SYS
	s_wait_loadcnt 0x0
	s_and_not1_b32 s4, s4, exec_lo
	s_wait_dscnt 0x0
	v_cmp_eq_u64_e32 vcc_lo, -1, v[6:7]
	s_or_not1_b32 s7, vcc_lo, exec_lo
.LBB2_1026:                             ;   in Loop: Header=BB2_1027 Depth=1
	s_wait_xcnt 0x0
	s_or_b32 exec_lo, exec_lo, s10
	s_delay_alu instid0(SALU_CYCLE_1) | instskip(NEXT) | instid1(SALU_CYCLE_1)
	s_and_b32 s6, exec_lo, s7
	s_or_b32 s3, s6, s3
	s_and_not1_b32 s0, s0, exec_lo
	s_and_b32 s6, s4, exec_lo
	s_delay_alu instid0(SALU_CYCLE_1)
	s_or_b32 s0, s0, s6
	s_and_not1_b32 exec_lo, exec_lo, s3
	s_cbranch_execz .LBB2_1030
.LBB2_1027:                             ; =>This Inner Loop Header: Depth=1
	s_cmp_lt_i32 s5, 0x270f
	s_cselect_b32 s6, -1, 0
	s_delay_alu instid0(SALU_CYCLE_1)
	s_and_b32 vcc_lo, exec_lo, s6
	s_cbranch_vccnz .LBB2_1029
; %bb.1028:                             ;   in Loop: Header=BB2_1027 Depth=1
	s_trap 2
	ds_load_b64 v[6:7], v0
	s_and_not1_b32 s6, s6, exec_lo
	s_mov_b32 s5, 0
	s_wait_storecnt_dscnt 0x0
	flat_load_b32 v0, v[6:7] scope:SCOPE_SYS
	s_wait_loadcnt_dscnt 0x0
	global_inv scope:SCOPE_SYS
	v_cmp_eq_u32_e32 vcc_lo, 0, v0
	s_and_b32 s7, vcc_lo, exec_lo
	s_delay_alu instid0(SALU_CYCLE_1)
	s_or_b32 s6, s6, s7
	s_mov_b32 s7, -1
	s_or_b32 s4, s4, exec_lo
	s_wait_xcnt 0x0
	s_and_saveexec_b32 s10, s6
	s_cbranch_execz .LBB2_1026
	s_branch .LBB2_1025
.LBB2_1029:                             ;   in Loop: Header=BB2_1027 Depth=1
	s_add_co_i32 s5, s5, 1
                                        ; implicit-def: $vgpr0
	s_mov_b32 s7, -1
	s_or_b32 s4, s4, exec_lo
	s_and_saveexec_b32 s10, s6
	s_cbranch_execz .LBB2_1026
	s_branch .LBB2_1025
.LBB2_1030:
	s_or_b32 exec_lo, exec_lo, s3
	s_and_saveexec_b32 s3, s0
	s_delay_alu instid0(SALU_CYCLE_1)
	s_xor_b32 s3, exec_lo, s3
	s_cbranch_execz .LBB2_1032
; %bb.1031:
	s_wait_loadcnt 0x0
	s_wait_storecnt 0x0
	ds_store_b32 v0, v0
	s_trap 2
.LBB2_1032:
	s_or_b32 exec_lo, exec_lo, s2
	v_and_b32_e32 v0, 0x2000, v30
	s_mov_b32 s0, exec_lo
	s_delay_alu instid0(VALU_DEP_1)
	v_cmpx_ne_u32_e32 0, v0
	s_cbranch_execz .LBB2_1034
; %bb.1033:
	s_trap 2
	ds_load_b64 v[4:5], v0
	s_wait_dscnt 0x0
	flat_store_b64 v[2:3], v[4:5] offset:16
.LBB2_1034:
	s_wait_xcnt 0x0
	s_or_b32 exec_lo, exec_lo, s0
	v_cmp_ne_u32_e32 vcc_lo, 32, v1
	s_and_b32 exec_lo, exec_lo, vcc_lo
	s_cbranch_execz .LBB2_1052
; %bb.1035:
	s_mov_b32 s0, exec_lo
	v_cmpx_ne_u32_e64 v1, v86
	s_xor_b32 s0, exec_lo, s0
	s_cbranch_execz .LBB2_1050
; %bb.1036:
	v_and_b32_e32 v0, 31, v31
	s_mov_b32 s2, exec_lo
	s_delay_alu instid0(VALU_DEP_1)
	v_cmpx_eq_u32_e32 0, v0
	s_cbranch_execz .LBB2_1049
; %bb.1037:
	s_mov_b32 s4, exec_lo
	s_mov_b32 s3, exec_lo
	v_mbcnt_lo_u32_b32 v0, s4, 0
	global_wb scope:SCOPE_DEV
	s_wait_storecnt 0x0
	s_wait_loadcnt_dscnt 0x0
	global_inv scope:SCOPE_DEV
	v_cmpx_eq_u32_e32 0, v0
	s_cbranch_execz .LBB2_1039
; %bb.1038:
	s_bcnt1_i32_b32 s4, s4
	s_delay_alu instid0(SALU_CYCLE_1)
	v_dual_mov_b32 v3, 0 :: v_dual_mov_b32 v2, s4
	s_wait_loadcnt 0x0
	ds_add_u64 v0, v[2:3]
	s_trap 2
.LBB2_1039:
	s_or_b32 exec_lo, exec_lo, s3
	s_trap 2
	ds_load_b64 v[2:3], v0
	s_wait_dscnt 0x0
	v_dual_mov_b32 v1, 0 :: v_dual_lshrrev_b32 v0, 5, v1
	s_mov_b32 s3, exec_lo
	s_delay_alu instid0(VALU_DEP_1) | instskip(NEXT) | instid1(VALU_DEP_1)
	v_add_nc_u64_e32 v[0:1], v[24:25], v[0:1]
	v_cmpx_lt_u64_e64 v[2:3], v[0:1]
	s_cbranch_execz .LBB2_1048
; %bb.1040:
	s_mov_b32 s4, 0
	s_mov_b32 s7, 0
                                        ; implicit-def: $sgpr5
                                        ; implicit-def: $sgpr6
	s_branch .LBB2_1042
.LBB2_1041:                             ;   in Loop: Header=BB2_1042 Depth=1
	s_or_b32 exec_lo, exec_lo, s12
	s_delay_alu instid0(SALU_CYCLE_1) | instskip(NEXT) | instid1(SALU_CYCLE_1)
	s_and_b32 s10, exec_lo, s13
	s_or_b32 s4, s10, s4
	s_and_not1_b32 s5, s5, exec_lo
	s_and_b32 s10, s6, exec_lo
	s_delay_alu instid0(SALU_CYCLE_1)
	s_or_b32 s5, s5, s10
	s_and_not1_b32 exec_lo, exec_lo, s4
	s_cbranch_execz .LBB2_1046
.LBB2_1042:                             ; =>This Inner Loop Header: Depth=1
	s_add_co_i32 s7, s7, 1
	s_delay_alu instid0(SALU_CYCLE_1) | instskip(SKIP_1) | instid1(SALU_CYCLE_1)
	s_cmp_lg_u32 s7, 0x2710
	s_cselect_b32 s10, -1, 0
	s_and_b32 vcc_lo, exec_lo, s10
	s_cbranch_vccz .LBB2_1044
; %bb.1043:                             ;   in Loop: Header=BB2_1042 Depth=1
	s_mov_b32 s13, -1
	s_or_b32 s6, s6, exec_lo
	s_and_saveexec_b32 s12, s10
	s_cbranch_execz .LBB2_1041
	s_branch .LBB2_1045
.LBB2_1044:                             ;   in Loop: Header=BB2_1042 Depth=1
	s_trap 2
	ds_load_b64 v[2:3], v0
	s_and_not1_b32 s10, s10, exec_lo
	s_mov_b32 s7, 0
	s_wait_loadcnt_dscnt 0x0
	flat_load_b32 v2, v[2:3] scope:SCOPE_SYS
	s_wait_loadcnt_dscnt 0x0
	global_inv scope:SCOPE_SYS
	v_cmp_eq_u32_e32 vcc_lo, 0, v2
	s_and_b32 s12, vcc_lo, exec_lo
	s_delay_alu instid0(SALU_CYCLE_1)
	s_or_b32 s10, s10, s12
	s_mov_b32 s13, -1
	s_or_b32 s6, s6, exec_lo
	s_and_saveexec_b32 s12, s10
	s_cbranch_execz .LBB2_1041
.LBB2_1045:                             ;   in Loop: Header=BB2_1042 Depth=1
	s_sleep 1
	s_trap 2
	ds_load_b64 v[2:3], v0
	s_wait_dscnt 0x0
	s_and_not1_b32 s6, s6, exec_lo
	v_cmp_ge_u64_e32 vcc_lo, v[2:3], v[0:1]
	s_or_not1_b32 s13, vcc_lo, exec_lo
	s_branch .LBB2_1041
.LBB2_1046:
	s_or_b32 exec_lo, exec_lo, s4
	s_and_saveexec_b32 s4, s5
	s_delay_alu instid0(SALU_CYCLE_1)
	s_xor_b32 s4, exec_lo, s4
	s_cbranch_execz .LBB2_1048
; %bb.1047:
	v_mov_b32_e32 v0, 1
	ds_store_b32 v0, v0
	s_trap 2
.LBB2_1048:
	s_or_b32 exec_lo, exec_lo, s3
	;;#ASMSTART
	s_wakeup
	;;#ASMEND
.LBB2_1049:
	s_or_b32 exec_lo, exec_lo, s2
.LBB2_1050:
	s_and_not1_saveexec_b32 s0, s0
	s_cbranch_execz .LBB2_1052
; %bb.1051:
	global_wb scope:SCOPE_DEV
	s_wait_storecnt 0x0
	s_wait_loadcnt_dscnt 0x0
	global_inv scope:SCOPE_DEV
	s_barrier_signal -1
	s_barrier_wait -1
.LBB2_1052:
	s_or_b32 exec_lo, exec_lo, s1
.LBB2_1053:
	s_and_not1_saveexec_b32 s21, s11
	s_cbranch_execz .LBB2_1055
; %bb.1054:
	s_get_pc_i64 s[0:1]
	s_add_nc_u64 s[0:1], s[0:1], __PRETTY_FUNCTION__._ZN10PrimitivesI12hip_bfloat1613FuncPreMulSumIS0_E12FanSymmetricILi1EELi0E11ProtoSimpleILi1ELi1ELi0ELi1ELi0ELi0EELi0ELb0ELi0ELi0ELi0EEC2EiiPKiS9_PKvPvmhhhP15ncclDevWorkCollP14ncclDevWorkP2pii@rel64+4
	s_get_pc_i64 s[2:3]
	s_add_nc_u64 s[2:3], s[2:3], __assert_fail@rel64+4
	v_dual_mov_b32 v0, s0 :: v_dual_mov_b32 v1, s1
	s_swap_pc_i64 s[30:31], s[2:3]
	; divergent unreachable
.LBB2_1055:
	s_or_b32 exec_lo, exec_lo, s21
	s_clause 0x4
	scratch_load_b32 v44, off, s33
	scratch_load_b32 v43, off, s33 offset:4
	scratch_load_b32 v42, off, s33 offset:8
	;; [unrolled: 1-line block ×4, first 2 shown]
	v_readlane_b32 s30, v45, 0
	v_readlane_b32 s31, v45, 1
	s_mov_b32 s32, s33
	s_wait_xcnt 0x0
	s_or_saveexec_b32 s0, -1
	scratch_load_b32 v45, off, s33 offset:20 ; 4-byte Folded Reload
	s_wait_xcnt 0x0
	s_mov_b32 exec_lo, s0
	s_mov_b32 s33, s43
	s_wait_loadcnt_dscnt 0x0
	s_set_pc_i64 s[30:31]
.Lfunc_end2:
	.size	_ZN12_GLOBAL__N_17runRingI12hip_bfloat1613FuncPreMulSumIS1_E11ProtoSimpleILi1ELi1ELi0ELi1ELi0ELi0EELi0ELi1ELi0EEEviiP15ncclDevWorkColl, .Lfunc_end2-_ZN12_GLOBAL__N_17runRingI12hip_bfloat1613FuncPreMulSumIS1_E11ProtoSimpleILi1ELi1ELi0ELi1ELi0ELi0EELi0ELi1ELi0EEEviiP15ncclDevWorkColl
                                        ; -- End function
	.set .L_ZN12_GLOBAL__N_17runRingI12hip_bfloat1613FuncPreMulSumIS1_E11ProtoSimpleILi1ELi1ELi0ELi1ELi0ELi0EELi0ELi1ELi0EEEviiP15ncclDevWorkColl.num_vgpr, max(120, .L__assert_fail.num_vgpr)
	.set .L_ZN12_GLOBAL__N_17runRingI12hip_bfloat1613FuncPreMulSumIS1_E11ProtoSimpleILi1ELi1ELi0ELi1ELi0ELi0EELi0ELi1ELi0EEEviiP15ncclDevWorkColl.num_agpr, max(0, .L__assert_fail.num_agpr)
	.set .L_ZN12_GLOBAL__N_17runRingI12hip_bfloat1613FuncPreMulSumIS1_E11ProtoSimpleILi1ELi1ELi0ELi1ELi0ELi0EELi0ELi1ELi0EEEviiP15ncclDevWorkColl.numbered_sgpr, max(44, .L__assert_fail.numbered_sgpr)
	.set .L_ZN12_GLOBAL__N_17runRingI12hip_bfloat1613FuncPreMulSumIS1_E11ProtoSimpleILi1ELi1ELi0ELi1ELi0ELi0EELi0ELi1ELi0EEEviiP15ncclDevWorkColl.num_named_barrier, max(0, .L__assert_fail.num_named_barrier)
	.set .L_ZN12_GLOBAL__N_17runRingI12hip_bfloat1613FuncPreMulSumIS1_E11ProtoSimpleILi1ELi1ELi0ELi1ELi0ELi0EELi0ELi1ELi0EEEviiP15ncclDevWorkColl.private_seg_size, 32+max(.L__assert_fail.private_seg_size)
	.set .L_ZN12_GLOBAL__N_17runRingI12hip_bfloat1613FuncPreMulSumIS1_E11ProtoSimpleILi1ELi1ELi0ELi1ELi0ELi0EELi0ELi1ELi0EEEviiP15ncclDevWorkColl.uses_vcc, or(1, .L__assert_fail.uses_vcc)
	.set .L_ZN12_GLOBAL__N_17runRingI12hip_bfloat1613FuncPreMulSumIS1_E11ProtoSimpleILi1ELi1ELi0ELi1ELi0ELi0EELi0ELi1ELi0EEEviiP15ncclDevWorkColl.uses_flat_scratch, or(1, .L__assert_fail.uses_flat_scratch)
	.set .L_ZN12_GLOBAL__N_17runRingI12hip_bfloat1613FuncPreMulSumIS1_E11ProtoSimpleILi1ELi1ELi0ELi1ELi0ELi0EELi0ELi1ELi0EEEviiP15ncclDevWorkColl.has_dyn_sized_stack, or(0, .L__assert_fail.has_dyn_sized_stack)
	.set .L_ZN12_GLOBAL__N_17runRingI12hip_bfloat1613FuncPreMulSumIS1_E11ProtoSimpleILi1ELi1ELi0ELi1ELi0ELi0EELi0ELi1ELi0EEEviiP15ncclDevWorkColl.has_recursion, or(1, .L__assert_fail.has_recursion)
	.set .L_ZN12_GLOBAL__N_17runRingI12hip_bfloat1613FuncPreMulSumIS1_E11ProtoSimpleILi1ELi1ELi0ELi1ELi0ELi0EELi0ELi1ELi0EEEviiP15ncclDevWorkColl.has_indirect_call, or(0, .L__assert_fail.has_indirect_call)
	.section	.AMDGPU.csdata,"",@progbits
; Function info:
; codeLenInByte = 33816
; TotalNumSgprs: 46
; NumVgprs: 120
; ScratchSize: 96
; MemoryBound: 1
	.text
	.p2align	2                               ; -- Begin function _Z51ncclDevFunc_Reduce_RING_SIMPLE_PreMulSum_bf16_0_0_1v
	.type	_Z51ncclDevFunc_Reduce_RING_SIMPLE_PreMulSum_bf16_0_0_1v,@function
_Z51ncclDevFunc_Reduce_RING_SIMPLE_PreMulSum_bf16_0_0_1v: ; @_Z51ncclDevFunc_Reduce_RING_SIMPLE_PreMulSum_bf16_0_0_1v
; %bb.0:
	s_wait_loadcnt_dscnt 0x0
	s_wait_kmcnt 0x0
	s_mov_b32 s59, s33
	s_mov_b32 s33, s32
	s_or_saveexec_b32 s0, -1
	scratch_store_b32 off, v42, s33 offset:12 ; 4-byte Folded Spill
	s_wait_xcnt 0x0
	s_mov_b32 exec_lo, s0
	s_add_co_i32 s32, s32, 32
	s_clause 0x2
	scratch_store_b32 off, v40, s33 offset:8
	; meta instruction
	scratch_store_b32 off, v41, s33 offset:4
	; meta instruction
	scratch_store_b32 off, v45, s33
	v_writelane_b32 v42, s30, 0
	v_writelane_b32 v42, s31, 1
	s_trap 2
	ds_load_b32 v0, v0
	s_wait_xcnt 0x2
	v_mov_b32_e32 v40, v31
	s_mov_b32 s46, s12
	s_mov_b64 s[44:45], s[8:9]
	s_mov_b32 s2, exec_lo
	s_wait_xcnt 0x1
	v_and_b32_e32 v41, 0x3ff, v40
	s_wait_dscnt 0x0
	s_wait_xcnt 0x0
	s_delay_alu instid0(VALU_DEP_1)
	v_cmpx_lt_i32_e64 v41, v0
	s_cbranch_execz .LBB3_5
; %bb.1:
	s_load_b32 s0, s[44:45], 0x0
	s_bfe_u32 s1, ttmp6, 0x4000c
	s_and_b32 s3, ttmp6, 15
	s_add_co_i32 s1, s1, 1
	s_getreg_b32 s4, hwreg(HW_REG_IB_STS2, 6, 4)
	s_mul_i32 s1, ttmp9, s1
	v_mov_b32_e32 v2, v41
	s_add_co_i32 s3, s3, s1
	s_cmp_eq_u32 s4, 0
                                        ; implicit-def: $vgpr3
	s_cselect_b32 s1, ttmp9, s3
	s_mov_b32 s3, 0
	s_wait_kmcnt 0x0
	s_cmp_lt_u32 s1, s0
	s_mov_b32 s1, 0
	s_cselect_b32 s0, 12, 18
	s_delay_alu instid0(SALU_CYCLE_1)
	s_add_nc_u64 s[4:5], s[44:45], s[0:1]
	s_load_u16 s0, s[4:5], 0x0
	s_trap 2
	ds_load_b32 v1, v0
	s_wait_dscnt 0x0
	s_wait_kmcnt 0x0
	v_mul_lo_u32 v1, v1, s0
	s_branch .LBB3_3
.LBB3_2:                                ;   in Loop: Header=BB3_3 Depth=1
	s_or_b32 exec_lo, exec_lo, s4
	v_dual_add_nc_u32 v2, s0, v2 :: v_dual_add_nc_u32 v3, v3, v1
	s_delay_alu instid0(VALU_DEP_1) | instskip(SKIP_1) | instid1(SALU_CYCLE_1)
	v_cmp_ge_i32_e32 vcc_lo, v2, v0
	s_or_b32 s3, vcc_lo, s3
	s_and_not1_b32 exec_lo, exec_lo, s3
	s_cbranch_execz .LBB3_5
.LBB3_3:                                ; =>This Inner Loop Header: Depth=1
	ds_load_b32 v4, v3
	s_mov_b32 s4, exec_lo
	s_wait_dscnt 0x0
	v_and_b32_e32 v4, 0x1000000, v4
	s_delay_alu instid0(VALU_DEP_1)
	v_cmpx_ne_u32_e32 0, v4
	s_cbranch_execz .LBB3_2
; %bb.4:                                ;   in Loop: Header=BB3_3 Depth=1
	ds_load_b64 v[4:5], v3 offset:104
	s_wait_dscnt 0x0
	flat_load_u16 v4, v[4:5]
	s_wait_xcnt 0x0
	v_mov_b32_e32 v5, s1
	s_wait_loadcnt_dscnt 0x0
	v_and_b32_e32 v4, 0xffff, v4
	ds_store_b64 v3, v[4:5] offset:104
	s_branch .LBB3_2
.LBB3_5:
	s_or_b32 exec_lo, exec_lo, s2
	s_wait_storecnt_dscnt 0x0
	s_barrier_signal -1
	s_barrier_wait -1
	s_trap 2
	ds_load_b32 v0, v0
	s_wait_dscnt 0x0
	v_cmp_gt_i32_e32 vcc_lo, 1, v0
	s_cbranch_vccnz .LBB3_13
; %bb.6:
	s_mov_b32 s47, 0
	s_get_pc_i64 s[56:57]
	s_add_nc_u64 s[56:57], s[56:57], _ZN12_GLOBAL__N_17runRingI12hip_bfloat1613FuncPreMulSumIS1_E11ProtoSimpleILi1ELi1ELi0ELi1ELi0ELi0EELi0ELi1ELi0EEEviiP15ncclDevWorkColl@rel64+4
	s_branch .LBB3_8
.LBB3_7:                                ;   in Loop: Header=BB3_8 Depth=1
	s_or_b32 exec_lo, exec_lo, s58
	s_trap 2
	ds_load_b32 v0, v0
	s_add_co_i32 s47, s47, 1
	s_wait_dscnt 0x0
	v_cmp_lt_i32_e32 vcc_lo, s47, v0
	s_cbranch_vccz .LBB3_13
.LBB3_8:                                ; =>This Inner Loop Header: Depth=1
	s_trap 2
	ds_load_b32 v0, v0
	s_cmp_eq_u32 s47, 0
	s_cbranch_scc1 .LBB3_11
; %bb.9:                                ;   in Loop: Header=BB3_8 Depth=1
	s_trap 2
	s_wait_dscnt 0x0
	ds_load_b32 v1, v0
	s_wait_dscnt 0x0
	v_xor_b32_e32 v1, v1, v0
	s_delay_alu instid0(VALU_DEP_1) | instskip(NEXT) | instid1(VALU_DEP_1)
	v_and_b32_e32 v1, 0xff0000, v1
	v_cmp_eq_u32_e32 vcc_lo, 0, v1
	s_cbranch_vccnz .LBB3_11
; %bb.10:                               ;   in Loop: Header=BB3_8 Depth=1
	s_barrier_signal -1
	s_barrier_wait -1
	ds_load_b32 v0, v0
.LBB3_11:                               ;   in Loop: Header=BB3_8 Depth=1
	s_wait_dscnt 0x0
	v_lshrrev_b32_e32 v0, 11, v0
	s_mov_b32 s58, exec_lo
	s_delay_alu instid0(VALU_DEP_1) | instskip(NEXT) | instid1(VALU_DEP_1)
	v_and_b32_e32 v1, 0x1fe0, v0
	v_cmpx_lt_u32_e64 v41, v1
	s_cbranch_execz .LBB3_7
; %bb.12:                               ;   in Loop: Header=BB3_8 Depth=1
	s_mov_b64 s[0:1], src_shared_base
	v_dual_mov_b32 v31, v40 :: v_dual_mov_b32 v0, v41
	v_mov_b32_e32 v3, s1
	s_mov_b64 s[8:9], s[44:45]
	s_mov_b32 s12, s46
	s_swap_pc_i64 s[30:31], s[56:57]
	s_branch .LBB3_7
.LBB3_13:
	s_clause 0x2
	scratch_load_b32 v45, off, s33
	scratch_load_b32 v41, off, s33 offset:4
	scratch_load_b32 v40, off, s33 offset:8
	v_readlane_b32 s30, v42, 0
	v_readlane_b32 s31, v42, 1
	s_mov_b32 s32, s33
	s_wait_xcnt 0x0
	s_or_saveexec_b32 s0, -1
	scratch_load_b32 v42, off, s33 offset:12 ; 4-byte Folded Reload
	s_wait_xcnt 0x0
	s_mov_b32 exec_lo, s0
	s_mov_b32 s33, s59
	s_wait_loadcnt 0x0
	s_set_pc_i64 s[30:31]
.Lfunc_end3:
	.size	_Z51ncclDevFunc_Reduce_RING_SIMPLE_PreMulSum_bf16_0_0_1v, .Lfunc_end3-_Z51ncclDevFunc_Reduce_RING_SIMPLE_PreMulSum_bf16_0_0_1v
                                        ; -- End function
	.set .L_Z51ncclDevFunc_Reduce_RING_SIMPLE_PreMulSum_bf16_0_0_1v.num_vgpr, max(46, .L_ZN12_GLOBAL__N_17runRingI12hip_bfloat1613FuncPreMulSumIS1_E11ProtoSimpleILi1ELi1ELi0ELi1ELi0ELi0EELi0ELi1ELi0EEEviiP15ncclDevWorkColl.num_vgpr)
	.set .L_Z51ncclDevFunc_Reduce_RING_SIMPLE_PreMulSum_bf16_0_0_1v.num_agpr, max(0, .L_ZN12_GLOBAL__N_17runRingI12hip_bfloat1613FuncPreMulSumIS1_E11ProtoSimpleILi1ELi1ELi0ELi1ELi0ELi0EELi0ELi1ELi0EEEviiP15ncclDevWorkColl.num_agpr)
	.set .L_Z51ncclDevFunc_Reduce_RING_SIMPLE_PreMulSum_bf16_0_0_1v.numbered_sgpr, max(60, .L_ZN12_GLOBAL__N_17runRingI12hip_bfloat1613FuncPreMulSumIS1_E11ProtoSimpleILi1ELi1ELi0ELi1ELi0ELi0EELi0ELi1ELi0EEEviiP15ncclDevWorkColl.numbered_sgpr)
	.set .L_Z51ncclDevFunc_Reduce_RING_SIMPLE_PreMulSum_bf16_0_0_1v.num_named_barrier, max(0, .L_ZN12_GLOBAL__N_17runRingI12hip_bfloat1613FuncPreMulSumIS1_E11ProtoSimpleILi1ELi1ELi0ELi1ELi0ELi0EELi0ELi1ELi0EEEviiP15ncclDevWorkColl.num_named_barrier)
	.set .L_Z51ncclDevFunc_Reduce_RING_SIMPLE_PreMulSum_bf16_0_0_1v.private_seg_size, 32+max(.L_ZN12_GLOBAL__N_17runRingI12hip_bfloat1613FuncPreMulSumIS1_E11ProtoSimpleILi1ELi1ELi0ELi1ELi0ELi0EELi0ELi1ELi0EEEviiP15ncclDevWorkColl.private_seg_size)
	.set .L_Z51ncclDevFunc_Reduce_RING_SIMPLE_PreMulSum_bf16_0_0_1v.uses_vcc, or(1, .L_ZN12_GLOBAL__N_17runRingI12hip_bfloat1613FuncPreMulSumIS1_E11ProtoSimpleILi1ELi1ELi0ELi1ELi0ELi0EELi0ELi1ELi0EEEviiP15ncclDevWorkColl.uses_vcc)
	.set .L_Z51ncclDevFunc_Reduce_RING_SIMPLE_PreMulSum_bf16_0_0_1v.uses_flat_scratch, or(1, .L_ZN12_GLOBAL__N_17runRingI12hip_bfloat1613FuncPreMulSumIS1_E11ProtoSimpleILi1ELi1ELi0ELi1ELi0ELi0EELi0ELi1ELi0EEEviiP15ncclDevWorkColl.uses_flat_scratch)
	.set .L_Z51ncclDevFunc_Reduce_RING_SIMPLE_PreMulSum_bf16_0_0_1v.has_dyn_sized_stack, or(0, .L_ZN12_GLOBAL__N_17runRingI12hip_bfloat1613FuncPreMulSumIS1_E11ProtoSimpleILi1ELi1ELi0ELi1ELi0ELi0EELi0ELi1ELi0EEEviiP15ncclDevWorkColl.has_dyn_sized_stack)
	.set .L_Z51ncclDevFunc_Reduce_RING_SIMPLE_PreMulSum_bf16_0_0_1v.has_recursion, or(1, .L_ZN12_GLOBAL__N_17runRingI12hip_bfloat1613FuncPreMulSumIS1_E11ProtoSimpleILi1ELi1ELi0ELi1ELi0ELi0EELi0ELi1ELi0EEEviiP15ncclDevWorkColl.has_recursion)
	.set .L_Z51ncclDevFunc_Reduce_RING_SIMPLE_PreMulSum_bf16_0_0_1v.has_indirect_call, or(0, .L_ZN12_GLOBAL__N_17runRingI12hip_bfloat1613FuncPreMulSumIS1_E11ProtoSimpleILi1ELi1ELi0ELi1ELi0ELi0EELi0ELi1ELi0EEEviiP15ncclDevWorkColl.has_indirect_call)
	.section	.AMDGPU.csdata,"",@progbits
; Function info:
; codeLenInByte = 756
; TotalNumSgprs: 62
; NumVgprs: 120
; ScratchSize: 128
; MemoryBound: 0
	.text
	.p2align	2                               ; -- Begin function _ZN12_GLOBAL__N_17runRingI12hip_bfloat1613FuncPreMulSumIS1_E11ProtoSimpleILi1ELi1ELi0ELi1ELi0ELi0EELi0ELi1ELi1EEEviiP15ncclDevWorkColl
	.type	_ZN12_GLOBAL__N_17runRingI12hip_bfloat1613FuncPreMulSumIS1_E11ProtoSimpleILi1ELi1ELi0ELi1ELi0ELi0EELi0ELi1ELi1EEEviiP15ncclDevWorkColl,@function
_ZN12_GLOBAL__N_17runRingI12hip_bfloat1613FuncPreMulSumIS1_E11ProtoSimpleILi1ELi1ELi0ELi1ELi0ELi0EELi0ELi1ELi1EEEviiP15ncclDevWorkColl: ; @_ZN12_GLOBAL__N_17runRingI12hip_bfloat1613FuncPreMulSumIS1_E11ProtoSimpleILi1ELi1ELi0ELi1ELi0ELi0EELi0ELi1ELi1EEEviiP15ncclDevWorkColl
; %bb.0:
	s_wait_loadcnt_dscnt 0x0
	s_wait_kmcnt 0x0
	s_mov_b32 s56, s33
	s_mov_b32 s33, s32
	s_or_saveexec_b32 s0, -1
	scratch_store_b32 off, v78, s33 offset:160 ; 4-byte Folded Spill
	s_wait_xcnt 0x0
	s_mov_b32 exec_lo, s0
	s_addk_co_i32 s32, 0xb0
	s_clause 0x15
	scratch_store_b32 off, v40, s33 offset:84
	; meta instruction
	scratch_store_b32 off, v41, s33 offset:80
	; meta instruction
	;; [unrolled: 2-line block ×21, first 2 shown]
	scratch_store_b32 off, v77, s33
	v_writelane_b32 v78, s30, 0
	v_writelane_b32 v78, s31, 1
	s_trap 2
	ds_load_b64 v[14:15], v0
	ds_load_b32 v9, v0
	flat_load_b64 v[6:7], v[2:3]
                                        ; implicit-def: $vgpr18_vgpr19
                                        ; implicit-def: $vgpr4_vgpr5
                                        ; implicit-def: $vgpr26_vgpr27
	s_wait_dscnt 0x2
	v_readfirstlane_b32 s0, v14
	v_readfirstlane_b32 s1, v15
	flat_load_u16 v17, v[2:3] offset:8
	flat_load_b32 v24, v15, s[0:1] offset:-4 scale_offset
	s_wait_xcnt 0x0
	s_mov_b32 s0, exec_lo
	s_wait_loadcnt_dscnt 0x202
	v_and_b32_e32 v8, 0xff, v6
	v_mov_b32_e32 v16, v7
	s_delay_alu instid0(VALU_DEP_2)
	v_cmpx_ne_u32_e64 v9, v8
	s_xor_b32 s0, exec_lo, s0
	s_cbranch_execz .LBB4_6
; %bb.1:
	v_bfe_u32 v10, v6, 8, 8
	v_not_b32_e32 v8, v8
	s_mov_b32 s1, exec_lo
                                        ; implicit-def: $vgpr18_vgpr19
                                        ; implicit-def: $vgpr4_vgpr5
                                        ; implicit-def: $vgpr26_vgpr27
	s_delay_alu instid0(VALU_DEP_2)
	v_cmpx_ne_u32_e64 v9, v10
	s_xor_b32 s1, exec_lo, s1
	s_cbranch_execz .LBB4_3
; %bb.2:
	s_clause 0x1
	flat_load_b128 v[4:7], v[2:3] offset:72
	flat_load_b64 v[10:11], v[2:3] offset:96
	v_add_nc_u32_e32 v8, v9, v8
	s_wait_loadcnt_dscnt 0x101
	s_delay_alu instid0(VALU_DEP_1) | instskip(SKIP_3) | instid1(VALU_DEP_3)
	v_mad_nc_u64_u32 v[26:27], v6, v8, v[4:5]
	v_ashrrev_i32_e32 v5, 31, v8
	s_wait_loadcnt_dscnt 0x0
	v_lshrrev_b64 v[18:19], 13, v[10:11]
                                        ; implicit-def: $vgpr10
	v_mad_u32 v4, v7, v8, v27
                                        ; implicit-def: $vgpr8
	s_delay_alu instid0(VALU_DEP_1)
	v_mad_u32 v27, v6, v5, v4
	v_mov_b64_e32 v[4:5], v[6:7]
.LBB4_3:
	s_wait_xcnt 0x0
	s_and_not1_saveexec_b32 s1, s1
	s_cbranch_execz .LBB4_5
; %bb.4:
	s_clause 0x1
	flat_load_b128 v[18:21], v[2:3] offset:72
	flat_load_b128 v[4:7], v[2:3] offset:88
	s_wait_loadcnt_dscnt 0x0
	v_add_nc_u32_e32 v6, v10, v8
	s_delay_alu instid0(VALU_DEP_1) | instskip(SKIP_1) | instid1(VALU_DEP_2)
	v_mad_nc_u64_u32 v[26:27], v20, v6, v[18:19]
	v_lshrrev_b32_e32 v18, 2, v7
	v_mad_u32 v8, v21, v6, v27
	v_ashrrev_i32_e32 v6, 31, v6
	s_delay_alu instid0(VALU_DEP_1)
	v_mad_u32 v27, v20, v6, v8
.LBB4_5:
	s_wait_xcnt 0x0
	s_or_b32 exec_lo, exec_lo, s1
.LBB4_6:
	s_and_not1_saveexec_b32 s0, s0
	s_cbranch_execz .LBB4_8
; %bb.7:
	s_clause 0x1
	flat_load_b64 v[6:7], v[2:3] offset:96
	flat_load_b64 v[4:5], v[2:3] offset:72
	v_mov_b64_e32 v[26:27], 0
	s_wait_loadcnt_dscnt 0x101
	v_lshlrev_b64_e32 v[18:19], 8, v[6:7]
.LBB4_8:
	s_wait_xcnt 0x0
	s_or_b32 exec_lo, exec_lo, s0
	s_trap 2
	ds_load_b64 v[6:7], v0
	s_mov_b32 s1, 0
	s_mov_b32 s2, exec_lo
	s_wait_dscnt 0x0
	v_cmp_ne_u32_e32 vcc_lo, -1, v6
	v_cndmask_b32_e64 v19, 0, 1, vcc_lo
	v_cmp_ne_u32_e32 vcc_lo, -1, v7
	s_delay_alu instid0(VALU_DEP_2) | instskip(NEXT) | instid1(VALU_DEP_1)
	v_add_co_ci_u32_e64 v6, null, 0, v19, vcc_lo
	v_lshlrev_b32_e32 v7, 1, v6
	s_delay_alu instid0(VALU_DEP_1)
	v_cmpx_le_u32_e64 v7, v1
	s_xor_b32 s16, exec_lo, s2
	s_cbranch_execz .LBB4_2072
; %bb.9:
	s_clause 0x1
	flat_load_b128 v[10:13], v[2:3] offset:16
	flat_load_b64 v[20:21], v[2:3] offset:104
	s_trap 2
	s_load_b32 s0, s[8:9], 0x0
	s_bfe_u32 s2, ttmp6, 0x4000c
	s_and_b32 s3, ttmp6, 15
	s_add_co_i32 s2, s2, 1
	s_getreg_b32 s4, hwreg(HW_REG_IB_STS2, 6, 4)
	s_mul_i32 s2, ttmp9, s2
	v_dual_mov_b32 v2, 0 :: v_dual_mov_b32 v30, 4
	s_add_co_i32 s3, s3, s2
	s_cmp_eq_u32 s4, 0
	s_cselect_b32 s2, ttmp9, s3
	s_wait_kmcnt 0x0
	s_cmp_lt_u32 s2, s0
	s_mov_b32 s2, exec_lo
	s_cselect_b32 s0, 12, 18
	s_delay_alu instid0(SALU_CYCLE_1)
	s_add_nc_u64 s[0:1], s[8:9], s[0:1]
	global_load_u16 v15, v2, s[0:1]
	s_wait_xcnt 0x0
	ds_load_b32 v2, v0
	s_wait_dscnt 0x0
	v_readfirstlane_b32 s1, v2
	v_cmpx_ge_u32_e64 v0, v19
	s_cbranch_execz .LBB4_19
; %bb.10:
	v_cmp_ge_u32_e64 s0, v0, v6
                                        ; implicit-def: $vgpr30
	s_and_saveexec_b32 s3, s0
	s_delay_alu instid0(SALU_CYCLE_1)
	s_xor_b32 s0, exec_lo, s3
	s_cbranch_execz .LBB4_16
; %bb.11:
	v_cndmask_b32_e64 v2, 0, 1, vcc_lo
	s_mov_b32 s3, exec_lo
	s_delay_alu instid0(VALU_DEP_1) | instskip(NEXT) | instid1(VALU_DEP_1)
	v_sub_nc_u32_e32 v2, v1, v2
	v_cmpx_ge_u32_e64 v0, v2
	s_xor_b32 s3, exec_lo, s3
; %bb.12:
                                        ; implicit-def: $vgpr6
; %bb.13:
	s_delay_alu instid0(SALU_CYCLE_1)
	s_or_saveexec_b32 s3, s3
	v_mov_b32_e32 v30, 16
	s_xor_b32 exec_lo, exec_lo, s3
; %bb.14:
	v_sub_nc_u32_e32 v2, v1, v6
	s_delay_alu instid0(VALU_DEP_1)
	v_cmp_lt_i32_e32 vcc_lo, v0, v2
	v_cndmask_b32_e64 v30, 32, 0, vcc_lo
; %bb.15:
	s_or_b32 exec_lo, exec_lo, s3
.LBB4_16:
	s_and_not1_saveexec_b32 s0, s0
; %bb.17:
	v_mov_b32_e32 v30, 8
; %bb.18:
	s_or_b32 exec_lo, exec_lo, s0
.LBB4_19:
	s_delay_alu instid0(SALU_CYCLE_1) | instskip(NEXT) | instid1(VALU_DEP_1)
	s_or_b32 exec_lo, exec_lo, s2
	v_dual_mov_b32 v25, -1 :: v_dual_bitop2_b32 v2, 36, v30 bitop3:0x40
	s_delay_alu instid0(VALU_DEP_1)
	v_cmp_ne_u32_e32 vcc_lo, 0, v2
	s_and_saveexec_b32 s0, vcc_lo
	s_cbranch_execz .LBB4_21
; %bb.20:
	s_trap 2
	ds_load_b32 v25, v0
.LBB4_21:
	s_or_b32 exec_lo, exec_lo, s0
	v_and_b32_e32 v2, 24, v30
	s_mov_b32 s2, exec_lo
	s_delay_alu instid0(VALU_DEP_1)
	v_cmpx_ne_u32_e32 0, v2
	s_cbranch_execz .LBB4_23
; %bb.22:
	s_trap 2
	s_wait_dscnt 0x0
	ds_load_b32 v25, v0
.LBB4_23:
	s_or_b32 exec_lo, exec_lo, s2
	s_wait_loadcnt 0x4
	v_lshrrev_b64 v[2:3], 31, v[16:17]
	v_mov_b64_e32 v[28:29], 0
	v_mov_b64_e32 v[6:7], 0
                                        ; implicit-def: $vgpr34
                                        ; implicit-def: $vgpr38_vgpr39
                                        ; implicit-def: $vgpr36_vgpr37
                                        ; implicit-def: $vgpr32_vgpr33
	s_delay_alu instid0(VALU_DEP_3)
	v_and_b32_e32 v17, 3, v2
                                        ; implicit-def: $vgpr2_vgpr3
	s_and_saveexec_b32 s0, vcc_lo
	s_cbranch_execz .LBB4_33
; %bb.24:
	s_trap 2
	ds_load_b64 v[2:3], v0
	v_and_b32_e32 v6, 0xffff, v17
	s_wait_dscnt 0x0
	v_readfirstlane_b32 s2, v2
	v_readfirstlane_b32 s3, v3
	flat_load_b64 v[2:3], v25, s[2:3] scale_offset
	s_wait_loadcnt_dscnt 0x0
	v_mad_nc_u64_u32 v[22:23], 0xa8, v6, v[2:3]
	flat_load_b32 v2, v[22:23] offset:640
	s_wait_loadcnt_dscnt 0x0
	v_cmp_eq_u32_e32 vcc_lo, 1, v2
                                        ; implicit-def: $vgpr2_vgpr3
	s_wait_xcnt 0x0
	s_and_saveexec_b32 s2, vcc_lo
	s_cbranch_execz .LBB4_26
; %bb.25:
	flat_load_b64 v[2:3], v[22:23] offset:648
	v_or_b32_e32 v30, 0x2000, v30
	s_wait_loadcnt_dscnt 0x0
	flat_load_b64 v[6:7], v[2:3]
	s_trap 2
	s_wait_loadcnt_dscnt 0x0
	ds_store_b64 v0, v[6:7]
	flat_load_b64 v[6:7], v[2:3] offset:8
	s_wait_loadcnt_dscnt 0x0
	ds_store_b64 v0, v[6:7]
	flat_load_b64 v[6:7], v[2:3] offset:16
	s_wait_loadcnt_dscnt 0x0
	ds_store_b64 v0, v[6:7]
.LBB4_26:
	s_wait_xcnt 0x0
	s_or_b32 exec_lo, exec_lo, s2
	flat_load_b64 v[8:9], v[22:23] offset:608
	v_and_b32_e32 v6, 32, v30
	s_mov_b32 s2, exec_lo
                                        ; implicit-def: $vgpr32_vgpr33
	s_wait_xcnt 0x0
	s_delay_alu instid0(VALU_DEP_1)
	v_cmpx_ne_u32_e32 0, v6
	s_cbranch_execz .LBB4_28
; %bb.27:
	flat_load_b64 v[32:33], v[22:23] offset:560
	global_wb scope:SCOPE_SYS
	s_wait_storecnt 0x0
	s_wait_xcnt 0x0
	s_wait_loadcnt_dscnt 0x0
	flat_store_b64 v[32:33], v[8:9] scope:SCOPE_SYS
.LBB4_28:
	s_wait_xcnt 0x0
	s_or_b32 exec_lo, exec_lo, s2
	v_and_b32_e32 v34, 4, v30
	v_add_nc_u64_e32 v[28:29], 0x1f8, v[22:23]
	v_mov_b64_e32 v[6:7], 0
                                        ; implicit-def: $vgpr38_vgpr39
                                        ; implicit-def: $vgpr36_vgpr37
	s_delay_alu instid0(VALU_DEP_3)
	v_cmp_ne_u32_e32 vcc_lo, 0, v34
                                        ; implicit-def: $vgpr34
	s_and_saveexec_b32 s2, vcc_lo
	s_cbranch_execz .LBB4_32
; %bb.29:
	v_and_b32_e32 v6, 0x800, v30
	s_mov_b32 s3, exec_lo
	s_delay_alu instid0(VALU_DEP_1)
	v_cmpx_eq_u32_e32 0, v6
	s_cbranch_execz .LBB4_31
; %bb.30:
	s_trap 2
	ds_store_b64 v0, v[28:29]
.LBB4_31:
	s_or_b32 exec_lo, exec_lo, s3
	flat_load_b64 v[32:33], v[22:23] offset:552
	s_wait_loadcnt_dscnt 0x0
	flat_load_b64 v[38:39], v[32:33] scope:SCOPE_SYS
	s_clause 0x2
	flat_load_b32 v34, v[22:23] offset:576
	flat_load_b64 v[6:7], v[22:23] offset:600
	flat_load_b64 v[36:37], v[22:23] offset:520
	s_wait_xcnt 0x0
	v_or_b32_e32 v22, 0x100, v30
	s_wait_loadcnt_dscnt 0x202
	v_ashrrev_i32_e32 v34, 1, v34
	s_wait_loadcnt_dscnt 0x101
	v_cmp_eq_u64_e32 vcc_lo, 0, v[6:7]
	v_cndmask_b32_e32 v30, v22, v30, vcc_lo
.LBB4_32:
	s_or_b32 exec_lo, exec_lo, s2
.LBB4_33:
	s_delay_alu instid0(SALU_CYCLE_1) | instskip(NEXT) | instid1(VALU_DEP_1)
	s_or_b32 exec_lo, exec_lo, s0
	v_and_b32_e32 v22, 24, v30
	s_mov_b32 s0, exec_lo
                                        ; implicit-def: $vgpr52_vgpr53
	s_delay_alu instid0(VALU_DEP_1)
	v_cmpx_ne_u32_e32 0, v22
	s_cbranch_execz .LBB4_41
; %bb.34:
	s_trap 2
	ds_load_b64 v[6:7], v0
	s_wait_loadcnt_dscnt 0x1
	v_and_b32_e32 v8, 0xffff, v17
	v_or_b32_e32 v17, 0x100, v30
                                        ; implicit-def: $vgpr52_vgpr53
	s_wait_dscnt 0x0
	v_readfirstlane_b32 s2, v6
	v_readfirstlane_b32 s3, v7
	flat_load_b64 v[6:7], v25, s[2:3] scale_offset
	s_wait_xcnt 0x0
	s_mov_b32 s2, exec_lo
	s_wait_loadcnt_dscnt 0x0
	v_mad_nc_u64_u32 v[28:29], 0xa8, v8, v[6:7]
	flat_load_b128 v[6:9], v[28:29] offset:96
	s_wait_loadcnt_dscnt 0x0
	v_cmp_eq_u64_e32 vcc_lo, 0, v[6:7]
	v_cndmask_b32_e32 v30, v17, v30, vcc_lo
	s_delay_alu instid0(VALU_DEP_1) | instskip(SKIP_1) | instid1(VALU_DEP_1)
	v_and_b32_e32 v17, 16, v30
	s_wait_xcnt 0x0
	v_cmpx_ne_u32_e32 0, v17
	s_cbranch_execz .LBB4_36
; %bb.35:
	s_clause 0x2
	flat_load_b64 v[32:33], v[28:29] offset:48
	flat_load_b64 v[52:53], v[28:29] offset:120
	flat_load_b64 v[36:37], v[28:29] offset:16
.LBB4_36:
	s_wait_xcnt 0x0
	s_or_b32 exec_lo, exec_lo, s2
	v_and_b32_e32 v17, 8, v30
	s_mov_b32 s2, exec_lo
	s_delay_alu instid0(VALU_DEP_1)
	v_cmpx_ne_u32_e32 0, v17
	s_cbranch_execz .LBB4_40
; %bb.37:
	v_and_b32_e32 v17, 0x800, v30
	s_mov_b32 s3, exec_lo
	s_delay_alu instid0(VALU_DEP_1)
	v_cmpx_eq_u32_e32 0, v17
	s_cbranch_execz .LBB4_39
; %bb.38:
	s_trap 2
	ds_store_b64 v0, v[28:29]
.LBB4_39:
	s_or_b32 exec_lo, exec_lo, s3
	s_wait_loadcnt_dscnt 0x202
	flat_load_b64 v[32:33], v[28:29] offset:56
	s_wait_loadcnt_dscnt 0x0
	flat_load_b64 v[38:39], v[32:33] scope:SCOPE_SYS
	s_clause 0x1
	flat_load_b32 v17, v[28:29] offset:72
	flat_load_b64 v[36:37], v[28:29] offset:16
	s_wait_loadcnt_dscnt 0x101
	v_ashrrev_i32_e32 v34, 1, v17
.LBB4_40:
	s_wait_xcnt 0x0
	s_or_b32 exec_lo, exec_lo, s2
.LBB4_41:
	s_delay_alu instid0(SALU_CYCLE_1)
	s_or_b32 exec_lo, exec_lo, s0
	v_cmp_eq_u32_e64 s0, 0, v0
	s_and_saveexec_b32 s2, s0
	s_cbranch_execz .LBB4_43
; %bb.42:
	v_mov_b64_e32 v[22:23], 0
	s_wait_loadcnt 0x2
	ds_store_2addr_b64 v0, v[12:13], v[10:11] offset1:1
	s_trap 2
	ds_store_b64 v0, v[22:23]
	s_wait_loadcnt 0x1
	ds_store_b64 v0, v[20:21]
.LBB4_43:
	s_or_b32 exec_lo, exec_lo, s2
	s_ashr_i32 s2, s1, 31
	v_and_b32_e32 v50, 0x1fffff00, v18
	s_lshr_b32 s2, s2, 29
	s_wait_loadcnt 0x2
	v_bfe_u32 v10, v16, 1, 30
	v_mov_b32_e32 v51, 0
	s_wait_loadcnt 0x0
	v_and_b32_e32 v42, 0xffff, v15
	s_add_co_i32 s1, s1, s2
                                        ; implicit-def: $vgpr48_vgpr49
	s_delay_alu instid0(SALU_CYCLE_1)
	s_ashr_i32 s17, s1, 4
	s_mov_b32 s1, exec_lo
	v_cmpx_ne_u32_e64 v24, v10
	s_xor_b32 s18, exec_lo, s1
	s_cbranch_execz .LBB4_1485
; %bb.44:
                                        ; implicit-def: $vgpr48_vgpr49
	s_mov_b32 s1, exec_lo
	v_cmpx_ne_u32_e64 v14, v10
	s_xor_b32 s19, exec_lo, s1
	s_cbranch_execz .LBB4_770
; %bb.45:
	v_mov_b64_e32 v[48:49], 0
	s_mov_b32 s20, exec_lo
	v_cmpx_ne_u64_e32 0, v[4:5]
	s_cbranch_execz .LBB4_769
; %bb.46:
	v_dual_mov_b32 v15, 0 :: v_dual_lshrrev_b32 v16, 5, v1
	v_dual_ashrrev_i32 v35, 31, v34 :: v_dual_bitop2_b32 v112, 31, v0 bitop3:0x40
	s_delay_alu instid0(VALU_DEP_2) | instskip(NEXT) | instid1(VALU_DEP_3)
	v_dual_mov_b32 v17, v15 :: v_dual_bitop2_b32 v10, 31, v31 bitop3:0x40
	v_dual_lshlrev_b32 v113, 9, v16 :: v_dual_lshlrev_b32 v114, 6, v16
	v_lshl_add_u32 v20, v16, 8, 0xffffff00
	s_delay_alu instid0(VALU_DEP_4)
	v_cmp_le_u32_e64 s5, v112, v19
	v_cmp_lt_u32_e64 s6, v112, v19
	s_wait_dscnt 0x0
	v_dual_mov_b32 v25, v15 :: v_dual_add_nc_u32 v18, 0xfffffe00, v113
	v_subrev_nc_u32_e32 v22, 64, v114
	s_lshr_b32 s2, s17, 27
	s_delay_alu instid0(VALU_DEP_2) | instskip(SKIP_1) | instid1(VALU_DEP_2)
	v_dual_ashrrev_i32 v21, 31, v20 :: v_dual_ashrrev_i32 v19, 31, v18
	s_add_co_i32 s2, s17, s2
	v_dual_mov_b32 v116, 1 :: v_dual_ashrrev_i32 v23, 31, v22
	v_cmp_eq_u32_e32 vcc_lo, 32, v1
	s_delay_alu instid0(VALU_DEP_3) | instskip(SKIP_1) | instid1(VALU_DEP_4)
	v_add_nc_u64_e32 v[54:55], 0x200, v[18:19]
	v_add_nc_u64_e32 v[64:65], 0x100, v[20:21]
	;; [unrolled: 1-line block ×3, first 2 shown]
	v_mov_b64_e32 v[68:69], 0
	v_cmp_eq_u64_e64 s7, 0, v[52:53]
	v_mov_b64_e32 v[70:71], 0
	v_mov_b64_e32 v[48:49], 0
	v_cmp_ge_u32_e64 s1, v0, v1
	s_ashr_i32 s21, s2, 5
	v_cmp_ne_u32_e64 s2, 32, v1
	v_cmp_ne_u32_e64 s3, v1, v42
	v_cmp_eq_u32_e64 s4, 0, v10
	v_dual_lshrrev_b32 v115, 5, v0 :: v_dual_lshlrev_b32 v24, 4, v0
	v_mov_b32_e32 v117, 0x90
	s_mov_b32 s22, 0
	s_add_co_i32 s23, s33, 0x90
	s_add_co_i32 s24, s33, 0x70
	;; [unrolled: 1-line block ×4, first 2 shown]
	s_xor_b32 s27, vcc_lo, -1
	s_trap 2
	s_branch .LBB4_49
.LBB4_47:                               ;   in Loop: Header=BB4_49 Depth=1
	s_wait_xcnt 0x0
	s_or_b32 exec_lo, exec_lo, s10
.LBB4_48:                               ;   in Loop: Header=BB4_49 Depth=1
	s_delay_alu instid0(SALU_CYCLE_1) | instskip(SKIP_1) | instid1(VALU_DEP_1)
	s_or_b32 exec_lo, exec_lo, s11
	v_add_nc_u64_e32 v[70:71], v[70:71], v[50:51]
	v_cmp_ge_u64_e32 vcc_lo, v[70:71], v[4:5]
	s_or_b32 s22, vcc_lo, s22
	s_delay_alu instid0(SALU_CYCLE_1)
	s_and_not1_b32 exec_lo, exec_lo, s22
	s_cbranch_execz .LBB4_768
.LBB4_49:                               ; =>This Loop Header: Depth=1
                                        ;     Child Loop BB4_58 Depth 2
                                        ;     Child Loop BB4_86 Depth 2
	;; [unrolled: 1-line block ×4, first 2 shown]
                                        ;       Child Loop BB4_131 Depth 3
                                        ;       Child Loop BB4_200 Depth 3
                                        ;     Child Loop BB4_339 Depth 2
                                        ;       Child Loop BB4_340 Depth 3
                                        ;       Child Loop BB4_409 Depth 3
                                        ;     Child Loop BB4_550 Depth 2
                                        ;     Child Loop BB4_657 Depth 2
                                        ;       Child Loop BB4_658 Depth 3
                                        ;       Child Loop BB4_671 Depth 3
                                        ;     Child Loop BB4_698 Depth 2
                                        ;     Child Loop BB4_723 Depth 2
	;; [unrolled: 1-line block ×3, first 2 shown]
	v_sub_nc_u64_e32 v[10:11], v[4:5], v[70:71]
	s_delay_alu instid0(VALU_DEP_1) | instskip(NEXT) | instid1(VALU_DEP_1)
	v_min_u64 v[80:81], v[50:51], v[10:11]
	v_add_nc_u32_e32 v10, 15, v80
	s_delay_alu instid0(VALU_DEP_2) | instskip(NEXT) | instid1(VALU_DEP_2)
	v_cmp_eq_u64_e32 vcc_lo, 0, v[80:81]
	v_and_b32_e32 v10, 0x3ffffff0, v10
	s_or_b32 s28, s1, vcc_lo
	s_delay_alu instid0(SALU_CYCLE_1) | instskip(NEXT) | instid1(VALU_DEP_1)
	s_xor_b32 s10, s28, -1
	v_dual_mov_b32 v10, 0 :: v_dual_max_i32 v81, s21, v10
	s_and_saveexec_b32 s29, s10
	s_cbranch_execz .LBB4_716
; %bb.50:                               ;   in Loop: Header=BB4_49 Depth=1
	s_and_saveexec_b32 s10, s0
	s_cbranch_execz .LBB4_52
; %bb.51:                               ;   in Loop: Header=BB4_49 Depth=1
	s_trap 2
	ds_load_b64 v[10:11], v0
	s_wait_dscnt 0x0
	v_lshl_add_u64 v[10:11], v[26:27], 1, v[10:11]
	s_delay_alu instid0(VALU_DEP_1)
	v_lshl_add_u64 v[10:11], v[70:71], 1, v[10:11]
	ds_store_b64 v0, v[10:11]
	ds_store_b64 v0, v[68:69]
.LBB4_52:                               ;   in Loop: Header=BB4_49 Depth=1
	s_or_b32 exec_lo, exec_lo, s10
	v_and_b32_e32 v10, 12, v30
	v_min_u32_e32 v81, v81, v80
	s_mov_b32 s11, exec_lo
	s_delay_alu instid0(VALU_DEP_2)
	v_cmpx_ne_u32_e32 0, v10
	s_cbranch_execz .LBB4_78
; %bb.53:                               ;   in Loop: Header=BB4_49 Depth=1
	v_and_b32_e32 v14, 8, v30
	v_add_nc_u64_e32 v[10:11], 1, v[8:9]
	s_mov_b32 s12, exec_lo
	s_wait_loadcnt 0x0
	s_delay_alu instid0(VALU_DEP_2) | instskip(NEXT) | instid1(VALU_DEP_1)
	v_add_nc_u64_e32 v[12:13], v[38:39], v[14:15]
	v_cmpx_lt_u64_e64 v[12:13], v[10:11]
	s_cbranch_execz .LBB4_65
; %bb.54:                               ;   in Loop: Header=BB4_49 Depth=1
	v_and_b32_e32 v9, 64, v30
	s_mov_b32 s13, 0
	s_mov_b32 s41, 0
                                        ; implicit-def: $sgpr14
                                        ; implicit-def: $sgpr15
                                        ; implicit-def: $sgpr40
	s_delay_alu instid0(VALU_DEP_1)
	v_cmp_eq_u32_e32 vcc_lo, 0, v9
	s_branch .LBB4_58
.LBB4_55:                               ;   in Loop: Header=BB4_58 Depth=2
	s_wait_loadcnt_dscnt 0x0
	v_add_nc_u64_e32 v[12:13], v[38:39], v[14:15]
	s_or_b32 s44, s44, exec_lo
	s_delay_alu instid0(VALU_DEP_1)
	v_cmp_ge_u64_e64 s10, v[12:13], v[10:11]
	s_or_not1_b32 s43, s10, exec_lo
.LBB4_56:                               ;   in Loop: Header=BB4_58 Depth=2
	s_or_b32 exec_lo, exec_lo, s46
	s_delay_alu instid0(SALU_CYCLE_1)
	s_and_not1_b32 s10, s40, exec_lo
	s_and_b32 s40, s44, exec_lo
	s_and_not1_b32 s15, s15, exec_lo
	s_and_b32 s43, s43, exec_lo
	s_or_b32 s40, s10, s40
	s_or_b32 s15, s15, s43
.LBB4_57:                               ;   in Loop: Header=BB4_58 Depth=2
	s_or_b32 exec_lo, exec_lo, s42
	s_delay_alu instid0(SALU_CYCLE_1) | instskip(NEXT) | instid1(SALU_CYCLE_1)
	s_and_b32 s10, exec_lo, s15
	s_or_b32 s13, s10, s13
	s_and_not1_b32 s10, s14, exec_lo
	s_and_b32 s14, s40, exec_lo
	s_delay_alu instid0(SALU_CYCLE_1)
	s_or_b32 s14, s10, s14
	s_and_not1_b32 exec_lo, exec_lo, s13
	s_cbranch_execz .LBB4_62
.LBB4_58:                               ;   Parent Loop BB4_49 Depth=1
                                        ; =>  This Inner Loop Header: Depth=2
	s_sleep 1
	s_wait_loadcnt_dscnt 0x0
	flat_load_b64 v[38:39], v[32:33] scope:SCOPE_SYS
	s_or_b32 s40, s40, exec_lo
	s_or_b32 s15, s15, exec_lo
                                        ; implicit-def: $vgpr9
	s_wait_xcnt 0x0
	s_and_saveexec_b32 s42, vcc_lo
	s_cbranch_execz .LBB4_57
; %bb.59:                               ;   in Loop: Header=BB4_58 Depth=2
	s_cmp_lt_i32 s41, 0x270f
	s_mov_b32 s43, -1
	s_cselect_b32 s45, -1, 0
	s_cmp_gt_i32 s41, 0x270e
	s_cbranch_scc0 .LBB4_61
; %bb.60:                               ;   in Loop: Header=BB4_58 Depth=2
	s_trap 2
	ds_load_b64 v[12:13], v0
	s_and_not1_b32 s41, s45, exec_lo
	s_mov_b32 s44, 0
	s_wait_storecnt 0x0
	s_wait_loadcnt_dscnt 0x0
	flat_load_b32 v9, v[12:13] scope:SCOPE_SYS
	s_wait_loadcnt_dscnt 0x0
	global_inv scope:SCOPE_SYS
	v_cmp_eq_u32_e64 s10, 0, v9
	s_and_b32 s10, s10, exec_lo
	s_delay_alu instid0(SALU_CYCLE_1)
	s_or_b32 s45, s41, s10
	s_mov_b32 s41, 0
	s_and_saveexec_b32 s46, s45
	s_cbranch_execz .LBB4_56
	s_branch .LBB4_55
.LBB4_61:                               ;   in Loop: Header=BB4_58 Depth=2
	s_add_co_i32 s41, s41, 1
	s_mov_b32 s44, -1
                                        ; implicit-def: $vgpr9
	s_and_saveexec_b32 s46, s45
	s_cbranch_execz .LBB4_56
	s_branch .LBB4_55
.LBB4_62:                               ;   in Loop: Header=BB4_49 Depth=1
	s_or_b32 exec_lo, exec_lo, s13
	s_xor_b32 s10, s14, -1
	s_delay_alu instid0(SALU_CYCLE_1) | instskip(NEXT) | instid1(SALU_CYCLE_1)
	s_and_saveexec_b32 s13, s10
	s_xor_b32 s10, exec_lo, s13
	s_cbranch_execz .LBB4_64
; %bb.63:                               ;   in Loop: Header=BB4_49 Depth=1
	v_or_b32_e32 v30, 64, v30
	s_wait_storecnt 0x0
	s_wait_loadcnt_dscnt 0x0
	ds_store_b32 v0, v9
	s_trap 2
.LBB4_64:                               ;   in Loop: Header=BB4_49 Depth=1
	s_or_b32 exec_lo, exec_lo, s10
.LBB4_65:                               ;   in Loop: Header=BB4_49 Depth=1
	s_delay_alu instid0(SALU_CYCLE_1) | instskip(SKIP_3) | instid1(VALU_DEP_1)
	s_or_b32 exec_lo, exec_lo, s12
	v_and_b32_e32 v9, 0x108, v30
	s_mov_b32 s10, exec_lo
	;;#ASMSTART
	s_wakeup
	;;#ASMEND
                                        ; implicit-def: $vgpr12_vgpr13
	v_cmpx_ne_u32_e32 0x108, v9
	s_xor_b32 s10, exec_lo, s10
; %bb.66:                               ;   in Loop: Header=BB4_49 Depth=1
	v_dual_mov_b32 v13, v15 :: v_dual_bitop2_b32 v12, 7, v8 bitop3:0x40
; %bb.67:                               ;   in Loop: Header=BB4_49 Depth=1
	s_and_not1_saveexec_b32 s10, s10
	s_cbranch_execz .LBB4_69
; %bb.68:                               ;   in Loop: Header=BB4_49 Depth=1
	v_dual_lshlrev_b32 v82, 1, v81 :: v_dual_bitop2_b32 v12, 7, v8 bitop3:0x40
	v_dual_mov_b32 v83, v15 :: v_dual_mov_b32 v13, v15
	s_delay_alu instid0(VALU_DEP_2)
	v_mad_nc_u64_u32 v[8:9], v12, 24, v[6:7]
	flat_store_b64 v[8:9], v[82:83] offset:8
.LBB4_69:                               ;   in Loop: Header=BB4_49 Depth=1
	s_wait_xcnt 0x0
	s_or_b32 exec_lo, exec_lo, s10
	v_and_b32_e32 v8, 0x100, v30
	s_mov_b32 s10, -1
	s_delay_alu instid0(VALU_DEP_1)
	v_cmp_ne_u32_e32 vcc_lo, 0, v8
                                        ; implicit-def: $vgpr8_vgpr9
	s_and_saveexec_b32 s12, vcc_lo
	s_cbranch_execz .LBB4_73
; %bb.70:                               ;   in Loop: Header=BB4_49 Depth=1
	v_mad_nc_u64_u32 v[82:83], v12, 24, v[6:7]
	s_delay_alu instid0(VALU_DEP_1)
	v_mad_u32 v83, v13, 24, v83
	flat_load_b32 v8, v[82:83]
	s_wait_loadcnt_dscnt 0x0
	v_cmp_eq_u32_e64 s10, 1, v8
	v_cmp_ne_u32_e32 vcc_lo, 1, v8
                                        ; implicit-def: $vgpr8_vgpr9
	s_wait_xcnt 0x0
	s_and_saveexec_b32 s13, s10
	s_cbranch_execz .LBB4_72
; %bb.71:                               ;   in Loop: Header=BB4_49 Depth=1
	flat_load_b32 v8, v[82:83] offset:4 scope:SCOPE_SYS
	s_wait_loadcnt_dscnt 0x0
	v_ashrrev_i32_e32 v9, 31, v8
	s_delay_alu instid0(VALU_DEP_1)
	v_lshrrev_b64 v[8:9], 1, v[8:9]
.LBB4_72:                               ;   in Loop: Header=BB4_49 Depth=1
	s_wait_xcnt 0x0
	s_or_b32 exec_lo, exec_lo, s13
	s_delay_alu instid0(SALU_CYCLE_1)
	s_or_not1_b32 s10, vcc_lo, exec_lo
.LBB4_73:                               ;   in Loop: Header=BB4_49 Depth=1
	s_or_b32 exec_lo, exec_lo, s12
	s_and_saveexec_b32 s12, s10
; %bb.74:                               ;   in Loop: Header=BB4_49 Depth=1
	v_mul_u64_e32 v[8:9], v[12:13], v[34:35]
; %bb.75:                               ;   in Loop: Header=BB4_49 Depth=1
	s_or_b32 exec_lo, exec_lo, s12
	v_cmp_eq_u32_e32 vcc_lo, 0, v14
	v_and_b32_e32 v13, 0x2000, v30
	s_delay_alu instid0(VALU_DEP_3) | instskip(SKIP_2) | instid1(VALU_DEP_1)
	v_lshl_add_u64 v[8:9], v[8:9], 1, v[36:37]
	s_mov_b32 s10, exec_lo
	v_cndmask_b32_e32 v12, 0xc8, v117, vcc_lo
	v_add_nc_u32_e32 v12, v0, v12
	ds_store_b64 v12, v[8:9] offset:584
	v_cmpx_ne_u32_e32 0, v13
	s_cbranch_execz .LBB4_77
; %bb.76:                               ;   in Loop: Header=BB4_49 Depth=1
	ds_load_b64 v[8:9], v0 offset:872
	s_wait_dscnt 0x0
	v_add_nc_u64_e32 v[8:9], 1, v[8:9]
	ds_store_b64 v0, v[8:9] offset:872
.LBB4_77:                               ;   in Loop: Header=BB4_49 Depth=1
	s_or_b32 exec_lo, exec_lo, s10
	v_mov_b64_e32 v[8:9], v[10:11]
.LBB4_78:                               ;   in Loop: Header=BB4_49 Depth=1
	s_or_b32 exec_lo, exec_lo, s11
	s_and_saveexec_b32 s10, s2
	s_cbranch_execz .LBB4_97
; %bb.79:                               ;   in Loop: Header=BB4_49 Depth=1
	s_and_saveexec_b32 s11, s3
	s_delay_alu instid0(SALU_CYCLE_1)
	s_xor_b32 s11, exec_lo, s11
	s_cbranch_execz .LBB4_94
; %bb.80:                               ;   in Loop: Header=BB4_49 Depth=1
	s_and_saveexec_b32 s12, s4
	s_cbranch_execz .LBB4_93
; %bb.81:                               ;   in Loop: Header=BB4_49 Depth=1
	s_mov_b32 s14, exec_lo
	s_mov_b32 s13, exec_lo
	v_mbcnt_lo_u32_b32 v10, s14, 0
	global_wb scope:SCOPE_DEV
	s_wait_storecnt 0x0
	s_wait_loadcnt_dscnt 0x0
	global_inv scope:SCOPE_DEV
	v_cmpx_eq_u32_e32 0, v10
	s_cbranch_execz .LBB4_83
; %bb.82:                               ;   in Loop: Header=BB4_49 Depth=1
	s_bcnt1_i32_b32 s14, s14
	s_delay_alu instid0(SALU_CYCLE_1)
	v_mov_b32_e32 v14, s14
	s_wait_loadcnt 0x0
	ds_add_u64 v0, v[14:15]
	s_trap 2
.LBB4_83:                               ;   in Loop: Header=BB4_49 Depth=1
	s_or_b32 exec_lo, exec_lo, s13
	s_trap 2
	ds_load_b64 v[10:11], v0
	s_wait_dscnt 0x0
	v_add_nc_u64_e32 v[48:49], v[48:49], v[16:17]
	s_mov_b32 s13, exec_lo
	s_delay_alu instid0(VALU_DEP_1)
	v_cmpx_lt_u64_e64 v[10:11], v[48:49]
	s_cbranch_execz .LBB4_92
; %bb.84:                               ;   in Loop: Header=BB4_49 Depth=1
	s_mov_b32 s14, 0
	s_mov_b32 s41, 0
                                        ; implicit-def: $sgpr15
                                        ; implicit-def: $sgpr40
	s_branch .LBB4_86
.LBB4_85:                               ;   in Loop: Header=BB4_86 Depth=2
	s_or_b32 exec_lo, exec_lo, s43
	s_delay_alu instid0(SALU_CYCLE_1) | instskip(NEXT) | instid1(SALU_CYCLE_1)
	s_and_b32 s42, exec_lo, s44
	s_or_b32 s14, s42, s14
	s_and_not1_b32 s15, s15, exec_lo
	s_and_b32 s42, s40, exec_lo
	s_delay_alu instid0(SALU_CYCLE_1)
	s_or_b32 s15, s15, s42
	s_and_not1_b32 exec_lo, exec_lo, s14
	s_cbranch_execz .LBB4_90
.LBB4_86:                               ;   Parent Loop BB4_49 Depth=1
                                        ; =>  This Inner Loop Header: Depth=2
	s_add_co_i32 s41, s41, 1
	s_delay_alu instid0(SALU_CYCLE_1) | instskip(SKIP_1) | instid1(SALU_CYCLE_1)
	s_cmp_lg_u32 s41, 0x2710
	s_cselect_b32 s42, -1, 0
	s_and_b32 vcc_lo, exec_lo, s42
	s_cbranch_vccz .LBB4_88
; %bb.87:                               ;   in Loop: Header=BB4_86 Depth=2
	s_mov_b32 s44, -1
	s_or_b32 s40, s40, exec_lo
	s_and_saveexec_b32 s43, s42
	s_cbranch_execz .LBB4_85
	s_branch .LBB4_89
.LBB4_88:                               ;   in Loop: Header=BB4_86 Depth=2
	s_trap 2
	ds_load_b64 v[10:11], v0
	s_and_not1_b32 s42, s42, exec_lo
	s_mov_b32 s41, 0
	s_wait_loadcnt_dscnt 0x0
	flat_load_b32 v10, v[10:11] scope:SCOPE_SYS
	s_wait_loadcnt_dscnt 0x0
	global_inv scope:SCOPE_SYS
	v_cmp_eq_u32_e32 vcc_lo, 0, v10
	s_and_b32 s43, vcc_lo, exec_lo
	s_delay_alu instid0(SALU_CYCLE_1)
	s_or_b32 s42, s42, s43
	s_mov_b32 s44, -1
	s_or_b32 s40, s40, exec_lo
	s_and_saveexec_b32 s43, s42
	s_cbranch_execz .LBB4_85
.LBB4_89:                               ;   in Loop: Header=BB4_86 Depth=2
	s_sleep 1
	s_trap 2
	ds_load_b64 v[10:11], v0
	s_wait_dscnt 0x0
	s_and_not1_b32 s40, s40, exec_lo
	v_cmp_ge_u64_e32 vcc_lo, v[10:11], v[48:49]
	s_or_not1_b32 s44, vcc_lo, exec_lo
	s_branch .LBB4_85
.LBB4_90:                               ;   in Loop: Header=BB4_49 Depth=1
	s_or_b32 exec_lo, exec_lo, s14
	s_and_saveexec_b32 s14, s15
	s_delay_alu instid0(SALU_CYCLE_1)
	s_xor_b32 s14, exec_lo, s14
	s_cbranch_execz .LBB4_92
; %bb.91:                               ;   in Loop: Header=BB4_49 Depth=1
	ds_store_b32 v0, v116
	s_trap 2
.LBB4_92:                               ;   in Loop: Header=BB4_49 Depth=1
	s_or_b32 exec_lo, exec_lo, s13
	;;#ASMSTART
	s_wakeup
	;;#ASMEND
.LBB4_93:                               ;   in Loop: Header=BB4_49 Depth=1
	s_or_b32 exec_lo, exec_lo, s12
.LBB4_94:                               ;   in Loop: Header=BB4_49 Depth=1
	s_and_not1_saveexec_b32 s11, s11
	s_cbranch_execz .LBB4_96
; %bb.95:                               ;   in Loop: Header=BB4_49 Depth=1
	global_wb scope:SCOPE_DEV
	s_wait_storecnt 0x0
	s_wait_loadcnt_dscnt 0x0
	global_inv scope:SCOPE_DEV
	s_barrier_signal -1
	s_barrier_wait -1
.LBB4_96:                               ;   in Loop: Header=BB4_49 Depth=1
	s_or_b32 exec_lo, exec_lo, s11
.LBB4_97:                               ;   in Loop: Header=BB4_49 Depth=1
	s_delay_alu instid0(SALU_CYCLE_1) | instskip(SKIP_3) | instid1(VALU_DEP_1)
	s_or_b32 exec_lo, exec_lo, s10
	s_trap 2
	ds_load_b32 v10, v0
	v_and_b32_e32 v11, 0x4000, v30
	v_cmp_ne_u32_e32 vcc_lo, 0, v11
	s_and_b32 s11, s27, vcc_lo
	s_delay_alu instid0(SALU_CYCLE_1)
	s_and_saveexec_b32 s10, s11
	s_cbranch_execz .LBB4_116
; %bb.98:                               ;   in Loop: Header=BB4_49 Depth=1
	s_and_saveexec_b32 s11, s3
	s_delay_alu instid0(SALU_CYCLE_1)
	s_xor_b32 s11, exec_lo, s11
	s_cbranch_execz .LBB4_113
; %bb.99:                               ;   in Loop: Header=BB4_49 Depth=1
	s_and_saveexec_b32 s12, s4
	s_cbranch_execz .LBB4_112
; %bb.100:                              ;   in Loop: Header=BB4_49 Depth=1
	s_mov_b32 s14, exec_lo
	s_mov_b32 s13, exec_lo
	v_mbcnt_lo_u32_b32 v11, s14, 0
	global_wb scope:SCOPE_DEV
	s_wait_storecnt 0x0
	s_wait_loadcnt_dscnt 0x0
	global_inv scope:SCOPE_DEV
	v_cmpx_eq_u32_e32 0, v11
	s_cbranch_execz .LBB4_102
; %bb.101:                              ;   in Loop: Header=BB4_49 Depth=1
	s_bcnt1_i32_b32 s14, s14
	s_delay_alu instid0(SALU_CYCLE_1)
	v_mov_b32_e32 v14, s14
	s_wait_loadcnt 0x0
	ds_add_u64 v0, v[14:15]
	s_trap 2
.LBB4_102:                              ;   in Loop: Header=BB4_49 Depth=1
	s_or_b32 exec_lo, exec_lo, s13
	s_trap 2
	ds_load_b64 v[12:13], v0
	s_wait_dscnt 0x0
	v_add_nc_u64_e32 v[48:49], v[48:49], v[16:17]
	s_mov_b32 s13, exec_lo
	s_delay_alu instid0(VALU_DEP_1)
	v_cmpx_lt_u64_e64 v[12:13], v[48:49]
	s_cbranch_execz .LBB4_111
; %bb.103:                              ;   in Loop: Header=BB4_49 Depth=1
	s_mov_b32 s14, 0
	s_mov_b32 s41, 0
                                        ; implicit-def: $sgpr15
                                        ; implicit-def: $sgpr40
	s_branch .LBB4_105
.LBB4_104:                              ;   in Loop: Header=BB4_105 Depth=2
	s_or_b32 exec_lo, exec_lo, s43
	s_delay_alu instid0(SALU_CYCLE_1) | instskip(NEXT) | instid1(SALU_CYCLE_1)
	s_and_b32 s42, exec_lo, s44
	s_or_b32 s14, s42, s14
	s_and_not1_b32 s15, s15, exec_lo
	s_and_b32 s42, s40, exec_lo
	s_delay_alu instid0(SALU_CYCLE_1)
	s_or_b32 s15, s15, s42
	s_and_not1_b32 exec_lo, exec_lo, s14
	s_cbranch_execz .LBB4_109
.LBB4_105:                              ;   Parent Loop BB4_49 Depth=1
                                        ; =>  This Inner Loop Header: Depth=2
	s_add_co_i32 s41, s41, 1
	s_delay_alu instid0(SALU_CYCLE_1) | instskip(SKIP_1) | instid1(SALU_CYCLE_1)
	s_cmp_lg_u32 s41, 0x2710
	s_cselect_b32 s42, -1, 0
	s_and_b32 vcc_lo, exec_lo, s42
	s_cbranch_vccz .LBB4_107
; %bb.106:                              ;   in Loop: Header=BB4_105 Depth=2
	s_mov_b32 s44, -1
	s_or_b32 s40, s40, exec_lo
	s_and_saveexec_b32 s43, s42
	s_cbranch_execz .LBB4_104
	s_branch .LBB4_108
.LBB4_107:                              ;   in Loop: Header=BB4_105 Depth=2
	s_trap 2
	ds_load_b64 v[12:13], v0
	s_and_not1_b32 s42, s42, exec_lo
	s_mov_b32 s41, 0
	s_wait_loadcnt_dscnt 0x0
	flat_load_b32 v11, v[12:13] scope:SCOPE_SYS
	s_wait_loadcnt_dscnt 0x0
	global_inv scope:SCOPE_SYS
	v_cmp_eq_u32_e32 vcc_lo, 0, v11
	s_and_b32 s43, vcc_lo, exec_lo
	s_delay_alu instid0(SALU_CYCLE_1)
	s_or_b32 s42, s42, s43
	s_mov_b32 s44, -1
	s_or_b32 s40, s40, exec_lo
	s_and_saveexec_b32 s43, s42
	s_cbranch_execz .LBB4_104
.LBB4_108:                              ;   in Loop: Header=BB4_105 Depth=2
	s_sleep 1
	s_trap 2
	ds_load_b64 v[12:13], v0
	s_wait_dscnt 0x0
	s_and_not1_b32 s40, s40, exec_lo
	v_cmp_ge_u64_e32 vcc_lo, v[12:13], v[48:49]
	s_or_not1_b32 s44, vcc_lo, exec_lo
	s_branch .LBB4_104
.LBB4_109:                              ;   in Loop: Header=BB4_49 Depth=1
	s_or_b32 exec_lo, exec_lo, s14
	s_and_saveexec_b32 s14, s15
	s_delay_alu instid0(SALU_CYCLE_1)
	s_xor_b32 s14, exec_lo, s14
	s_cbranch_execz .LBB4_111
; %bb.110:                              ;   in Loop: Header=BB4_49 Depth=1
	ds_store_b32 v0, v116
	s_trap 2
.LBB4_111:                              ;   in Loop: Header=BB4_49 Depth=1
	s_or_b32 exec_lo, exec_lo, s13
	;;#ASMSTART
	s_wakeup
	;;#ASMEND
.LBB4_112:                              ;   in Loop: Header=BB4_49 Depth=1
	s_or_b32 exec_lo, exec_lo, s12
.LBB4_113:                              ;   in Loop: Header=BB4_49 Depth=1
	s_and_not1_saveexec_b32 s11, s11
	s_cbranch_execz .LBB4_115
; %bb.114:                              ;   in Loop: Header=BB4_49 Depth=1
	global_wb scope:SCOPE_DEV
	s_wait_storecnt 0x0
	s_wait_loadcnt_dscnt 0x0
	global_inv scope:SCOPE_DEV
	s_barrier_signal -1
	s_barrier_wait -1
.LBB4_115:                              ;   in Loop: Header=BB4_49 Depth=1
	s_or_b32 exec_lo, exec_lo, s11
.LBB4_116:                              ;   in Loop: Header=BB4_49 Depth=1
	s_delay_alu instid0(SALU_CYCLE_1)
	s_or_b32 exec_lo, exec_lo, s10
	s_trap 2
	ds_load_b64 v[82:83], v0
	s_wait_dscnt 0x0
	v_cmp_eq_u64_e32 vcc_lo, 0, v[82:83]
	s_cbranch_vccnz .LBB4_124
; %bb.117:                              ;   in Loop: Header=BB4_49 Depth=1
	s_trap 2
	ds_load_b64 v[84:85], v0
	s_wait_dscnt 0x0
	v_cmp_eq_u64_e32 vcc_lo, 0, v[84:85]
	s_cbranch_vccnz .LBB4_124
; %bb.118:                              ;   in Loop: Header=BB4_49 Depth=1
	s_mov_b32 s10, -1
	s_and_saveexec_b32 s11, s5
	s_cbranch_execz .LBB4_120
; %bb.119:                              ;   in Loop: Header=BB4_49 Depth=1
	ds_load_b32 v11, v0 offset:720
	s_wait_dscnt 0x0
	v_and_b32_e32 v11, 15, v11
	s_delay_alu instid0(VALU_DEP_1)
	v_cmp_eq_u32_e32 vcc_lo, 0, v11
	s_or_not1_b32 s10, vcc_lo, exec_lo
.LBB4_120:                              ;   in Loop: Header=BB4_49 Depth=1
	s_or_b32 exec_lo, exec_lo, s11
	s_and_saveexec_b32 s11, s6
	s_cbranch_execz .LBB4_122
; %bb.121:                              ;   in Loop: Header=BB4_49 Depth=1
	ds_load_b32 v11, v0 offset:784
	s_wait_dscnt 0x0
	v_and_b32_e32 v11, 15, v11
	s_delay_alu instid0(VALU_DEP_1) | instskip(SKIP_3) | instid1(SALU_CYCLE_1)
	v_cmp_eq_u32_e32 vcc_lo, 0, v11
	s_and_b32 s12, s10, vcc_lo
	s_and_not1_b32 s10, s10, exec_lo
	s_and_b32 s12, s12, exec_lo
	s_or_b32 s10, s10, s12
.LBB4_122:                              ;   in Loop: Header=BB4_49 Depth=1
	s_or_b32 exec_lo, exec_lo, s11
	s_xor_b32 s10, s10, -1
	s_mov_b32 s11, -1
	v_cndmask_b32_e64 v11, 0, 1, s10
	v_cmp_eq_u32_e64 s10, 0, v10
	s_delay_alu instid0(VALU_DEP_2)
	v_cmp_ne_u32_e32 vcc_lo, 0, v11
	s_cbranch_vccz .LBB4_125
; %bb.123:                              ;   in Loop: Header=BB4_49 Depth=1
	s_mov_b32 s11, 0
	s_mov_b32 s13, -1
	s_branch .LBB4_126
.LBB4_124:                              ;   in Loop: Header=BB4_49 Depth=1
	s_mov_b32 s10, 0
	s_and_saveexec_b32 s11, s2
	s_cbranch_execnz .LBB4_691
	s_branch .LBB4_709
.LBB4_125:                              ;   in Loop: Header=BB4_49 Depth=1
	s_mov_b32 s13, 0
.LBB4_126:                              ;   in Loop: Header=BB4_49 Depth=1
	v_dual_cndmask_b32 v14, 0, v81, s10 :: v_dual_mov_b32 v100, 0
	s_and_not1_b32 vcc_lo, exec_lo, s11
	s_delay_alu instid0(VALU_DEP_1)
	v_lshlrev_b32_e32 v118, 1, v14
	s_cbranch_vccnz .LBB4_267
; %bb.127:                              ;   in Loop: Header=BB4_49 Depth=1
	v_lshrrev_b32_e32 v10, 8, v14
	s_trap 2
	ds_load_b64 v[86:87], v0
	v_add_nc_u64_e32 v[96:97], v[84:85], v[24:25]
	v_dual_sub_nc_u32 v43, v118, v24 :: v_dual_lshlrev_b32 v119, 9, v10
	s_mov_b32 s12, 0
	s_mov_b32 s40, exec_lo
	s_delay_alu instid0(VALU_DEP_1) | instskip(SKIP_1) | instid1(VALU_DEP_2)
	v_sub_nc_u32_e32 v40, v118, v119
	v_sub_nc_u32_e32 v10, v10, v115
	v_cmp_lt_i32_e64 s10, 15, v40
	s_delay_alu instid0(VALU_DEP_1)
	v_add_co_ci_u32_e64 v41, null, 0, v10, s10
	v_cmpx_lt_i32_e32 15, v43
	s_cbranch_execz .LBB4_269
; %bb.128:                              ;   in Loop: Header=BB4_49 Depth=1
	s_trap 2
	ds_load_b32 v10, v0
	v_add_nc_u64_e32 v[98:99], v[82:83], v[24:25]
	s_wait_dscnt 0x1
	v_add_nc_u64_e32 v[100:101], v[86:87], v[24:25]
	s_mov_b32 s43, 0
	s_mov_b32 s41, 0
                                        ; implicit-def: $sgpr42
	s_wait_dscnt 0x0
	v_lshlrev_b32_e32 v44, 16, v10
	s_branch .LBB4_130
.LBB4_129:                              ;   in Loop: Header=BB4_130 Depth=2
	s_or_b32 exec_lo, exec_lo, s11
	s_delay_alu instid0(VALU_DEP_1) | instskip(SKIP_3) | instid1(SALU_CYCLE_1)
	v_cmp_gt_i32_e32 vcc_lo, 16, v43
	s_or_b32 s41, vcc_lo, s41
	s_and_not1_b32 s11, s42, exec_lo
	s_and_b32 s12, s43, exec_lo
	s_or_b32 s42, s11, s12
	s_and_not1_b32 exec_lo, exec_lo, s41
	s_cbranch_execz .LBB4_268
.LBB4_130:                              ;   Parent Loop BB4_49 Depth=1
                                        ; =>  This Loop Header: Depth=2
                                        ;       Child Loop BB4_131 Depth 3
                                        ;       Child Loop BB4_200 Depth 3
	s_add_co_i32 s11, s33, 0x60
	s_mov_b64 s[14:15], 0
	s_mov_b32 s44, s11
	s_mov_b32 s45, -1
.LBB4_131:                              ;   Parent Loop BB4_49 Depth=1
                                        ;     Parent Loop BB4_130 Depth=2
                                        ; =>    This Inner Loop Header: Depth=3
	s_cmp_eq_u32 s14, 1
	s_cselect_b32 vcc_lo, -1, 0
	s_cmp_eq_u32 s14, 0
	v_dual_cndmask_b32 v103, v99, v101 :: v_dual_cndmask_b32 v102, v98, v100
	s_cselect_b32 s11, -1, 0
	s_and_b32 s12, exec_lo, s45
	s_mov_b64 s[14:15], 1
	s_mov_b32 s45, 0
	global_load_b128 v[10:13], v[102:103], off th:TH_LOAD_NT
	s_wait_xcnt 0x0
	v_add_nc_u64_e32 v[102:103], 0x200, v[102:103]
	s_delay_alu instid0(VALU_DEP_1)
	v_dual_cndmask_b32 v99, v99, v103, s11 :: v_dual_cndmask_b32 v98, v98, v102, s11
	v_dual_cndmask_b32 v101, v101, v103 :: v_dual_cndmask_b32 v100, v100, v102
	s_mov_b32 vcc_lo, s12
	s_wait_loadcnt 0x0
	scratch_store_b128 off, v[10:13], s44
	s_wait_xcnt 0x0
	s_mov_b32 s44, s24
	s_cbranch_vccnz .LBB4_131
; %bb.132:                              ;   in Loop: Header=BB4_130 Depth=2
	s_and_saveexec_b32 s11, s43
	s_cbranch_execz .LBB4_198
; %bb.133:                              ;   in Loop: Header=BB4_130 Depth=2
	scratch_load_b128 v[10:13], off, s33 offset:128
	s_wait_loadcnt 0x0
	v_lshlrev_b32_e32 v102, 16, v10
	s_delay_alu instid0(VALU_DEP_1) | instskip(NEXT) | instid1(VALU_DEP_1)
	v_mul_f32_e32 v102, v44, v102
	v_and_b32_e32 v103, 0x7f800000, v102
	s_delay_alu instid0(VALU_DEP_1) | instskip(SKIP_2) | instid1(SALU_CYCLE_1)
	v_cmp_ne_u32_e32 vcc_lo, 0x7f800000, v103
                                        ; implicit-def: $vgpr103
	s_wait_xcnt 0x0
	s_and_saveexec_b32 s12, vcc_lo
	s_xor_b32 s12, exec_lo, s12
; %bb.134:                              ;   in Loop: Header=BB4_130 Depth=2
	v_bfe_u32 v103, v102, 16, 1
	s_delay_alu instid0(VALU_DEP_1)
	v_add3_u32 v103, v102, v103, 0x7fff
                                        ; implicit-def: $vgpr102
; %bb.135:                              ;   in Loop: Header=BB4_130 Depth=2
	s_and_not1_saveexec_b32 s12, s12
; %bb.136:                              ;   in Loop: Header=BB4_130 Depth=2
	v_and_b32_e32 v103, 0xffff, v102
	v_or_b32_e32 v45, 0x10000, v102
	s_delay_alu instid0(VALU_DEP_2) | instskip(NEXT) | instid1(VALU_DEP_2)
	v_cmp_eq_u32_e32 vcc_lo, 0, v103
	v_cndmask_b32_e32 v103, v45, v102, vcc_lo
; %bb.137:                              ;   in Loop: Header=BB4_130 Depth=2
	s_or_b32 exec_lo, exec_lo, s12
	v_and_b32_e32 v10, 0xffff0000, v10
	s_delay_alu instid0(VALU_DEP_1) | instskip(NEXT) | instid1(VALU_DEP_1)
	v_mul_f32_e32 v10, v44, v10
	v_and_b32_e32 v102, 0x7f800000, v10
	s_delay_alu instid0(VALU_DEP_1) | instskip(SKIP_1) | instid1(SALU_CYCLE_1)
	v_cmp_ne_u32_e32 vcc_lo, 0x7f800000, v102
                                        ; implicit-def: $vgpr102
	s_and_saveexec_b32 s12, vcc_lo
	s_xor_b32 s12, exec_lo, s12
; %bb.138:                              ;   in Loop: Header=BB4_130 Depth=2
	v_bfe_u32 v102, v10, 16, 1
	s_delay_alu instid0(VALU_DEP_1)
	v_add3_u32 v102, v10, v102, 0x7fff
                                        ; implicit-def: $vgpr10
; %bb.139:                              ;   in Loop: Header=BB4_130 Depth=2
	s_and_not1_saveexec_b32 s12, s12
; %bb.140:                              ;   in Loop: Header=BB4_130 Depth=2
	v_and_b32_e32 v102, 0xffff, v10
	v_or_b32_e32 v45, 0x10000, v10
	s_delay_alu instid0(VALU_DEP_2) | instskip(NEXT) | instid1(VALU_DEP_2)
	v_cmp_eq_u32_e32 vcc_lo, 0, v102
	v_cndmask_b32_e32 v102, v45, v10, vcc_lo
; %bb.141:                              ;   in Loop: Header=BB4_130 Depth=2
	s_or_b32 exec_lo, exec_lo, s12
	v_lshlrev_b32_e32 v10, 16, v11
	s_mov_b32 s12, exec_lo
                                        ; implicit-def: $vgpr59
	s_delay_alu instid0(VALU_DEP_1) | instskip(NEXT) | instid1(VALU_DEP_1)
	v_mul_f32_e32 v10, v44, v10
	v_and_b32_e32 v45, 0x7f800000, v10
	s_delay_alu instid0(VALU_DEP_1)
	v_cmpx_ne_u32_e32 0x7f800000, v45
	s_xor_b32 s12, exec_lo, s12
; %bb.142:                              ;   in Loop: Header=BB4_130 Depth=2
	v_bfe_u32 v45, v10, 16, 1
	s_delay_alu instid0(VALU_DEP_1)
	v_add3_u32 v59, v10, v45, 0x7fff
                                        ; implicit-def: $vgpr10
; %bb.143:                              ;   in Loop: Header=BB4_130 Depth=2
	s_and_not1_saveexec_b32 s12, s12
; %bb.144:                              ;   in Loop: Header=BB4_130 Depth=2
	v_and_b32_e32 v45, 0xffff, v10
	v_or_b32_e32 v46, 0x10000, v10
	s_delay_alu instid0(VALU_DEP_2) | instskip(NEXT) | instid1(VALU_DEP_2)
	v_cmp_eq_u32_e32 vcc_lo, 0, v45
	v_cndmask_b32_e32 v59, v46, v10, vcc_lo
; %bb.145:                              ;   in Loop: Header=BB4_130 Depth=2
	s_or_b32 exec_lo, exec_lo, s12
	v_and_b32_e32 v10, 0xffff0000, v11
	s_mov_b32 s12, exec_lo
                                        ; implicit-def: $vgpr57
	s_delay_alu instid0(VALU_DEP_1) | instskip(NEXT) | instid1(VALU_DEP_1)
	v_mul_f32_e32 v10, v44, v10
	v_and_b32_e32 v11, 0x7f800000, v10
	s_delay_alu instid0(VALU_DEP_1)
	v_cmpx_ne_u32_e32 0x7f800000, v11
	s_xor_b32 s12, exec_lo, s12
; %bb.146:                              ;   in Loop: Header=BB4_130 Depth=2
	v_bfe_u32 v11, v10, 16, 1
	s_delay_alu instid0(VALU_DEP_1)
	v_add3_u32 v57, v10, v11, 0x7fff
                                        ; implicit-def: $vgpr10
; %bb.147:                              ;   in Loop: Header=BB4_130 Depth=2
	s_and_not1_saveexec_b32 s12, s12
; %bb.148:                              ;   in Loop: Header=BB4_130 Depth=2
	v_and_b32_e32 v11, 0xffff, v10
	v_or_b32_e32 v45, 0x10000, v10
	s_delay_alu instid0(VALU_DEP_2) | instskip(NEXT) | instid1(VALU_DEP_2)
	v_cmp_eq_u32_e32 vcc_lo, 0, v11
	v_cndmask_b32_e32 v57, v45, v10, vcc_lo
; %bb.149:                              ;   in Loop: Header=BB4_130 Depth=2
	s_or_b32 exec_lo, exec_lo, s12
	v_lshlrev_b32_e32 v10, 16, v12
	s_mov_b32 s12, exec_lo
                                        ; implicit-def: $vgpr58
	s_delay_alu instid0(VALU_DEP_1) | instskip(NEXT) | instid1(VALU_DEP_1)
	v_mul_f32_e32 v10, v44, v10
	v_and_b32_e32 v11, 0x7f800000, v10
	s_delay_alu instid0(VALU_DEP_1)
	v_cmpx_ne_u32_e32 0x7f800000, v11
	s_xor_b32 s12, exec_lo, s12
; %bb.150:                              ;   in Loop: Header=BB4_130 Depth=2
	v_bfe_u32 v11, v10, 16, 1
	s_delay_alu instid0(VALU_DEP_1)
	v_add3_u32 v58, v10, v11, 0x7fff
                                        ; implicit-def: $vgpr10
; %bb.151:                              ;   in Loop: Header=BB4_130 Depth=2
	s_and_not1_saveexec_b32 s12, s12
; %bb.152:                              ;   in Loop: Header=BB4_130 Depth=2
	v_and_b32_e32 v11, 0xffff, v10
	v_or_b32_e32 v45, 0x10000, v10
	s_delay_alu instid0(VALU_DEP_2) | instskip(NEXT) | instid1(VALU_DEP_2)
	v_cmp_eq_u32_e32 vcc_lo, 0, v11
	v_cndmask_b32_e32 v58, v45, v10, vcc_lo
; %bb.153:                              ;   in Loop: Header=BB4_130 Depth=2
	s_or_b32 exec_lo, exec_lo, s12
	v_and_b32_e32 v10, 0xffff0000, v12
	s_mov_b32 s12, exec_lo
                                        ; implicit-def: $vgpr47
	s_delay_alu instid0(VALU_DEP_1) | instskip(NEXT) | instid1(VALU_DEP_1)
	v_mul_f32_e32 v10, v44, v10
	v_and_b32_e32 v11, 0x7f800000, v10
	s_delay_alu instid0(VALU_DEP_1)
	v_cmpx_ne_u32_e32 0x7f800000, v11
	s_xor_b32 s12, exec_lo, s12
; %bb.154:                              ;   in Loop: Header=BB4_130 Depth=2
	v_bfe_u32 v11, v10, 16, 1
	s_delay_alu instid0(VALU_DEP_1)
	v_add3_u32 v47, v10, v11, 0x7fff
                                        ; implicit-def: $vgpr10
; %bb.155:                              ;   in Loop: Header=BB4_130 Depth=2
	s_and_not1_saveexec_b32 s12, s12
; %bb.156:                              ;   in Loop: Header=BB4_130 Depth=2
	v_and_b32_e32 v11, 0xffff, v10
	v_or_b32_e32 v12, 0x10000, v10
	s_delay_alu instid0(VALU_DEP_2) | instskip(NEXT) | instid1(VALU_DEP_2)
	v_cmp_eq_u32_e32 vcc_lo, 0, v11
	v_cndmask_b32_e32 v47, v12, v10, vcc_lo
; %bb.157:                              ;   in Loop: Header=BB4_130 Depth=2
	s_or_b32 exec_lo, exec_lo, s12
	v_lshlrev_b32_e32 v10, 16, v13
	s_mov_b32 s12, exec_lo
                                        ; implicit-def: $vgpr56
	s_delay_alu instid0(VALU_DEP_1) | instskip(NEXT) | instid1(VALU_DEP_1)
	v_mul_f32_e32 v10, v44, v10
	v_and_b32_e32 v11, 0x7f800000, v10
	s_delay_alu instid0(VALU_DEP_1)
	v_cmpx_ne_u32_e32 0x7f800000, v11
	s_xor_b32 s12, exec_lo, s12
; %bb.158:                              ;   in Loop: Header=BB4_130 Depth=2
	v_bfe_u32 v11, v10, 16, 1
	s_delay_alu instid0(VALU_DEP_1)
	v_add3_u32 v56, v10, v11, 0x7fff
                                        ; implicit-def: $vgpr10
; %bb.159:                              ;   in Loop: Header=BB4_130 Depth=2
	s_and_not1_saveexec_b32 s12, s12
; %bb.160:                              ;   in Loop: Header=BB4_130 Depth=2
	v_and_b32_e32 v11, 0xffff, v10
	v_or_b32_e32 v12, 0x10000, v10
	s_delay_alu instid0(VALU_DEP_2) | instskip(NEXT) | instid1(VALU_DEP_2)
	v_cmp_eq_u32_e32 vcc_lo, 0, v11
	v_cndmask_b32_e32 v56, v12, v10, vcc_lo
; %bb.161:                              ;   in Loop: Header=BB4_130 Depth=2
	s_or_b32 exec_lo, exec_lo, s12
	v_and_b32_e32 v10, 0xffff0000, v13
	s_mov_b32 s12, exec_lo
                                        ; implicit-def: $vgpr45
	s_delay_alu instid0(VALU_DEP_1) | instskip(NEXT) | instid1(VALU_DEP_1)
	v_mul_f32_e32 v10, v44, v10
	v_and_b32_e32 v11, 0x7f800000, v10
	s_delay_alu instid0(VALU_DEP_1)
	v_cmpx_ne_u32_e32 0x7f800000, v11
	s_xor_b32 s12, exec_lo, s12
; %bb.162:                              ;   in Loop: Header=BB4_130 Depth=2
	v_bfe_u32 v11, v10, 16, 1
	s_delay_alu instid0(VALU_DEP_1)
	v_add3_u32 v45, v10, v11, 0x7fff
                                        ; implicit-def: $vgpr10
; %bb.163:                              ;   in Loop: Header=BB4_130 Depth=2
	s_and_not1_saveexec_b32 s12, s12
; %bb.164:                              ;   in Loop: Header=BB4_130 Depth=2
	v_and_b32_e32 v11, 0xffff, v10
	v_or_b32_e32 v12, 0x10000, v10
	s_delay_alu instid0(VALU_DEP_2) | instskip(NEXT) | instid1(VALU_DEP_2)
	v_cmp_eq_u32_e32 vcc_lo, 0, v11
	v_cndmask_b32_e32 v45, v12, v10, vcc_lo
; %bb.165:                              ;   in Loop: Header=BB4_130 Depth=2
	s_or_b32 exec_lo, exec_lo, s12
	scratch_load_b128 v[10:13], off, s33 offset:144
	v_and_b32_e32 v103, 0xffff0000, v103
	s_wait_loadcnt 0x0
	v_lshlrev_b32_e32 v46, 16, v10
	s_delay_alu instid0(VALU_DEP_1) | instskip(NEXT) | instid1(VALU_DEP_1)
	v_add_f32_e32 v103, v103, v46
	v_and_b32_e32 v46, 0x7f800000, v103
	s_delay_alu instid0(VALU_DEP_1) | instskip(SKIP_2) | instid1(SALU_CYCLE_1)
	v_cmp_ne_u32_e32 vcc_lo, 0x7f800000, v46
                                        ; implicit-def: $vgpr46
	s_wait_xcnt 0x0
	s_and_saveexec_b32 s12, vcc_lo
	s_xor_b32 s12, exec_lo, s12
; %bb.166:                              ;   in Loop: Header=BB4_130 Depth=2
	v_bfe_u32 v46, v103, 16, 1
	s_delay_alu instid0(VALU_DEP_1)
	v_add3_u32 v46, v103, v46, 0x7fff
                                        ; implicit-def: $vgpr103
; %bb.167:                              ;   in Loop: Header=BB4_130 Depth=2
	s_and_not1_saveexec_b32 s12, s12
; %bb.168:                              ;   in Loop: Header=BB4_130 Depth=2
	v_and_b32_e32 v46, 0xffff, v103
	v_or_b32_e32 v60, 0x10000, v103
	s_delay_alu instid0(VALU_DEP_2) | instskip(NEXT) | instid1(VALU_DEP_2)
	v_cmp_eq_u32_e32 vcc_lo, 0, v46
	v_cndmask_b32_e32 v46, v60, v103, vcc_lo
; %bb.169:                              ;   in Loop: Header=BB4_130 Depth=2
	s_or_b32 exec_lo, exec_lo, s12
	v_and_b32_e32 v103, 0xffff0000, v10
	v_and_b32_e32 v102, 0xffff0000, v102
	s_delay_alu instid0(VALU_DEP_2) | instskip(NEXT) | instid1(VALU_DEP_1)
	v_mov_b32_e32 v10, v103
	v_pk_add_f32 v[102:103], v[10:11], v[102:103]
	s_delay_alu instid0(VALU_DEP_1) | instskip(NEXT) | instid1(VALU_DEP_1)
	v_and_b32_e32 v10, 0x7f800000, v102
	v_cmp_ne_u32_e32 vcc_lo, 0x7f800000, v10
                                        ; implicit-def: $vgpr10
	s_and_saveexec_b32 s12, vcc_lo
	s_delay_alu instid0(SALU_CYCLE_1)
	s_xor_b32 s12, exec_lo, s12
; %bb.170:                              ;   in Loop: Header=BB4_130 Depth=2
	v_bfe_u32 v10, v102, 16, 1
	s_delay_alu instid0(VALU_DEP_1)
	v_add3_u32 v10, v102, v10, 0x7fff
                                        ; implicit-def: $vgpr102_vgpr103
; %bb.171:                              ;   in Loop: Header=BB4_130 Depth=2
	s_and_not1_saveexec_b32 s12, s12
; %bb.172:                              ;   in Loop: Header=BB4_130 Depth=2
	v_and_b32_e32 v10, 0xffff, v102
	v_or_b32_e32 v103, 0x10000, v102
	s_delay_alu instid0(VALU_DEP_2) | instskip(NEXT) | instid1(VALU_DEP_2)
	v_cmp_eq_u32_e32 vcc_lo, 0, v10
	v_cndmask_b32_e32 v10, v103, v102, vcc_lo
; %bb.173:                              ;   in Loop: Header=BB4_130 Depth=2
	s_or_b32 exec_lo, exec_lo, s12
	v_and_b32_e32 v102, 0xffff0000, v59
	v_lshlrev_b32_e32 v103, 16, v11
	s_delay_alu instid0(VALU_DEP_1) | instskip(NEXT) | instid1(VALU_DEP_1)
	v_add_f32_e32 v103, v102, v103
	v_and_b32_e32 v102, 0x7f800000, v103
	s_delay_alu instid0(VALU_DEP_1) | instskip(SKIP_1) | instid1(SALU_CYCLE_1)
	v_cmp_ne_u32_e32 vcc_lo, 0x7f800000, v102
                                        ; implicit-def: $vgpr102
	s_and_saveexec_b32 s12, vcc_lo
	s_xor_b32 s12, exec_lo, s12
; %bb.174:                              ;   in Loop: Header=BB4_130 Depth=2
	v_bfe_u32 v102, v103, 16, 1
	s_delay_alu instid0(VALU_DEP_1)
	v_add3_u32 v102, v103, v102, 0x7fff
                                        ; implicit-def: $vgpr103
; %bb.175:                              ;   in Loop: Header=BB4_130 Depth=2
	s_and_not1_saveexec_b32 s12, s12
; %bb.176:                              ;   in Loop: Header=BB4_130 Depth=2
	v_and_b32_e32 v102, 0xffff, v103
	v_or_b32_e32 v59, 0x10000, v103
	s_delay_alu instid0(VALU_DEP_2) | instskip(NEXT) | instid1(VALU_DEP_2)
	v_cmp_eq_u32_e32 vcc_lo, 0, v102
	v_cndmask_b32_e32 v102, v59, v103, vcc_lo
; %bb.177:                              ;   in Loop: Header=BB4_130 Depth=2
	s_or_b32 exec_lo, exec_lo, s12
	v_and_b32_e32 v11, 0xffff0000, v11
	v_and_b32_e32 v103, 0xffff0000, v57
	s_delay_alu instid0(VALU_DEP_1) | instskip(NEXT) | instid1(VALU_DEP_1)
	v_add_f32_e32 v103, v103, v11
	v_and_b32_e32 v11, 0x7f800000, v103
	s_delay_alu instid0(VALU_DEP_1) | instskip(SKIP_1) | instid1(SALU_CYCLE_1)
	v_cmp_ne_u32_e32 vcc_lo, 0x7f800000, v11
                                        ; implicit-def: $vgpr11
	s_and_saveexec_b32 s12, vcc_lo
	s_xor_b32 s12, exec_lo, s12
; %bb.178:                              ;   in Loop: Header=BB4_130 Depth=2
	v_bfe_u32 v11, v103, 16, 1
	s_delay_alu instid0(VALU_DEP_1)
	v_add3_u32 v11, v103, v11, 0x7fff
                                        ; implicit-def: $vgpr103
; %bb.179:                              ;   in Loop: Header=BB4_130 Depth=2
	s_and_not1_saveexec_b32 s12, s12
; %bb.180:                              ;   in Loop: Header=BB4_130 Depth=2
	v_and_b32_e32 v11, 0xffff, v103
	v_or_b32_e32 v57, 0x10000, v103
	s_delay_alu instid0(VALU_DEP_2) | instskip(NEXT) | instid1(VALU_DEP_2)
	v_cmp_eq_u32_e32 vcc_lo, 0, v11
	v_cndmask_b32_e32 v11, v57, v103, vcc_lo
; %bb.181:                              ;   in Loop: Header=BB4_130 Depth=2
	s_or_b32 exec_lo, exec_lo, s12
	v_and_b32_e32 v103, 0xffff0000, v58
	v_lshlrev_b32_e32 v57, 16, v12
	s_delay_alu instid0(VALU_DEP_1) | instskip(NEXT) | instid1(VALU_DEP_1)
	v_add_f32_e32 v57, v103, v57
	v_and_b32_e32 v103, 0x7f800000, v57
	s_delay_alu instid0(VALU_DEP_1) | instskip(SKIP_1) | instid1(SALU_CYCLE_1)
	v_cmp_ne_u32_e32 vcc_lo, 0x7f800000, v103
                                        ; implicit-def: $vgpr103
	s_and_saveexec_b32 s12, vcc_lo
	s_xor_b32 s12, exec_lo, s12
; %bb.182:                              ;   in Loop: Header=BB4_130 Depth=2
	v_bfe_u32 v103, v57, 16, 1
	s_delay_alu instid0(VALU_DEP_1)
	v_add3_u32 v103, v57, v103, 0x7fff
                                        ; implicit-def: $vgpr57
; %bb.183:                              ;   in Loop: Header=BB4_130 Depth=2
	s_and_not1_saveexec_b32 s12, s12
; %bb.184:                              ;   in Loop: Header=BB4_130 Depth=2
	v_and_b32_e32 v103, 0xffff, v57
	v_or_b32_e32 v58, 0x10000, v57
	s_delay_alu instid0(VALU_DEP_2) | instskip(NEXT) | instid1(VALU_DEP_2)
	v_cmp_eq_u32_e32 vcc_lo, 0, v103
	v_cndmask_b32_e32 v103, v58, v57, vcc_lo
; %bb.185:                              ;   in Loop: Header=BB4_130 Depth=2
	s_or_b32 exec_lo, exec_lo, s12
	v_and_b32_e32 v12, 0xffff0000, v12
	v_and_b32_e32 v47, 0xffff0000, v47
	s_delay_alu instid0(VALU_DEP_1) | instskip(NEXT) | instid1(VALU_DEP_1)
	v_add_f32_e32 v47, v47, v12
	v_and_b32_e32 v12, 0x7f800000, v47
	s_delay_alu instid0(VALU_DEP_1) | instskip(SKIP_1) | instid1(SALU_CYCLE_1)
	v_cmp_ne_u32_e32 vcc_lo, 0x7f800000, v12
                                        ; implicit-def: $vgpr12
	s_and_saveexec_b32 s12, vcc_lo
	s_xor_b32 s12, exec_lo, s12
; %bb.186:                              ;   in Loop: Header=BB4_130 Depth=2
	v_bfe_u32 v12, v47, 16, 1
	s_delay_alu instid0(VALU_DEP_1)
	v_add3_u32 v12, v47, v12, 0x7fff
                                        ; implicit-def: $vgpr47
; %bb.187:                              ;   in Loop: Header=BB4_130 Depth=2
	s_and_not1_saveexec_b32 s12, s12
; %bb.188:                              ;   in Loop: Header=BB4_130 Depth=2
	v_and_b32_e32 v12, 0xffff, v47
	v_or_b32_e32 v57, 0x10000, v47
	s_delay_alu instid0(VALU_DEP_2) | instskip(NEXT) | instid1(VALU_DEP_2)
	v_cmp_eq_u32_e32 vcc_lo, 0, v12
	v_cndmask_b32_e32 v12, v57, v47, vcc_lo
; %bb.189:                              ;   in Loop: Header=BB4_130 Depth=2
	s_or_b32 exec_lo, exec_lo, s12
	v_and_b32_e32 v47, 0xffff0000, v56
	v_lshlrev_b32_e32 v56, 16, v13
	s_delay_alu instid0(VALU_DEP_1) | instskip(NEXT) | instid1(VALU_DEP_1)
	v_add_f32_e32 v56, v47, v56
	v_and_b32_e32 v47, 0x7f800000, v56
	s_delay_alu instid0(VALU_DEP_1) | instskip(SKIP_1) | instid1(SALU_CYCLE_1)
	v_cmp_ne_u32_e32 vcc_lo, 0x7f800000, v47
                                        ; implicit-def: $vgpr47
	s_and_saveexec_b32 s12, vcc_lo
	s_xor_b32 s12, exec_lo, s12
; %bb.190:                              ;   in Loop: Header=BB4_130 Depth=2
	v_bfe_u32 v47, v56, 16, 1
	s_delay_alu instid0(VALU_DEP_1)
	v_add3_u32 v47, v56, v47, 0x7fff
                                        ; implicit-def: $vgpr56
; %bb.191:                              ;   in Loop: Header=BB4_130 Depth=2
	s_and_not1_saveexec_b32 s12, s12
; %bb.192:                              ;   in Loop: Header=BB4_130 Depth=2
	v_and_b32_e32 v47, 0xffff, v56
	v_or_b32_e32 v57, 0x10000, v56
	s_delay_alu instid0(VALU_DEP_2) | instskip(NEXT) | instid1(VALU_DEP_2)
	v_cmp_eq_u32_e32 vcc_lo, 0, v47
	v_cndmask_b32_e32 v47, v57, v56, vcc_lo
; %bb.193:                              ;   in Loop: Header=BB4_130 Depth=2
	s_or_b32 exec_lo, exec_lo, s12
	v_and_b32_e32 v13, 0xffff0000, v13
	v_and_b32_e32 v45, 0xffff0000, v45
	s_delay_alu instid0(VALU_DEP_1) | instskip(NEXT) | instid1(VALU_DEP_1)
	v_add_f32_e32 v45, v45, v13
	v_and_b32_e32 v13, 0x7f800000, v45
	s_delay_alu instid0(VALU_DEP_1) | instskip(SKIP_1) | instid1(SALU_CYCLE_1)
	v_cmp_ne_u32_e32 vcc_lo, 0x7f800000, v13
                                        ; implicit-def: $vgpr13
	s_and_saveexec_b32 s12, vcc_lo
	s_xor_b32 s12, exec_lo, s12
; %bb.194:                              ;   in Loop: Header=BB4_130 Depth=2
	v_bfe_u32 v13, v45, 16, 1
	s_delay_alu instid0(VALU_DEP_1)
	v_add3_u32 v13, v45, v13, 0x7fff
                                        ; implicit-def: $vgpr45
; %bb.195:                              ;   in Loop: Header=BB4_130 Depth=2
	s_and_not1_saveexec_b32 s12, s12
; %bb.196:                              ;   in Loop: Header=BB4_130 Depth=2
	v_and_b32_e32 v13, 0xffff, v45
	v_or_b32_e32 v56, 0x10000, v45
	s_delay_alu instid0(VALU_DEP_2) | instskip(NEXT) | instid1(VALU_DEP_2)
	v_cmp_eq_u32_e32 vcc_lo, 0, v13
	v_cndmask_b32_e32 v13, v56, v45, vcc_lo
; %bb.197:                              ;   in Loop: Header=BB4_130 Depth=2
	s_or_b32 exec_lo, exec_lo, s12
	v_dual_lshrrev_b32 v102, 16, v102 :: v_dual_lshrrev_b32 v103, 16, v103
	v_dual_lshrrev_b32 v45, 16, v46 :: v_dual_lshrrev_b32 v46, 16, v47
	s_delay_alu instid0(VALU_DEP_2) | instskip(NEXT) | instid1(VALU_DEP_3)
	v_and_or_b32 v11, 0xffff0000, v11, v102
	v_and_or_b32 v12, 0xffff0000, v12, v103
	s_delay_alu instid0(VALU_DEP_3) | instskip(NEXT) | instid1(VALU_DEP_4)
	v_and_or_b32 v10, 0xffff0000, v10, v45
	v_and_or_b32 v13, 0xffff0000, v13, v46
	global_store_b128 v[96:97], v[10:13], off th:TH_STORE_NT
	s_wait_xcnt 0x0
	v_add_nc_u64_e32 v[96:97], v[54:55], v[96:97]
	scratch_store_b128 off, v[10:13], s33 offset:128
.LBB4_198:                              ;   in Loop: Header=BB4_130 Depth=2
	s_wait_xcnt 0x0
	s_or_b32 exec_lo, exec_lo, s11
	v_sub_nc_u32_e32 v43, v43, v113
	v_add_nc_u64_e32 v[98:99], v[98:99], v[18:19]
	v_add_nc_u64_e32 v[100:101], v[100:101], v[18:19]
	s_delay_alu instid0(VALU_DEP_3)
	v_cmp_lt_i32_e64 s43, 15, v43
	s_and_saveexec_b32 s44, s43
	s_cbranch_execz .LBB4_201
; %bb.199:                              ;   in Loop: Header=BB4_130 Depth=2
	s_add_co_i32 s11, s33, 0x80
	s_mov_b64 s[14:15], 0
	s_mov_b32 s45, s11
	s_mov_b32 s46, -1
.LBB4_200:                              ;   Parent Loop BB4_49 Depth=1
                                        ;     Parent Loop BB4_130 Depth=2
                                        ; =>    This Inner Loop Header: Depth=3
	s_cmp_eq_u32 s14, 1
	s_cselect_b32 vcc_lo, -1, 0
	s_cmp_eq_u32 s14, 0
	v_dual_cndmask_b32 v103, v99, v101 :: v_dual_cndmask_b32 v102, v98, v100
	s_cselect_b32 s11, -1, 0
	s_and_b32 s12, exec_lo, s46
	s_mov_b64 s[14:15], 1
	s_mov_b32 s46, 0
	global_load_b128 v[10:13], v[102:103], off th:TH_LOAD_NT
	s_wait_xcnt 0x0
	v_add_nc_u64_e32 v[102:103], 0x200, v[102:103]
	s_delay_alu instid0(VALU_DEP_1)
	v_dual_cndmask_b32 v99, v99, v103, s11 :: v_dual_cndmask_b32 v98, v98, v102, s11
	v_dual_cndmask_b32 v101, v101, v103 :: v_dual_cndmask_b32 v100, v100, v102
	s_mov_b32 vcc_lo, s12
	s_wait_loadcnt 0x0
	scratch_store_b128 off, v[10:13], s45
	s_wait_xcnt 0x0
	s_mov_b32 s45, s23
	s_cbranch_vccnz .LBB4_200
.LBB4_201:                              ;   in Loop: Header=BB4_130 Depth=2
	s_or_b32 exec_lo, exec_lo, s44
	scratch_load_b128 v[10:13], off, s33 offset:96
	s_wait_loadcnt 0x0
	v_lshlrev_b32_e32 v102, 16, v10
	s_delay_alu instid0(VALU_DEP_1) | instskip(NEXT) | instid1(VALU_DEP_1)
	v_mul_f32_e32 v102, v44, v102
	v_and_b32_e32 v103, 0x7f800000, v102
	s_delay_alu instid0(VALU_DEP_1) | instskip(SKIP_2) | instid1(SALU_CYCLE_1)
	v_cmp_ne_u32_e32 vcc_lo, 0x7f800000, v103
                                        ; implicit-def: $vgpr103
	s_wait_xcnt 0x0
	s_and_saveexec_b32 s11, vcc_lo
	s_xor_b32 s11, exec_lo, s11
; %bb.202:                              ;   in Loop: Header=BB4_130 Depth=2
	v_bfe_u32 v103, v102, 16, 1
	s_delay_alu instid0(VALU_DEP_1)
	v_add3_u32 v103, v102, v103, 0x7fff
                                        ; implicit-def: $vgpr102
; %bb.203:                              ;   in Loop: Header=BB4_130 Depth=2
	s_and_not1_saveexec_b32 s11, s11
; %bb.204:                              ;   in Loop: Header=BB4_130 Depth=2
	v_and_b32_e32 v103, 0xffff, v102
	v_or_b32_e32 v45, 0x10000, v102
	s_delay_alu instid0(VALU_DEP_2) | instskip(NEXT) | instid1(VALU_DEP_2)
	v_cmp_eq_u32_e32 vcc_lo, 0, v103
	v_cndmask_b32_e32 v103, v45, v102, vcc_lo
; %bb.205:                              ;   in Loop: Header=BB4_130 Depth=2
	s_or_b32 exec_lo, exec_lo, s11
	v_and_b32_e32 v10, 0xffff0000, v10
	s_delay_alu instid0(VALU_DEP_1) | instskip(NEXT) | instid1(VALU_DEP_1)
	v_mul_f32_e32 v10, v44, v10
	v_and_b32_e32 v102, 0x7f800000, v10
	s_delay_alu instid0(VALU_DEP_1) | instskip(SKIP_1) | instid1(SALU_CYCLE_1)
	v_cmp_ne_u32_e32 vcc_lo, 0x7f800000, v102
                                        ; implicit-def: $vgpr102
	s_and_saveexec_b32 s11, vcc_lo
	s_xor_b32 s11, exec_lo, s11
; %bb.206:                              ;   in Loop: Header=BB4_130 Depth=2
	v_bfe_u32 v102, v10, 16, 1
	s_delay_alu instid0(VALU_DEP_1)
	v_add3_u32 v102, v10, v102, 0x7fff
                                        ; implicit-def: $vgpr10
; %bb.207:                              ;   in Loop: Header=BB4_130 Depth=2
	s_and_not1_saveexec_b32 s11, s11
; %bb.208:                              ;   in Loop: Header=BB4_130 Depth=2
	v_and_b32_e32 v102, 0xffff, v10
	v_or_b32_e32 v45, 0x10000, v10
	s_delay_alu instid0(VALU_DEP_2) | instskip(NEXT) | instid1(VALU_DEP_2)
	v_cmp_eq_u32_e32 vcc_lo, 0, v102
	v_cndmask_b32_e32 v102, v45, v10, vcc_lo
; %bb.209:                              ;   in Loop: Header=BB4_130 Depth=2
	s_or_b32 exec_lo, exec_lo, s11
	v_lshlrev_b32_e32 v10, 16, v11
	s_mov_b32 s11, exec_lo
                                        ; implicit-def: $vgpr59
	s_delay_alu instid0(VALU_DEP_1) | instskip(NEXT) | instid1(VALU_DEP_1)
	v_mul_f32_e32 v10, v44, v10
	v_and_b32_e32 v45, 0x7f800000, v10
	s_delay_alu instid0(VALU_DEP_1)
	v_cmpx_ne_u32_e32 0x7f800000, v45
	s_xor_b32 s11, exec_lo, s11
; %bb.210:                              ;   in Loop: Header=BB4_130 Depth=2
	v_bfe_u32 v45, v10, 16, 1
	s_delay_alu instid0(VALU_DEP_1)
	v_add3_u32 v59, v10, v45, 0x7fff
                                        ; implicit-def: $vgpr10
; %bb.211:                              ;   in Loop: Header=BB4_130 Depth=2
	s_and_not1_saveexec_b32 s11, s11
; %bb.212:                              ;   in Loop: Header=BB4_130 Depth=2
	v_and_b32_e32 v45, 0xffff, v10
	v_or_b32_e32 v46, 0x10000, v10
	s_delay_alu instid0(VALU_DEP_2) | instskip(NEXT) | instid1(VALU_DEP_2)
	v_cmp_eq_u32_e32 vcc_lo, 0, v45
	v_cndmask_b32_e32 v59, v46, v10, vcc_lo
; %bb.213:                              ;   in Loop: Header=BB4_130 Depth=2
	s_or_b32 exec_lo, exec_lo, s11
	v_and_b32_e32 v10, 0xffff0000, v11
	s_mov_b32 s11, exec_lo
                                        ; implicit-def: $vgpr57
	s_delay_alu instid0(VALU_DEP_1) | instskip(NEXT) | instid1(VALU_DEP_1)
	v_mul_f32_e32 v10, v44, v10
	v_and_b32_e32 v11, 0x7f800000, v10
	s_delay_alu instid0(VALU_DEP_1)
	v_cmpx_ne_u32_e32 0x7f800000, v11
	s_xor_b32 s11, exec_lo, s11
; %bb.214:                              ;   in Loop: Header=BB4_130 Depth=2
	v_bfe_u32 v11, v10, 16, 1
	s_delay_alu instid0(VALU_DEP_1)
	v_add3_u32 v57, v10, v11, 0x7fff
                                        ; implicit-def: $vgpr10
; %bb.215:                              ;   in Loop: Header=BB4_130 Depth=2
	s_and_not1_saveexec_b32 s11, s11
; %bb.216:                              ;   in Loop: Header=BB4_130 Depth=2
	v_and_b32_e32 v11, 0xffff, v10
	v_or_b32_e32 v45, 0x10000, v10
	s_delay_alu instid0(VALU_DEP_2) | instskip(NEXT) | instid1(VALU_DEP_2)
	v_cmp_eq_u32_e32 vcc_lo, 0, v11
	v_cndmask_b32_e32 v57, v45, v10, vcc_lo
; %bb.217:                              ;   in Loop: Header=BB4_130 Depth=2
	s_or_b32 exec_lo, exec_lo, s11
	v_lshlrev_b32_e32 v10, 16, v12
	s_mov_b32 s11, exec_lo
                                        ; implicit-def: $vgpr58
	s_delay_alu instid0(VALU_DEP_1) | instskip(NEXT) | instid1(VALU_DEP_1)
	v_mul_f32_e32 v10, v44, v10
	v_and_b32_e32 v11, 0x7f800000, v10
	s_delay_alu instid0(VALU_DEP_1)
	v_cmpx_ne_u32_e32 0x7f800000, v11
	s_xor_b32 s11, exec_lo, s11
; %bb.218:                              ;   in Loop: Header=BB4_130 Depth=2
	v_bfe_u32 v11, v10, 16, 1
	s_delay_alu instid0(VALU_DEP_1)
	v_add3_u32 v58, v10, v11, 0x7fff
                                        ; implicit-def: $vgpr10
; %bb.219:                              ;   in Loop: Header=BB4_130 Depth=2
	s_and_not1_saveexec_b32 s11, s11
; %bb.220:                              ;   in Loop: Header=BB4_130 Depth=2
	v_and_b32_e32 v11, 0xffff, v10
	v_or_b32_e32 v45, 0x10000, v10
	s_delay_alu instid0(VALU_DEP_2) | instskip(NEXT) | instid1(VALU_DEP_2)
	v_cmp_eq_u32_e32 vcc_lo, 0, v11
	v_cndmask_b32_e32 v58, v45, v10, vcc_lo
; %bb.221:                              ;   in Loop: Header=BB4_130 Depth=2
	s_or_b32 exec_lo, exec_lo, s11
	v_and_b32_e32 v10, 0xffff0000, v12
	s_mov_b32 s11, exec_lo
                                        ; implicit-def: $vgpr47
	s_delay_alu instid0(VALU_DEP_1) | instskip(NEXT) | instid1(VALU_DEP_1)
	v_mul_f32_e32 v10, v44, v10
	v_and_b32_e32 v11, 0x7f800000, v10
	s_delay_alu instid0(VALU_DEP_1)
	v_cmpx_ne_u32_e32 0x7f800000, v11
	s_xor_b32 s11, exec_lo, s11
; %bb.222:                              ;   in Loop: Header=BB4_130 Depth=2
	v_bfe_u32 v11, v10, 16, 1
	s_delay_alu instid0(VALU_DEP_1)
	v_add3_u32 v47, v10, v11, 0x7fff
                                        ; implicit-def: $vgpr10
; %bb.223:                              ;   in Loop: Header=BB4_130 Depth=2
	s_and_not1_saveexec_b32 s11, s11
; %bb.224:                              ;   in Loop: Header=BB4_130 Depth=2
	v_and_b32_e32 v11, 0xffff, v10
	v_or_b32_e32 v12, 0x10000, v10
	s_delay_alu instid0(VALU_DEP_2) | instskip(NEXT) | instid1(VALU_DEP_2)
	v_cmp_eq_u32_e32 vcc_lo, 0, v11
	v_cndmask_b32_e32 v47, v12, v10, vcc_lo
; %bb.225:                              ;   in Loop: Header=BB4_130 Depth=2
	s_or_b32 exec_lo, exec_lo, s11
	v_lshlrev_b32_e32 v10, 16, v13
	s_mov_b32 s11, exec_lo
                                        ; implicit-def: $vgpr56
	s_delay_alu instid0(VALU_DEP_1) | instskip(NEXT) | instid1(VALU_DEP_1)
	v_mul_f32_e32 v10, v44, v10
	v_and_b32_e32 v11, 0x7f800000, v10
	s_delay_alu instid0(VALU_DEP_1)
	v_cmpx_ne_u32_e32 0x7f800000, v11
	s_xor_b32 s11, exec_lo, s11
; %bb.226:                              ;   in Loop: Header=BB4_130 Depth=2
	v_bfe_u32 v11, v10, 16, 1
	s_delay_alu instid0(VALU_DEP_1)
	v_add3_u32 v56, v10, v11, 0x7fff
                                        ; implicit-def: $vgpr10
; %bb.227:                              ;   in Loop: Header=BB4_130 Depth=2
	s_and_not1_saveexec_b32 s11, s11
; %bb.228:                              ;   in Loop: Header=BB4_130 Depth=2
	v_and_b32_e32 v11, 0xffff, v10
	v_or_b32_e32 v12, 0x10000, v10
	s_delay_alu instid0(VALU_DEP_2) | instskip(NEXT) | instid1(VALU_DEP_2)
	v_cmp_eq_u32_e32 vcc_lo, 0, v11
	v_cndmask_b32_e32 v56, v12, v10, vcc_lo
; %bb.229:                              ;   in Loop: Header=BB4_130 Depth=2
	s_or_b32 exec_lo, exec_lo, s11
	v_and_b32_e32 v10, 0xffff0000, v13
	s_mov_b32 s11, exec_lo
                                        ; implicit-def: $vgpr46
	s_delay_alu instid0(VALU_DEP_1) | instskip(NEXT) | instid1(VALU_DEP_1)
	v_mul_f32_e32 v10, v44, v10
	v_and_b32_e32 v11, 0x7f800000, v10
	s_delay_alu instid0(VALU_DEP_1)
	v_cmpx_ne_u32_e32 0x7f800000, v11
	s_xor_b32 s11, exec_lo, s11
; %bb.230:                              ;   in Loop: Header=BB4_130 Depth=2
	v_bfe_u32 v11, v10, 16, 1
	s_delay_alu instid0(VALU_DEP_1)
	v_add3_u32 v46, v10, v11, 0x7fff
                                        ; implicit-def: $vgpr10
; %bb.231:                              ;   in Loop: Header=BB4_130 Depth=2
	s_and_not1_saveexec_b32 s11, s11
; %bb.232:                              ;   in Loop: Header=BB4_130 Depth=2
	v_and_b32_e32 v11, 0xffff, v10
	v_or_b32_e32 v12, 0x10000, v10
	s_delay_alu instid0(VALU_DEP_2) | instskip(NEXT) | instid1(VALU_DEP_2)
	v_cmp_eq_u32_e32 vcc_lo, 0, v11
	v_cndmask_b32_e32 v46, v12, v10, vcc_lo
; %bb.233:                              ;   in Loop: Header=BB4_130 Depth=2
	s_or_b32 exec_lo, exec_lo, s11
	scratch_load_b128 v[10:13], off, s33 offset:112
	v_and_b32_e32 v103, 0xffff0000, v103
	s_wait_loadcnt 0x0
	v_lshlrev_b32_e32 v45, 16, v10
	s_delay_alu instid0(VALU_DEP_1) | instskip(NEXT) | instid1(VALU_DEP_1)
	v_add_f32_e32 v103, v103, v45
	v_and_b32_e32 v45, 0x7f800000, v103
	s_delay_alu instid0(VALU_DEP_1) | instskip(SKIP_2) | instid1(SALU_CYCLE_1)
	v_cmp_ne_u32_e32 vcc_lo, 0x7f800000, v45
                                        ; implicit-def: $vgpr45
	s_wait_xcnt 0x0
	s_and_saveexec_b32 s11, vcc_lo
	s_xor_b32 s11, exec_lo, s11
; %bb.234:                              ;   in Loop: Header=BB4_130 Depth=2
	v_bfe_u32 v45, v103, 16, 1
	s_delay_alu instid0(VALU_DEP_1)
	v_add3_u32 v45, v103, v45, 0x7fff
                                        ; implicit-def: $vgpr103
; %bb.235:                              ;   in Loop: Header=BB4_130 Depth=2
	s_and_not1_saveexec_b32 s11, s11
; %bb.236:                              ;   in Loop: Header=BB4_130 Depth=2
	v_and_b32_e32 v45, 0xffff, v103
	v_or_b32_e32 v60, 0x10000, v103
	s_delay_alu instid0(VALU_DEP_2) | instskip(NEXT) | instid1(VALU_DEP_2)
	v_cmp_eq_u32_e32 vcc_lo, 0, v45
	v_cndmask_b32_e32 v45, v60, v103, vcc_lo
; %bb.237:                              ;   in Loop: Header=BB4_130 Depth=2
	s_or_b32 exec_lo, exec_lo, s11
	v_and_b32_e32 v103, 0xffff0000, v10
	v_and_b32_e32 v102, 0xffff0000, v102
	s_delay_alu instid0(VALU_DEP_2) | instskip(NEXT) | instid1(VALU_DEP_1)
	v_mov_b32_e32 v10, v103
	v_pk_add_f32 v[102:103], v[10:11], v[102:103]
	s_delay_alu instid0(VALU_DEP_1) | instskip(NEXT) | instid1(VALU_DEP_1)
	v_and_b32_e32 v10, 0x7f800000, v102
	v_cmp_ne_u32_e32 vcc_lo, 0x7f800000, v10
                                        ; implicit-def: $vgpr10
	s_and_saveexec_b32 s11, vcc_lo
	s_delay_alu instid0(SALU_CYCLE_1)
	s_xor_b32 s11, exec_lo, s11
; %bb.238:                              ;   in Loop: Header=BB4_130 Depth=2
	v_bfe_u32 v10, v102, 16, 1
	s_delay_alu instid0(VALU_DEP_1)
	v_add3_u32 v10, v102, v10, 0x7fff
                                        ; implicit-def: $vgpr102_vgpr103
; %bb.239:                              ;   in Loop: Header=BB4_130 Depth=2
	s_and_not1_saveexec_b32 s11, s11
; %bb.240:                              ;   in Loop: Header=BB4_130 Depth=2
	v_and_b32_e32 v10, 0xffff, v102
	v_or_b32_e32 v103, 0x10000, v102
	s_delay_alu instid0(VALU_DEP_2) | instskip(NEXT) | instid1(VALU_DEP_2)
	v_cmp_eq_u32_e32 vcc_lo, 0, v10
	v_cndmask_b32_e32 v10, v103, v102, vcc_lo
; %bb.241:                              ;   in Loop: Header=BB4_130 Depth=2
	s_or_b32 exec_lo, exec_lo, s11
	v_and_b32_e32 v102, 0xffff0000, v59
	v_lshlrev_b32_e32 v103, 16, v11
	s_delay_alu instid0(VALU_DEP_1) | instskip(NEXT) | instid1(VALU_DEP_1)
	v_add_f32_e32 v103, v102, v103
	v_and_b32_e32 v102, 0x7f800000, v103
	s_delay_alu instid0(VALU_DEP_1) | instskip(SKIP_1) | instid1(SALU_CYCLE_1)
	v_cmp_ne_u32_e32 vcc_lo, 0x7f800000, v102
                                        ; implicit-def: $vgpr102
	s_and_saveexec_b32 s11, vcc_lo
	s_xor_b32 s11, exec_lo, s11
; %bb.242:                              ;   in Loop: Header=BB4_130 Depth=2
	v_bfe_u32 v102, v103, 16, 1
	s_delay_alu instid0(VALU_DEP_1)
	v_add3_u32 v102, v103, v102, 0x7fff
                                        ; implicit-def: $vgpr103
; %bb.243:                              ;   in Loop: Header=BB4_130 Depth=2
	s_and_not1_saveexec_b32 s11, s11
; %bb.244:                              ;   in Loop: Header=BB4_130 Depth=2
	v_and_b32_e32 v102, 0xffff, v103
	v_or_b32_e32 v59, 0x10000, v103
	s_delay_alu instid0(VALU_DEP_2) | instskip(NEXT) | instid1(VALU_DEP_2)
	v_cmp_eq_u32_e32 vcc_lo, 0, v102
	v_cndmask_b32_e32 v102, v59, v103, vcc_lo
; %bb.245:                              ;   in Loop: Header=BB4_130 Depth=2
	s_or_b32 exec_lo, exec_lo, s11
	v_and_b32_e32 v11, 0xffff0000, v11
	v_and_b32_e32 v103, 0xffff0000, v57
	s_delay_alu instid0(VALU_DEP_1) | instskip(NEXT) | instid1(VALU_DEP_1)
	v_add_f32_e32 v103, v103, v11
	v_and_b32_e32 v11, 0x7f800000, v103
	s_delay_alu instid0(VALU_DEP_1) | instskip(SKIP_1) | instid1(SALU_CYCLE_1)
	v_cmp_ne_u32_e32 vcc_lo, 0x7f800000, v11
                                        ; implicit-def: $vgpr11
	s_and_saveexec_b32 s11, vcc_lo
	s_xor_b32 s11, exec_lo, s11
; %bb.246:                              ;   in Loop: Header=BB4_130 Depth=2
	v_bfe_u32 v11, v103, 16, 1
	s_delay_alu instid0(VALU_DEP_1)
	v_add3_u32 v11, v103, v11, 0x7fff
                                        ; implicit-def: $vgpr103
; %bb.247:                              ;   in Loop: Header=BB4_130 Depth=2
	s_and_not1_saveexec_b32 s11, s11
; %bb.248:                              ;   in Loop: Header=BB4_130 Depth=2
	v_and_b32_e32 v11, 0xffff, v103
	v_or_b32_e32 v57, 0x10000, v103
	s_delay_alu instid0(VALU_DEP_2) | instskip(NEXT) | instid1(VALU_DEP_2)
	v_cmp_eq_u32_e32 vcc_lo, 0, v11
	v_cndmask_b32_e32 v11, v57, v103, vcc_lo
; %bb.249:                              ;   in Loop: Header=BB4_130 Depth=2
	s_or_b32 exec_lo, exec_lo, s11
	v_and_b32_e32 v103, 0xffff0000, v58
	v_lshlrev_b32_e32 v57, 16, v12
	s_delay_alu instid0(VALU_DEP_1) | instskip(NEXT) | instid1(VALU_DEP_1)
	v_add_f32_e32 v57, v103, v57
	v_and_b32_e32 v103, 0x7f800000, v57
	s_delay_alu instid0(VALU_DEP_1) | instskip(SKIP_1) | instid1(SALU_CYCLE_1)
	v_cmp_ne_u32_e32 vcc_lo, 0x7f800000, v103
                                        ; implicit-def: $vgpr103
	s_and_saveexec_b32 s11, vcc_lo
	s_xor_b32 s11, exec_lo, s11
; %bb.250:                              ;   in Loop: Header=BB4_130 Depth=2
	v_bfe_u32 v103, v57, 16, 1
	s_delay_alu instid0(VALU_DEP_1)
	v_add3_u32 v103, v57, v103, 0x7fff
                                        ; implicit-def: $vgpr57
; %bb.251:                              ;   in Loop: Header=BB4_130 Depth=2
	s_and_not1_saveexec_b32 s11, s11
; %bb.252:                              ;   in Loop: Header=BB4_130 Depth=2
	v_and_b32_e32 v103, 0xffff, v57
	v_or_b32_e32 v58, 0x10000, v57
	s_delay_alu instid0(VALU_DEP_2) | instskip(NEXT) | instid1(VALU_DEP_2)
	v_cmp_eq_u32_e32 vcc_lo, 0, v103
	v_cndmask_b32_e32 v103, v58, v57, vcc_lo
; %bb.253:                              ;   in Loop: Header=BB4_130 Depth=2
	s_or_b32 exec_lo, exec_lo, s11
	v_and_b32_e32 v12, 0xffff0000, v12
	v_and_b32_e32 v47, 0xffff0000, v47
	s_delay_alu instid0(VALU_DEP_1) | instskip(NEXT) | instid1(VALU_DEP_1)
	v_add_f32_e32 v47, v47, v12
	v_and_b32_e32 v12, 0x7f800000, v47
	s_delay_alu instid0(VALU_DEP_1) | instskip(SKIP_1) | instid1(SALU_CYCLE_1)
	v_cmp_ne_u32_e32 vcc_lo, 0x7f800000, v12
                                        ; implicit-def: $vgpr12
	s_and_saveexec_b32 s11, vcc_lo
	s_xor_b32 s11, exec_lo, s11
; %bb.254:                              ;   in Loop: Header=BB4_130 Depth=2
	v_bfe_u32 v12, v47, 16, 1
	s_delay_alu instid0(VALU_DEP_1)
	v_add3_u32 v12, v47, v12, 0x7fff
                                        ; implicit-def: $vgpr47
; %bb.255:                              ;   in Loop: Header=BB4_130 Depth=2
	s_and_not1_saveexec_b32 s11, s11
; %bb.256:                              ;   in Loop: Header=BB4_130 Depth=2
	v_and_b32_e32 v12, 0xffff, v47
	v_or_b32_e32 v57, 0x10000, v47
	s_delay_alu instid0(VALU_DEP_2) | instskip(NEXT) | instid1(VALU_DEP_2)
	v_cmp_eq_u32_e32 vcc_lo, 0, v12
	v_cndmask_b32_e32 v12, v57, v47, vcc_lo
; %bb.257:                              ;   in Loop: Header=BB4_130 Depth=2
	s_or_b32 exec_lo, exec_lo, s11
	v_and_b32_e32 v47, 0xffff0000, v56
	v_lshlrev_b32_e32 v56, 16, v13
	s_delay_alu instid0(VALU_DEP_1) | instskip(NEXT) | instid1(VALU_DEP_1)
	v_add_f32_e32 v56, v47, v56
	v_and_b32_e32 v47, 0x7f800000, v56
	s_delay_alu instid0(VALU_DEP_1) | instskip(SKIP_1) | instid1(SALU_CYCLE_1)
	v_cmp_ne_u32_e32 vcc_lo, 0x7f800000, v47
                                        ; implicit-def: $vgpr47
	s_and_saveexec_b32 s11, vcc_lo
	s_xor_b32 s11, exec_lo, s11
; %bb.258:                              ;   in Loop: Header=BB4_130 Depth=2
	v_bfe_u32 v47, v56, 16, 1
	s_delay_alu instid0(VALU_DEP_1)
	v_add3_u32 v47, v56, v47, 0x7fff
                                        ; implicit-def: $vgpr56
; %bb.259:                              ;   in Loop: Header=BB4_130 Depth=2
	s_and_not1_saveexec_b32 s11, s11
; %bb.260:                              ;   in Loop: Header=BB4_130 Depth=2
	v_and_b32_e32 v47, 0xffff, v56
	v_or_b32_e32 v57, 0x10000, v56
	s_delay_alu instid0(VALU_DEP_2) | instskip(NEXT) | instid1(VALU_DEP_2)
	v_cmp_eq_u32_e32 vcc_lo, 0, v47
	v_cndmask_b32_e32 v47, v57, v56, vcc_lo
; %bb.261:                              ;   in Loop: Header=BB4_130 Depth=2
	s_or_b32 exec_lo, exec_lo, s11
	v_and_b32_e32 v13, 0xffff0000, v13
	v_and_b32_e32 v46, 0xffff0000, v46
	s_delay_alu instid0(VALU_DEP_1) | instskip(NEXT) | instid1(VALU_DEP_1)
	v_add_f32_e32 v46, v46, v13
	v_and_b32_e32 v13, 0x7f800000, v46
	s_delay_alu instid0(VALU_DEP_1) | instskip(SKIP_1) | instid1(SALU_CYCLE_1)
	v_cmp_ne_u32_e32 vcc_lo, 0x7f800000, v13
                                        ; implicit-def: $vgpr13
	s_and_saveexec_b32 s11, vcc_lo
	s_xor_b32 s11, exec_lo, s11
; %bb.262:                              ;   in Loop: Header=BB4_130 Depth=2
	v_bfe_u32 v13, v46, 16, 1
	s_delay_alu instid0(VALU_DEP_1)
	v_add3_u32 v13, v46, v13, 0x7fff
                                        ; implicit-def: $vgpr46
; %bb.263:                              ;   in Loop: Header=BB4_130 Depth=2
	s_and_not1_saveexec_b32 s11, s11
; %bb.264:                              ;   in Loop: Header=BB4_130 Depth=2
	v_and_b32_e32 v13, 0xffff, v46
	v_or_b32_e32 v56, 0x10000, v46
	s_delay_alu instid0(VALU_DEP_2) | instskip(NEXT) | instid1(VALU_DEP_2)
	v_cmp_eq_u32_e32 vcc_lo, 0, v13
	v_cndmask_b32_e32 v13, v56, v46, vcc_lo
; %bb.265:                              ;   in Loop: Header=BB4_130 Depth=2
	s_or_b32 exec_lo, exec_lo, s11
	v_dual_lshrrev_b32 v102, 16, v102 :: v_dual_lshrrev_b32 v45, 16, v45
	v_dual_lshrrev_b32 v103, 16, v103 :: v_dual_sub_nc_u32 v41, v41, v16
	v_lshrrev_b32_e32 v46, 16, v47
	s_delay_alu instid0(VALU_DEP_3) | instskip(NEXT) | instid1(VALU_DEP_4)
	v_and_or_b32 v11, 0xffff0000, v11, v102
	v_and_or_b32 v10, 0xffff0000, v10, v45
	s_delay_alu instid0(VALU_DEP_4) | instskip(NEXT) | instid1(VALU_DEP_4)
	v_and_or_b32 v12, 0xffff0000, v12, v103
	v_and_or_b32 v13, 0xffff0000, v13, v46
	global_store_b128 v[96:97], v[10:13], off th:TH_STORE_NT
	s_wait_xcnt 0x0
	v_add_nc_u64_e32 v[96:97], 0x200, v[96:97]
	scratch_store_b128 off, v[10:13], s33 offset:96
	s_wait_xcnt 0x0
	s_and_saveexec_b32 s11, s43
	s_cbranch_execz .LBB4_129
; %bb.266:                              ;   in Loop: Header=BB4_130 Depth=2
	v_add_nc_u64_e32 v[98:99], v[98:99], v[18:19]
	v_add_nc_u64_e32 v[100:101], v[100:101], v[18:19]
	;; [unrolled: 1-line block ×3, first 2 shown]
	v_dual_sub_nc_u32 v43, v43, v113 :: v_dual_sub_nc_u32 v41, v41, v16
	s_branch .LBB4_129
.LBB4_267:                              ;   in Loop: Header=BB4_49 Depth=1
	v_dual_mov_b32 v10, v0 :: v_dual_mov_b32 v101, v112
	s_and_saveexec_b32 s14, s13
	s_cbranch_execnz .LBB4_547
	s_branch .LBB4_690
.LBB4_268:                              ;   in Loop: Header=BB4_49 Depth=1
	s_or_b32 exec_lo, exec_lo, s41
	s_delay_alu instid0(SALU_CYCLE_1)
	s_and_b32 s12, s42, exec_lo
.LBB4_269:                              ;   in Loop: Header=BB4_49 Depth=1
	s_or_b32 exec_lo, exec_lo, s40
	s_and_saveexec_b32 s11, s12
	s_cbranch_execz .LBB4_335
; %bb.270:                              ;   in Loop: Header=BB4_49 Depth=1
	s_trap 2
	scratch_load_b128 v[10:13], off, s33 offset:128
	ds_load_b32 v98, v0
	s_wait_dscnt 0x0
	v_lshlrev_b32_e32 v100, 16, v98
	s_wait_loadcnt 0x0
	v_lshlrev_b32_e32 v98, 16, v10
	s_delay_alu instid0(VALU_DEP_1) | instskip(NEXT) | instid1(VALU_DEP_1)
	v_mul_f32_e32 v98, v100, v98
	v_and_b32_e32 v99, 0x7f800000, v98
	s_delay_alu instid0(VALU_DEP_1) | instskip(SKIP_2) | instid1(SALU_CYCLE_1)
	v_cmp_ne_u32_e32 vcc_lo, 0x7f800000, v99
                                        ; implicit-def: $vgpr99
	s_wait_xcnt 0x0
	s_and_saveexec_b32 s12, vcc_lo
	s_xor_b32 s12, exec_lo, s12
; %bb.271:                              ;   in Loop: Header=BB4_49 Depth=1
	v_bfe_u32 v99, v98, 16, 1
	s_delay_alu instid0(VALU_DEP_1)
	v_add3_u32 v99, v98, v99, 0x7fff
                                        ; implicit-def: $vgpr98
; %bb.272:                              ;   in Loop: Header=BB4_49 Depth=1
	s_and_not1_saveexec_b32 s12, s12
; %bb.273:                              ;   in Loop: Header=BB4_49 Depth=1
	v_and_b32_e32 v99, 0xffff, v98
	v_or_b32_e32 v101, 0x10000, v98
	s_delay_alu instid0(VALU_DEP_2) | instskip(NEXT) | instid1(VALU_DEP_2)
	v_cmp_eq_u32_e32 vcc_lo, 0, v99
	v_cndmask_b32_e32 v99, v101, v98, vcc_lo
; %bb.274:                              ;   in Loop: Header=BB4_49 Depth=1
	s_or_b32 exec_lo, exec_lo, s12
	v_and_b32_e32 v10, 0xffff0000, v10
	s_delay_alu instid0(VALU_DEP_1) | instskip(NEXT) | instid1(VALU_DEP_1)
	v_mul_f32_e32 v10, v100, v10
	v_and_b32_e32 v98, 0x7f800000, v10
	s_delay_alu instid0(VALU_DEP_1) | instskip(SKIP_1) | instid1(SALU_CYCLE_1)
	v_cmp_ne_u32_e32 vcc_lo, 0x7f800000, v98
                                        ; implicit-def: $vgpr98
	s_and_saveexec_b32 s12, vcc_lo
	s_xor_b32 s12, exec_lo, s12
; %bb.275:                              ;   in Loop: Header=BB4_49 Depth=1
	v_bfe_u32 v98, v10, 16, 1
	s_delay_alu instid0(VALU_DEP_1)
	v_add3_u32 v98, v10, v98, 0x7fff
                                        ; implicit-def: $vgpr10
; %bb.276:                              ;   in Loop: Header=BB4_49 Depth=1
	s_and_not1_saveexec_b32 s12, s12
; %bb.277:                              ;   in Loop: Header=BB4_49 Depth=1
	v_and_b32_e32 v98, 0xffff, v10
	v_or_b32_e32 v101, 0x10000, v10
	s_delay_alu instid0(VALU_DEP_2) | instskip(NEXT) | instid1(VALU_DEP_2)
	v_cmp_eq_u32_e32 vcc_lo, 0, v98
	v_cndmask_b32_e32 v98, v101, v10, vcc_lo
; %bb.278:                              ;   in Loop: Header=BB4_49 Depth=1
	s_or_b32 exec_lo, exec_lo, s12
	v_lshlrev_b32_e32 v10, 16, v11
	s_mov_b32 s12, exec_lo
                                        ; implicit-def: $vgpr45
	s_delay_alu instid0(VALU_DEP_1) | instskip(NEXT) | instid1(VALU_DEP_1)
	v_mul_f32_e32 v10, v100, v10
	v_and_b32_e32 v101, 0x7f800000, v10
	s_delay_alu instid0(VALU_DEP_1)
	v_cmpx_ne_u32_e32 0x7f800000, v101
	s_xor_b32 s12, exec_lo, s12
; %bb.279:                              ;   in Loop: Header=BB4_49 Depth=1
	v_bfe_u32 v101, v10, 16, 1
	s_delay_alu instid0(VALU_DEP_1)
	v_add3_u32 v45, v10, v101, 0x7fff
                                        ; implicit-def: $vgpr10
; %bb.280:                              ;   in Loop: Header=BB4_49 Depth=1
	s_and_not1_saveexec_b32 s12, s12
; %bb.281:                              ;   in Loop: Header=BB4_49 Depth=1
	v_and_b32_e32 v101, 0xffff, v10
	v_or_b32_e32 v102, 0x10000, v10
	s_delay_alu instid0(VALU_DEP_2) | instskip(NEXT) | instid1(VALU_DEP_2)
	v_cmp_eq_u32_e32 vcc_lo, 0, v101
	v_cndmask_b32_e32 v45, v102, v10, vcc_lo
; %bb.282:                              ;   in Loop: Header=BB4_49 Depth=1
	s_or_b32 exec_lo, exec_lo, s12
	v_and_b32_e32 v10, 0xffff0000, v11
	s_mov_b32 s12, exec_lo
                                        ; implicit-def: $vgpr43
	s_delay_alu instid0(VALU_DEP_1) | instskip(NEXT) | instid1(VALU_DEP_1)
	v_mul_f32_e32 v10, v100, v10
	v_and_b32_e32 v11, 0x7f800000, v10
	s_delay_alu instid0(VALU_DEP_1)
	v_cmpx_ne_u32_e32 0x7f800000, v11
	s_xor_b32 s12, exec_lo, s12
; %bb.283:                              ;   in Loop: Header=BB4_49 Depth=1
	v_bfe_u32 v11, v10, 16, 1
	s_delay_alu instid0(VALU_DEP_1)
	v_add3_u32 v43, v10, v11, 0x7fff
                                        ; implicit-def: $vgpr10
; %bb.284:                              ;   in Loop: Header=BB4_49 Depth=1
	s_and_not1_saveexec_b32 s12, s12
; %bb.285:                              ;   in Loop: Header=BB4_49 Depth=1
	v_and_b32_e32 v11, 0xffff, v10
	v_or_b32_e32 v101, 0x10000, v10
	s_delay_alu instid0(VALU_DEP_2) | instskip(NEXT) | instid1(VALU_DEP_2)
	v_cmp_eq_u32_e32 vcc_lo, 0, v11
	v_cndmask_b32_e32 v43, v101, v10, vcc_lo
; %bb.286:                              ;   in Loop: Header=BB4_49 Depth=1
	s_or_b32 exec_lo, exec_lo, s12
	v_lshlrev_b32_e32 v10, 16, v12
	s_mov_b32 s12, exec_lo
                                        ; implicit-def: $vgpr44
	s_delay_alu instid0(VALU_DEP_1) | instskip(NEXT) | instid1(VALU_DEP_1)
	v_mul_f32_e32 v10, v100, v10
	v_and_b32_e32 v11, 0x7f800000, v10
	s_delay_alu instid0(VALU_DEP_1)
	v_cmpx_ne_u32_e32 0x7f800000, v11
	s_xor_b32 s12, exec_lo, s12
; %bb.287:                              ;   in Loop: Header=BB4_49 Depth=1
	v_bfe_u32 v11, v10, 16, 1
	s_delay_alu instid0(VALU_DEP_1)
	v_add3_u32 v44, v10, v11, 0x7fff
                                        ; implicit-def: $vgpr10
; %bb.288:                              ;   in Loop: Header=BB4_49 Depth=1
	s_and_not1_saveexec_b32 s12, s12
; %bb.289:                              ;   in Loop: Header=BB4_49 Depth=1
	v_and_b32_e32 v11, 0xffff, v10
	v_or_b32_e32 v101, 0x10000, v10
	s_delay_alu instid0(VALU_DEP_2) | instskip(NEXT) | instid1(VALU_DEP_2)
	v_cmp_eq_u32_e32 vcc_lo, 0, v11
	v_cndmask_b32_e32 v44, v101, v10, vcc_lo
; %bb.290:                              ;   in Loop: Header=BB4_49 Depth=1
	s_or_b32 exec_lo, exec_lo, s12
	v_and_b32_e32 v10, 0xffff0000, v12
	s_mov_b32 s12, exec_lo
                                        ; implicit-def: $vgpr102
	s_delay_alu instid0(VALU_DEP_1) | instskip(NEXT) | instid1(VALU_DEP_1)
	v_mul_f32_e32 v10, v100, v10
	v_and_b32_e32 v11, 0x7f800000, v10
	s_delay_alu instid0(VALU_DEP_1)
	v_cmpx_ne_u32_e32 0x7f800000, v11
	s_xor_b32 s12, exec_lo, s12
; %bb.291:                              ;   in Loop: Header=BB4_49 Depth=1
	v_bfe_u32 v11, v10, 16, 1
	s_delay_alu instid0(VALU_DEP_1)
	v_add3_u32 v102, v10, v11, 0x7fff
                                        ; implicit-def: $vgpr10
; %bb.292:                              ;   in Loop: Header=BB4_49 Depth=1
	s_and_not1_saveexec_b32 s12, s12
; %bb.293:                              ;   in Loop: Header=BB4_49 Depth=1
	v_and_b32_e32 v11, 0xffff, v10
	v_or_b32_e32 v12, 0x10000, v10
	s_delay_alu instid0(VALU_DEP_2) | instskip(NEXT) | instid1(VALU_DEP_2)
	v_cmp_eq_u32_e32 vcc_lo, 0, v11
	v_cndmask_b32_e32 v102, v12, v10, vcc_lo
; %bb.294:                              ;   in Loop: Header=BB4_49 Depth=1
	s_or_b32 exec_lo, exec_lo, s12
	v_lshlrev_b32_e32 v10, 16, v13
	s_mov_b32 s12, exec_lo
                                        ; implicit-def: $vgpr103
	s_delay_alu instid0(VALU_DEP_1) | instskip(NEXT) | instid1(VALU_DEP_1)
	v_mul_f32_e32 v10, v100, v10
	v_and_b32_e32 v11, 0x7f800000, v10
	s_delay_alu instid0(VALU_DEP_1)
	v_cmpx_ne_u32_e32 0x7f800000, v11
	s_xor_b32 s12, exec_lo, s12
; %bb.295:                              ;   in Loop: Header=BB4_49 Depth=1
	v_bfe_u32 v11, v10, 16, 1
	s_delay_alu instid0(VALU_DEP_1)
	v_add3_u32 v103, v10, v11, 0x7fff
                                        ; implicit-def: $vgpr10
; %bb.296:                              ;   in Loop: Header=BB4_49 Depth=1
	s_and_not1_saveexec_b32 s12, s12
; %bb.297:                              ;   in Loop: Header=BB4_49 Depth=1
	v_and_b32_e32 v11, 0xffff, v10
	v_or_b32_e32 v12, 0x10000, v10
	s_delay_alu instid0(VALU_DEP_2) | instskip(NEXT) | instid1(VALU_DEP_2)
	v_cmp_eq_u32_e32 vcc_lo, 0, v11
	v_cndmask_b32_e32 v103, v12, v10, vcc_lo
; %bb.298:                              ;   in Loop: Header=BB4_49 Depth=1
	s_or_b32 exec_lo, exec_lo, s12
	v_and_b32_e32 v10, 0xffff0000, v13
	s_mov_b32 s12, exec_lo
	s_delay_alu instid0(VALU_DEP_1) | instskip(NEXT) | instid1(VALU_DEP_1)
	v_mul_f32_e32 v10, v100, v10
                                        ; implicit-def: $vgpr100
	v_and_b32_e32 v11, 0x7f800000, v10
	s_delay_alu instid0(VALU_DEP_1)
	v_cmpx_ne_u32_e32 0x7f800000, v11
	s_xor_b32 s12, exec_lo, s12
; %bb.299:                              ;   in Loop: Header=BB4_49 Depth=1
	v_bfe_u32 v11, v10, 16, 1
	s_delay_alu instid0(VALU_DEP_1)
	v_add3_u32 v100, v10, v11, 0x7fff
                                        ; implicit-def: $vgpr10
; %bb.300:                              ;   in Loop: Header=BB4_49 Depth=1
	s_and_not1_saveexec_b32 s12, s12
; %bb.301:                              ;   in Loop: Header=BB4_49 Depth=1
	v_and_b32_e32 v11, 0xffff, v10
	v_or_b32_e32 v12, 0x10000, v10
	s_delay_alu instid0(VALU_DEP_2) | instskip(NEXT) | instid1(VALU_DEP_2)
	v_cmp_eq_u32_e32 vcc_lo, 0, v11
	v_cndmask_b32_e32 v100, v12, v10, vcc_lo
; %bb.302:                              ;   in Loop: Header=BB4_49 Depth=1
	s_or_b32 exec_lo, exec_lo, s12
	scratch_load_b128 v[10:13], off, s33 offset:144
	v_and_b32_e32 v99, 0xffff0000, v99
	s_wait_loadcnt 0x0
	v_lshlrev_b32_e32 v101, 16, v10
	s_delay_alu instid0(VALU_DEP_1) | instskip(NEXT) | instid1(VALU_DEP_1)
	v_add_f32_e32 v99, v99, v101
	v_and_b32_e32 v101, 0x7f800000, v99
	s_delay_alu instid0(VALU_DEP_1) | instskip(SKIP_2) | instid1(SALU_CYCLE_1)
	v_cmp_ne_u32_e32 vcc_lo, 0x7f800000, v101
                                        ; implicit-def: $vgpr101
	s_wait_xcnt 0x0
	s_and_saveexec_b32 s12, vcc_lo
	s_xor_b32 s12, exec_lo, s12
; %bb.303:                              ;   in Loop: Header=BB4_49 Depth=1
	v_bfe_u32 v101, v99, 16, 1
	s_delay_alu instid0(VALU_DEP_1)
	v_add3_u32 v101, v99, v101, 0x7fff
                                        ; implicit-def: $vgpr99
; %bb.304:                              ;   in Loop: Header=BB4_49 Depth=1
	s_and_not1_saveexec_b32 s12, s12
; %bb.305:                              ;   in Loop: Header=BB4_49 Depth=1
	v_and_b32_e32 v101, 0xffff, v99
	v_or_b32_e32 v46, 0x10000, v99
	s_delay_alu instid0(VALU_DEP_2) | instskip(NEXT) | instid1(VALU_DEP_2)
	v_cmp_eq_u32_e32 vcc_lo, 0, v101
	v_cndmask_b32_e32 v101, v46, v99, vcc_lo
; %bb.306:                              ;   in Loop: Header=BB4_49 Depth=1
	s_or_b32 exec_lo, exec_lo, s12
	v_and_b32_e32 v99, 0xffff0000, v10
	v_and_b32_e32 v98, 0xffff0000, v98
	s_delay_alu instid0(VALU_DEP_2) | instskip(NEXT) | instid1(VALU_DEP_1)
	v_mov_b32_e32 v10, v99
	v_pk_add_f32 v[98:99], v[10:11], v[98:99]
	s_delay_alu instid0(VALU_DEP_1) | instskip(NEXT) | instid1(VALU_DEP_1)
	v_and_b32_e32 v10, 0x7f800000, v98
	v_cmp_ne_u32_e32 vcc_lo, 0x7f800000, v10
                                        ; implicit-def: $vgpr10
	s_and_saveexec_b32 s12, vcc_lo
	s_delay_alu instid0(SALU_CYCLE_1)
	s_xor_b32 s12, exec_lo, s12
; %bb.307:                              ;   in Loop: Header=BB4_49 Depth=1
	v_bfe_u32 v10, v98, 16, 1
	s_delay_alu instid0(VALU_DEP_1)
	v_add3_u32 v10, v98, v10, 0x7fff
                                        ; implicit-def: $vgpr98_vgpr99
; %bb.308:                              ;   in Loop: Header=BB4_49 Depth=1
	s_and_not1_saveexec_b32 s12, s12
; %bb.309:                              ;   in Loop: Header=BB4_49 Depth=1
	v_and_b32_e32 v10, 0xffff, v98
	v_or_b32_e32 v99, 0x10000, v98
	s_delay_alu instid0(VALU_DEP_2) | instskip(NEXT) | instid1(VALU_DEP_2)
	v_cmp_eq_u32_e32 vcc_lo, 0, v10
	v_cndmask_b32_e32 v10, v99, v98, vcc_lo
; %bb.310:                              ;   in Loop: Header=BB4_49 Depth=1
	s_or_b32 exec_lo, exec_lo, s12
	v_and_b32_e32 v98, 0xffff0000, v45
	v_lshlrev_b32_e32 v99, 16, v11
	s_delay_alu instid0(VALU_DEP_1) | instskip(NEXT) | instid1(VALU_DEP_1)
	v_add_f32_e32 v99, v98, v99
	v_and_b32_e32 v98, 0x7f800000, v99
	s_delay_alu instid0(VALU_DEP_1) | instskip(SKIP_1) | instid1(SALU_CYCLE_1)
	v_cmp_ne_u32_e32 vcc_lo, 0x7f800000, v98
                                        ; implicit-def: $vgpr98
	s_and_saveexec_b32 s12, vcc_lo
	s_xor_b32 s12, exec_lo, s12
; %bb.311:                              ;   in Loop: Header=BB4_49 Depth=1
	v_bfe_u32 v98, v99, 16, 1
	s_delay_alu instid0(VALU_DEP_1)
	v_add3_u32 v98, v99, v98, 0x7fff
                                        ; implicit-def: $vgpr99
; %bb.312:                              ;   in Loop: Header=BB4_49 Depth=1
	s_and_not1_saveexec_b32 s12, s12
; %bb.313:                              ;   in Loop: Header=BB4_49 Depth=1
	v_and_b32_e32 v98, 0xffff, v99
	v_or_b32_e32 v45, 0x10000, v99
	s_delay_alu instid0(VALU_DEP_2) | instskip(NEXT) | instid1(VALU_DEP_2)
	v_cmp_eq_u32_e32 vcc_lo, 0, v98
	v_cndmask_b32_e32 v98, v45, v99, vcc_lo
; %bb.314:                              ;   in Loop: Header=BB4_49 Depth=1
	s_or_b32 exec_lo, exec_lo, s12
	v_and_b32_e32 v11, 0xffff0000, v11
	v_and_b32_e32 v99, 0xffff0000, v43
	s_delay_alu instid0(VALU_DEP_1) | instskip(NEXT) | instid1(VALU_DEP_1)
	v_add_f32_e32 v99, v99, v11
	v_and_b32_e32 v11, 0x7f800000, v99
	s_delay_alu instid0(VALU_DEP_1) | instskip(SKIP_1) | instid1(SALU_CYCLE_1)
	v_cmp_ne_u32_e32 vcc_lo, 0x7f800000, v11
                                        ; implicit-def: $vgpr11
	s_and_saveexec_b32 s12, vcc_lo
	s_xor_b32 s12, exec_lo, s12
; %bb.315:                              ;   in Loop: Header=BB4_49 Depth=1
	v_bfe_u32 v11, v99, 16, 1
	s_delay_alu instid0(VALU_DEP_1)
	v_add3_u32 v11, v99, v11, 0x7fff
                                        ; implicit-def: $vgpr99
; %bb.316:                              ;   in Loop: Header=BB4_49 Depth=1
	s_and_not1_saveexec_b32 s12, s12
; %bb.317:                              ;   in Loop: Header=BB4_49 Depth=1
	v_and_b32_e32 v11, 0xffff, v99
	v_or_b32_e32 v43, 0x10000, v99
	s_delay_alu instid0(VALU_DEP_2) | instskip(NEXT) | instid1(VALU_DEP_2)
	v_cmp_eq_u32_e32 vcc_lo, 0, v11
	v_cndmask_b32_e32 v11, v43, v99, vcc_lo
; %bb.318:                              ;   in Loop: Header=BB4_49 Depth=1
	s_or_b32 exec_lo, exec_lo, s12
	v_and_b32_e32 v99, 0xffff0000, v44
	v_lshlrev_b32_e32 v43, 16, v12
	s_delay_alu instid0(VALU_DEP_1) | instskip(NEXT) | instid1(VALU_DEP_1)
	v_add_f32_e32 v43, v99, v43
	v_and_b32_e32 v99, 0x7f800000, v43
	s_delay_alu instid0(VALU_DEP_1) | instskip(SKIP_1) | instid1(SALU_CYCLE_1)
	v_cmp_ne_u32_e32 vcc_lo, 0x7f800000, v99
                                        ; implicit-def: $vgpr99
	s_and_saveexec_b32 s12, vcc_lo
	s_xor_b32 s12, exec_lo, s12
; %bb.319:                              ;   in Loop: Header=BB4_49 Depth=1
	v_bfe_u32 v99, v43, 16, 1
	s_delay_alu instid0(VALU_DEP_1)
	v_add3_u32 v99, v43, v99, 0x7fff
                                        ; implicit-def: $vgpr43
; %bb.320:                              ;   in Loop: Header=BB4_49 Depth=1
	s_and_not1_saveexec_b32 s12, s12
; %bb.321:                              ;   in Loop: Header=BB4_49 Depth=1
	v_and_b32_e32 v99, 0xffff, v43
	v_or_b32_e32 v44, 0x10000, v43
	s_delay_alu instid0(VALU_DEP_2) | instskip(NEXT) | instid1(VALU_DEP_2)
	v_cmp_eq_u32_e32 vcc_lo, 0, v99
	v_cndmask_b32_e32 v99, v44, v43, vcc_lo
; %bb.322:                              ;   in Loop: Header=BB4_49 Depth=1
	s_or_b32 exec_lo, exec_lo, s12
	v_and_b32_e32 v12, 0xffff0000, v12
	v_and_b32_e32 v102, 0xffff0000, v102
	s_delay_alu instid0(VALU_DEP_1) | instskip(NEXT) | instid1(VALU_DEP_1)
	v_add_f32_e32 v102, v102, v12
	v_and_b32_e32 v12, 0x7f800000, v102
	s_delay_alu instid0(VALU_DEP_1) | instskip(SKIP_1) | instid1(SALU_CYCLE_1)
	v_cmp_ne_u32_e32 vcc_lo, 0x7f800000, v12
                                        ; implicit-def: $vgpr12
	s_and_saveexec_b32 s12, vcc_lo
	s_xor_b32 s12, exec_lo, s12
; %bb.323:                              ;   in Loop: Header=BB4_49 Depth=1
	v_bfe_u32 v12, v102, 16, 1
	s_delay_alu instid0(VALU_DEP_1)
	v_add3_u32 v12, v102, v12, 0x7fff
                                        ; implicit-def: $vgpr102
; %bb.324:                              ;   in Loop: Header=BB4_49 Depth=1
	s_and_not1_saveexec_b32 s12, s12
; %bb.325:                              ;   in Loop: Header=BB4_49 Depth=1
	v_and_b32_e32 v12, 0xffff, v102
	v_or_b32_e32 v43, 0x10000, v102
	s_delay_alu instid0(VALU_DEP_2) | instskip(NEXT) | instid1(VALU_DEP_2)
	v_cmp_eq_u32_e32 vcc_lo, 0, v12
	v_cndmask_b32_e32 v12, v43, v102, vcc_lo
; %bb.326:                              ;   in Loop: Header=BB4_49 Depth=1
	s_or_b32 exec_lo, exec_lo, s12
	v_and_b32_e32 v102, 0xffff0000, v103
	v_lshlrev_b32_e32 v103, 16, v13
	s_delay_alu instid0(VALU_DEP_1) | instskip(NEXT) | instid1(VALU_DEP_1)
	v_add_f32_e32 v103, v102, v103
	v_and_b32_e32 v102, 0x7f800000, v103
	s_delay_alu instid0(VALU_DEP_1) | instskip(SKIP_1) | instid1(SALU_CYCLE_1)
	v_cmp_ne_u32_e32 vcc_lo, 0x7f800000, v102
                                        ; implicit-def: $vgpr102
	s_and_saveexec_b32 s12, vcc_lo
	s_xor_b32 s12, exec_lo, s12
; %bb.327:                              ;   in Loop: Header=BB4_49 Depth=1
	v_bfe_u32 v102, v103, 16, 1
	s_delay_alu instid0(VALU_DEP_1)
	v_add3_u32 v102, v103, v102, 0x7fff
                                        ; implicit-def: $vgpr103
; %bb.328:                              ;   in Loop: Header=BB4_49 Depth=1
	s_and_not1_saveexec_b32 s12, s12
; %bb.329:                              ;   in Loop: Header=BB4_49 Depth=1
	v_and_b32_e32 v102, 0xffff, v103
	v_or_b32_e32 v43, 0x10000, v103
	s_delay_alu instid0(VALU_DEP_2) | instskip(NEXT) | instid1(VALU_DEP_2)
	v_cmp_eq_u32_e32 vcc_lo, 0, v102
	v_cndmask_b32_e32 v102, v43, v103, vcc_lo
; %bb.330:                              ;   in Loop: Header=BB4_49 Depth=1
	s_or_b32 exec_lo, exec_lo, s12
	v_and_b32_e32 v13, 0xffff0000, v13
	v_and_b32_e32 v100, 0xffff0000, v100
	s_delay_alu instid0(VALU_DEP_1) | instskip(NEXT) | instid1(VALU_DEP_1)
	v_add_f32_e32 v100, v100, v13
	v_and_b32_e32 v13, 0x7f800000, v100
	s_delay_alu instid0(VALU_DEP_1) | instskip(SKIP_1) | instid1(SALU_CYCLE_1)
	v_cmp_ne_u32_e32 vcc_lo, 0x7f800000, v13
                                        ; implicit-def: $vgpr13
	s_and_saveexec_b32 s12, vcc_lo
	s_xor_b32 s12, exec_lo, s12
; %bb.331:                              ;   in Loop: Header=BB4_49 Depth=1
	v_bfe_u32 v13, v100, 16, 1
	s_delay_alu instid0(VALU_DEP_1)
	v_add3_u32 v13, v100, v13, 0x7fff
                                        ; implicit-def: $vgpr100
; %bb.332:                              ;   in Loop: Header=BB4_49 Depth=1
	s_and_not1_saveexec_b32 s12, s12
; %bb.333:                              ;   in Loop: Header=BB4_49 Depth=1
	v_and_b32_e32 v13, 0xffff, v100
	v_or_b32_e32 v103, 0x10000, v100
	s_delay_alu instid0(VALU_DEP_2) | instskip(NEXT) | instid1(VALU_DEP_2)
	v_cmp_eq_u32_e32 vcc_lo, 0, v13
	v_cndmask_b32_e32 v13, v103, v100, vcc_lo
; %bb.334:                              ;   in Loop: Header=BB4_49 Depth=1
	s_or_b32 exec_lo, exec_lo, s12
	v_dual_lshrrev_b32 v98, 16, v98 :: v_dual_lshrrev_b32 v100, 16, v101
	v_dual_lshrrev_b32 v99, 16, v99 :: v_dual_lshrrev_b32 v101, 16, v102
	s_delay_alu instid0(VALU_DEP_2) | instskip(NEXT) | instid1(VALU_DEP_3)
	v_and_or_b32 v11, 0xffff0000, v11, v98
	v_and_or_b32 v10, 0xffff0000, v10, v100
	s_delay_alu instid0(VALU_DEP_3) | instskip(NEXT) | instid1(VALU_DEP_4)
	v_and_or_b32 v12, 0xffff0000, v12, v99
	v_and_or_b32 v13, 0xffff0000, v13, v101
	global_store_b128 v[96:97], v[10:13], off th:TH_STORE_NT
.LBB4_335:                              ;   in Loop: Header=BB4_49 Depth=1
	s_wait_xcnt 0x0
	s_or_b32 exec_lo, exec_lo, s11
	v_and_b32_e32 v11, 14, v118
	s_mov_b32 s40, exec_lo
                                        ; implicit-def: $vgpr118
                                        ; implicit-def: $vgpr100
                                        ; implicit-def: $vgpr10
                                        ; implicit-def: $vgpr101
	s_delay_alu instid0(VALU_DEP_1) | instskip(NEXT) | instid1(VALU_DEP_1)
	v_cndmask_b32_e64 v102, v40, v11, s10
	v_cmpx_ne_u32_e32 0, v102
	s_cbranch_execz .LBB4_546
; %bb.336:                              ;   in Loop: Header=BB4_49 Depth=1
	v_cmp_lt_i32_e32 vcc_lo, 0, v41
	s_mov_b32 s12, 0
	s_mov_b32 s41, exec_lo
	v_dual_ashrrev_i32 v96, 31, v102 :: v_dual_sub_nc_u32 v11, v40, v11
	s_delay_alu instid0(VALU_DEP_1) | instskip(NEXT) | instid1(VALU_DEP_1)
	v_dual_cndmask_b32 v10, 0, v16, vcc_lo :: v_dual_cndmask_b32 v11, 0, v11, s10
	v_dual_sub_nc_u32 v10, v10, v41 :: v_dual_add_nc_u32 v103, v11, v119
	s_delay_alu instid0(VALU_DEP_1) | instskip(NEXT) | instid1(VALU_DEP_1)
	v_lshl_or_b32 v10, v10, 5, v112
	v_ashrrev_i32_e32 v12, 31, v10
	s_delay_alu instid0(VALU_DEP_1) | instskip(NEXT) | instid1(VALU_DEP_1)
	v_lshrrev_b32_e32 v12, 27, v12
	v_add_nc_u32_e32 v12, v10, v12
	s_delay_alu instid0(VALU_DEP_1) | instskip(NEXT) | instid1(VALU_DEP_1)
	v_and_b32_e32 v13, 0xffffffe0, v12
	v_dual_sub_nc_u32 v40, v10, v13 :: v_dual_lshrrev_b32 v10, 23, v96
	v_ashrrev_i32_e32 v12, 5, v12
	s_delay_alu instid0(VALU_DEP_2) | instskip(NEXT) | instid1(VALU_DEP_1)
	v_dual_lshlrev_b32 v13, 4, v40 :: v_dual_add_nc_u32 v96, v102, v10
	v_lshl_add_u32 v13, v12, 9, v13
	s_delay_alu instid0(VALU_DEP_2) | instskip(NEXT) | instid1(VALU_DEP_2)
	v_and_b32_e32 v119, 0xfffffe00, v96
	v_dual_ashrrev_i32 v96, 9, v96 :: v_dual_add_nc_u32 v10, v13, v103
	s_delay_alu instid0(VALU_DEP_2) | instskip(NEXT) | instid1(VALU_DEP_2)
	v_dual_sub_nc_u32 v41, v102, v119 :: v_dual_sub_nc_u32 v118, v102, v13
	v_ashrrev_i32_e32 v11, 31, v10
	s_delay_alu instid0(VALU_DEP_2) | instskip(NEXT) | instid1(VALU_DEP_1)
	v_cmp_lt_i32_e64 s10, 15, v41
	v_add_co_ci_u32_e64 v98, null, 0, v96, s10
	s_delay_alu instid0(VALU_DEP_3) | instskip(NEXT) | instid1(VALU_DEP_2)
	v_add_nc_u64_e32 v[96:97], v[10:11], v[84:85]
	v_sub_nc_u32_e32 v43, v98, v12
	v_cmpx_lt_i32_e32 15, v118
	s_cbranch_execz .LBB4_477
; %bb.337:                              ;   in Loop: Header=BB4_49 Depth=1
	s_trap 2
	ds_load_b32 v12, v0
	v_add_nc_u64_e32 v[98:99], v[10:11], v[82:83]
	s_wait_dscnt 0x1
	v_add_nc_u64_e32 v[86:87], v[10:11], v[86:87]
	s_mov_b32 s44, 0
	s_mov_b32 s42, 0
                                        ; implicit-def: $sgpr43
	s_wait_dscnt 0x0
	v_lshlrev_b32_e32 v44, 16, v12
	s_branch .LBB4_339
.LBB4_338:                              ;   in Loop: Header=BB4_339 Depth=2
	s_or_b32 exec_lo, exec_lo, s11
	s_delay_alu instid0(VALU_DEP_1) | instskip(SKIP_3) | instid1(SALU_CYCLE_1)
	v_cmp_gt_i32_e32 vcc_lo, 16, v118
	s_or_b32 s42, vcc_lo, s42
	s_and_not1_b32 s11, s43, exec_lo
	s_and_b32 s12, s44, exec_lo
	s_or_b32 s43, s11, s12
	s_and_not1_b32 exec_lo, exec_lo, s42
	s_cbranch_execz .LBB4_476
.LBB4_339:                              ;   Parent Loop BB4_49 Depth=1
                                        ; =>  This Loop Header: Depth=2
                                        ;       Child Loop BB4_340 Depth 3
                                        ;       Child Loop BB4_409 Depth 3
	s_add_co_i32 s11, s33, 0x60
	s_mov_b64 s[14:15], 0
	s_mov_b32 s45, s11
	s_mov_b32 s46, -1
.LBB4_340:                              ;   Parent Loop BB4_49 Depth=1
                                        ;     Parent Loop BB4_339 Depth=2
                                        ; =>    This Inner Loop Header: Depth=3
	s_cmp_eq_u32 s14, 1
	s_cselect_b32 vcc_lo, -1, 0
	s_cmp_eq_u32 s14, 0
	v_dual_cndmask_b32 v101, v99, v87 :: v_dual_cndmask_b32 v100, v98, v86
	s_cselect_b32 s11, -1, 0
	s_and_b32 s12, exec_lo, s46
	s_mov_b64 s[14:15], 1
	s_mov_b32 s46, 0
	global_load_b128 v[10:13], v[100:101], off th:TH_LOAD_NT
	s_wait_xcnt 0x0
	v_add_nc_u64_e32 v[100:101], 0x200, v[100:101]
	s_delay_alu instid0(VALU_DEP_1)
	v_dual_cndmask_b32 v99, v99, v101, s11 :: v_dual_cndmask_b32 v98, v98, v100, s11
	v_dual_cndmask_b32 v87, v87, v101 :: v_dual_cndmask_b32 v86, v86, v100
	s_mov_b32 vcc_lo, s12
	s_wait_loadcnt 0x0
	scratch_store_b128 off, v[10:13], s45
	s_wait_xcnt 0x0
	s_mov_b32 s45, s26
	s_cbranch_vccnz .LBB4_340
; %bb.341:                              ;   in Loop: Header=BB4_339 Depth=2
	s_and_saveexec_b32 s11, s44
	s_cbranch_execz .LBB4_407
; %bb.342:                              ;   in Loop: Header=BB4_339 Depth=2
	scratch_load_b128 v[10:13], off, s33 offset:128
	s_wait_loadcnt 0x0
	v_lshlrev_b32_e32 v100, 16, v10
	s_delay_alu instid0(VALU_DEP_1) | instskip(NEXT) | instid1(VALU_DEP_1)
	v_mul_f32_e32 v100, v44, v100
	v_and_b32_e32 v101, 0x7f800000, v100
	s_delay_alu instid0(VALU_DEP_1) | instskip(SKIP_2) | instid1(SALU_CYCLE_1)
	v_cmp_ne_u32_e32 vcc_lo, 0x7f800000, v101
                                        ; implicit-def: $vgpr101
	s_wait_xcnt 0x0
	s_and_saveexec_b32 s12, vcc_lo
	s_xor_b32 s12, exec_lo, s12
; %bb.343:                              ;   in Loop: Header=BB4_339 Depth=2
	v_bfe_u32 v101, v100, 16, 1
	s_delay_alu instid0(VALU_DEP_1)
	v_add3_u32 v101, v100, v101, 0x7fff
                                        ; implicit-def: $vgpr100
; %bb.344:                              ;   in Loop: Header=BB4_339 Depth=2
	s_and_not1_saveexec_b32 s12, s12
; %bb.345:                              ;   in Loop: Header=BB4_339 Depth=2
	v_and_b32_e32 v101, 0xffff, v100
	v_or_b32_e32 v45, 0x10000, v100
	s_delay_alu instid0(VALU_DEP_2) | instskip(NEXT) | instid1(VALU_DEP_2)
	v_cmp_eq_u32_e32 vcc_lo, 0, v101
	v_cndmask_b32_e32 v101, v45, v100, vcc_lo
; %bb.346:                              ;   in Loop: Header=BB4_339 Depth=2
	s_or_b32 exec_lo, exec_lo, s12
	v_and_b32_e32 v10, 0xffff0000, v10
	s_delay_alu instid0(VALU_DEP_1) | instskip(NEXT) | instid1(VALU_DEP_1)
	v_mul_f32_e32 v10, v44, v10
	v_and_b32_e32 v100, 0x7f800000, v10
	s_delay_alu instid0(VALU_DEP_1) | instskip(SKIP_1) | instid1(SALU_CYCLE_1)
	v_cmp_ne_u32_e32 vcc_lo, 0x7f800000, v100
                                        ; implicit-def: $vgpr100
	s_and_saveexec_b32 s12, vcc_lo
	s_xor_b32 s12, exec_lo, s12
; %bb.347:                              ;   in Loop: Header=BB4_339 Depth=2
	v_bfe_u32 v100, v10, 16, 1
	s_delay_alu instid0(VALU_DEP_1)
	v_add3_u32 v100, v10, v100, 0x7fff
                                        ; implicit-def: $vgpr10
; %bb.348:                              ;   in Loop: Header=BB4_339 Depth=2
	s_and_not1_saveexec_b32 s12, s12
; %bb.349:                              ;   in Loop: Header=BB4_339 Depth=2
	v_and_b32_e32 v100, 0xffff, v10
	v_or_b32_e32 v45, 0x10000, v10
	s_delay_alu instid0(VALU_DEP_2) | instskip(NEXT) | instid1(VALU_DEP_2)
	v_cmp_eq_u32_e32 vcc_lo, 0, v100
	v_cndmask_b32_e32 v100, v45, v10, vcc_lo
; %bb.350:                              ;   in Loop: Header=BB4_339 Depth=2
	s_or_b32 exec_lo, exec_lo, s12
	v_lshlrev_b32_e32 v10, 16, v11
	s_mov_b32 s12, exec_lo
                                        ; implicit-def: $vgpr59
	s_delay_alu instid0(VALU_DEP_1) | instskip(NEXT) | instid1(VALU_DEP_1)
	v_mul_f32_e32 v10, v44, v10
	v_and_b32_e32 v45, 0x7f800000, v10
	s_delay_alu instid0(VALU_DEP_1)
	v_cmpx_ne_u32_e32 0x7f800000, v45
	s_xor_b32 s12, exec_lo, s12
; %bb.351:                              ;   in Loop: Header=BB4_339 Depth=2
	v_bfe_u32 v45, v10, 16, 1
	s_delay_alu instid0(VALU_DEP_1)
	v_add3_u32 v59, v10, v45, 0x7fff
                                        ; implicit-def: $vgpr10
; %bb.352:                              ;   in Loop: Header=BB4_339 Depth=2
	s_and_not1_saveexec_b32 s12, s12
; %bb.353:                              ;   in Loop: Header=BB4_339 Depth=2
	v_and_b32_e32 v45, 0xffff, v10
	v_or_b32_e32 v46, 0x10000, v10
	s_delay_alu instid0(VALU_DEP_2) | instskip(NEXT) | instid1(VALU_DEP_2)
	v_cmp_eq_u32_e32 vcc_lo, 0, v45
	v_cndmask_b32_e32 v59, v46, v10, vcc_lo
; %bb.354:                              ;   in Loop: Header=BB4_339 Depth=2
	s_or_b32 exec_lo, exec_lo, s12
	v_and_b32_e32 v10, 0xffff0000, v11
	s_mov_b32 s12, exec_lo
                                        ; implicit-def: $vgpr57
	s_delay_alu instid0(VALU_DEP_1) | instskip(NEXT) | instid1(VALU_DEP_1)
	v_mul_f32_e32 v10, v44, v10
	v_and_b32_e32 v11, 0x7f800000, v10
	s_delay_alu instid0(VALU_DEP_1)
	v_cmpx_ne_u32_e32 0x7f800000, v11
	s_xor_b32 s12, exec_lo, s12
; %bb.355:                              ;   in Loop: Header=BB4_339 Depth=2
	v_bfe_u32 v11, v10, 16, 1
	s_delay_alu instid0(VALU_DEP_1)
	v_add3_u32 v57, v10, v11, 0x7fff
                                        ; implicit-def: $vgpr10
; %bb.356:                              ;   in Loop: Header=BB4_339 Depth=2
	s_and_not1_saveexec_b32 s12, s12
; %bb.357:                              ;   in Loop: Header=BB4_339 Depth=2
	v_and_b32_e32 v11, 0xffff, v10
	v_or_b32_e32 v45, 0x10000, v10
	s_delay_alu instid0(VALU_DEP_2) | instskip(NEXT) | instid1(VALU_DEP_2)
	v_cmp_eq_u32_e32 vcc_lo, 0, v11
	v_cndmask_b32_e32 v57, v45, v10, vcc_lo
; %bb.358:                              ;   in Loop: Header=BB4_339 Depth=2
	s_or_b32 exec_lo, exec_lo, s12
	v_lshlrev_b32_e32 v10, 16, v12
	s_mov_b32 s12, exec_lo
                                        ; implicit-def: $vgpr58
	s_delay_alu instid0(VALU_DEP_1) | instskip(NEXT) | instid1(VALU_DEP_1)
	v_mul_f32_e32 v10, v44, v10
	v_and_b32_e32 v11, 0x7f800000, v10
	s_delay_alu instid0(VALU_DEP_1)
	v_cmpx_ne_u32_e32 0x7f800000, v11
	s_xor_b32 s12, exec_lo, s12
; %bb.359:                              ;   in Loop: Header=BB4_339 Depth=2
	v_bfe_u32 v11, v10, 16, 1
	s_delay_alu instid0(VALU_DEP_1)
	v_add3_u32 v58, v10, v11, 0x7fff
                                        ; implicit-def: $vgpr10
; %bb.360:                              ;   in Loop: Header=BB4_339 Depth=2
	s_and_not1_saveexec_b32 s12, s12
; %bb.361:                              ;   in Loop: Header=BB4_339 Depth=2
	v_and_b32_e32 v11, 0xffff, v10
	v_or_b32_e32 v45, 0x10000, v10
	s_delay_alu instid0(VALU_DEP_2) | instskip(NEXT) | instid1(VALU_DEP_2)
	v_cmp_eq_u32_e32 vcc_lo, 0, v11
	v_cndmask_b32_e32 v58, v45, v10, vcc_lo
; %bb.362:                              ;   in Loop: Header=BB4_339 Depth=2
	s_or_b32 exec_lo, exec_lo, s12
	v_and_b32_e32 v10, 0xffff0000, v12
	s_mov_b32 s12, exec_lo
                                        ; implicit-def: $vgpr47
	s_delay_alu instid0(VALU_DEP_1) | instskip(NEXT) | instid1(VALU_DEP_1)
	v_mul_f32_e32 v10, v44, v10
	v_and_b32_e32 v11, 0x7f800000, v10
	s_delay_alu instid0(VALU_DEP_1)
	v_cmpx_ne_u32_e32 0x7f800000, v11
	s_xor_b32 s12, exec_lo, s12
; %bb.363:                              ;   in Loop: Header=BB4_339 Depth=2
	v_bfe_u32 v11, v10, 16, 1
	s_delay_alu instid0(VALU_DEP_1)
	v_add3_u32 v47, v10, v11, 0x7fff
                                        ; implicit-def: $vgpr10
; %bb.364:                              ;   in Loop: Header=BB4_339 Depth=2
	s_and_not1_saveexec_b32 s12, s12
; %bb.365:                              ;   in Loop: Header=BB4_339 Depth=2
	v_and_b32_e32 v11, 0xffff, v10
	v_or_b32_e32 v12, 0x10000, v10
	s_delay_alu instid0(VALU_DEP_2) | instskip(NEXT) | instid1(VALU_DEP_2)
	v_cmp_eq_u32_e32 vcc_lo, 0, v11
	v_cndmask_b32_e32 v47, v12, v10, vcc_lo
; %bb.366:                              ;   in Loop: Header=BB4_339 Depth=2
	s_or_b32 exec_lo, exec_lo, s12
	v_lshlrev_b32_e32 v10, 16, v13
	s_mov_b32 s12, exec_lo
                                        ; implicit-def: $vgpr56
	s_delay_alu instid0(VALU_DEP_1) | instskip(NEXT) | instid1(VALU_DEP_1)
	v_mul_f32_e32 v10, v44, v10
	v_and_b32_e32 v11, 0x7f800000, v10
	s_delay_alu instid0(VALU_DEP_1)
	v_cmpx_ne_u32_e32 0x7f800000, v11
	s_xor_b32 s12, exec_lo, s12
; %bb.367:                              ;   in Loop: Header=BB4_339 Depth=2
	v_bfe_u32 v11, v10, 16, 1
	s_delay_alu instid0(VALU_DEP_1)
	v_add3_u32 v56, v10, v11, 0x7fff
                                        ; implicit-def: $vgpr10
; %bb.368:                              ;   in Loop: Header=BB4_339 Depth=2
	s_and_not1_saveexec_b32 s12, s12
; %bb.369:                              ;   in Loop: Header=BB4_339 Depth=2
	v_and_b32_e32 v11, 0xffff, v10
	v_or_b32_e32 v12, 0x10000, v10
	s_delay_alu instid0(VALU_DEP_2) | instskip(NEXT) | instid1(VALU_DEP_2)
	v_cmp_eq_u32_e32 vcc_lo, 0, v11
	v_cndmask_b32_e32 v56, v12, v10, vcc_lo
; %bb.370:                              ;   in Loop: Header=BB4_339 Depth=2
	s_or_b32 exec_lo, exec_lo, s12
	v_and_b32_e32 v10, 0xffff0000, v13
	s_mov_b32 s12, exec_lo
                                        ; implicit-def: $vgpr45
	s_delay_alu instid0(VALU_DEP_1) | instskip(NEXT) | instid1(VALU_DEP_1)
	v_mul_f32_e32 v10, v44, v10
	v_and_b32_e32 v11, 0x7f800000, v10
	s_delay_alu instid0(VALU_DEP_1)
	v_cmpx_ne_u32_e32 0x7f800000, v11
	s_xor_b32 s12, exec_lo, s12
; %bb.371:                              ;   in Loop: Header=BB4_339 Depth=2
	v_bfe_u32 v11, v10, 16, 1
	s_delay_alu instid0(VALU_DEP_1)
	v_add3_u32 v45, v10, v11, 0x7fff
                                        ; implicit-def: $vgpr10
; %bb.372:                              ;   in Loop: Header=BB4_339 Depth=2
	s_and_not1_saveexec_b32 s12, s12
; %bb.373:                              ;   in Loop: Header=BB4_339 Depth=2
	v_and_b32_e32 v11, 0xffff, v10
	v_or_b32_e32 v12, 0x10000, v10
	s_delay_alu instid0(VALU_DEP_2) | instskip(NEXT) | instid1(VALU_DEP_2)
	v_cmp_eq_u32_e32 vcc_lo, 0, v11
	v_cndmask_b32_e32 v45, v12, v10, vcc_lo
; %bb.374:                              ;   in Loop: Header=BB4_339 Depth=2
	s_or_b32 exec_lo, exec_lo, s12
	scratch_load_b128 v[10:13], off, s33 offset:144
	v_and_b32_e32 v101, 0xffff0000, v101
	s_wait_loadcnt 0x0
	v_lshlrev_b32_e32 v46, 16, v10
	s_delay_alu instid0(VALU_DEP_1) | instskip(NEXT) | instid1(VALU_DEP_1)
	v_add_f32_e32 v101, v101, v46
	v_and_b32_e32 v46, 0x7f800000, v101
	s_delay_alu instid0(VALU_DEP_1) | instskip(SKIP_2) | instid1(SALU_CYCLE_1)
	v_cmp_ne_u32_e32 vcc_lo, 0x7f800000, v46
                                        ; implicit-def: $vgpr46
	s_wait_xcnt 0x0
	s_and_saveexec_b32 s12, vcc_lo
	s_xor_b32 s12, exec_lo, s12
; %bb.375:                              ;   in Loop: Header=BB4_339 Depth=2
	v_bfe_u32 v46, v101, 16, 1
	s_delay_alu instid0(VALU_DEP_1)
	v_add3_u32 v46, v101, v46, 0x7fff
                                        ; implicit-def: $vgpr101
; %bb.376:                              ;   in Loop: Header=BB4_339 Depth=2
	s_and_not1_saveexec_b32 s12, s12
; %bb.377:                              ;   in Loop: Header=BB4_339 Depth=2
	v_and_b32_e32 v46, 0xffff, v101
	v_or_b32_e32 v60, 0x10000, v101
	s_delay_alu instid0(VALU_DEP_2) | instskip(NEXT) | instid1(VALU_DEP_2)
	v_cmp_eq_u32_e32 vcc_lo, 0, v46
	v_cndmask_b32_e32 v46, v60, v101, vcc_lo
; %bb.378:                              ;   in Loop: Header=BB4_339 Depth=2
	s_or_b32 exec_lo, exec_lo, s12
	v_and_b32_e32 v101, 0xffff0000, v10
	v_and_b32_e32 v100, 0xffff0000, v100
	s_delay_alu instid0(VALU_DEP_2) | instskip(NEXT) | instid1(VALU_DEP_1)
	v_mov_b32_e32 v10, v101
	v_pk_add_f32 v[100:101], v[10:11], v[100:101]
	s_delay_alu instid0(VALU_DEP_1) | instskip(NEXT) | instid1(VALU_DEP_1)
	v_and_b32_e32 v10, 0x7f800000, v100
	v_cmp_ne_u32_e32 vcc_lo, 0x7f800000, v10
                                        ; implicit-def: $vgpr10
	s_and_saveexec_b32 s12, vcc_lo
	s_delay_alu instid0(SALU_CYCLE_1)
	s_xor_b32 s12, exec_lo, s12
; %bb.379:                              ;   in Loop: Header=BB4_339 Depth=2
	v_bfe_u32 v10, v100, 16, 1
	s_delay_alu instid0(VALU_DEP_1)
	v_add3_u32 v10, v100, v10, 0x7fff
                                        ; implicit-def: $vgpr100_vgpr101
; %bb.380:                              ;   in Loop: Header=BB4_339 Depth=2
	s_and_not1_saveexec_b32 s12, s12
; %bb.381:                              ;   in Loop: Header=BB4_339 Depth=2
	v_and_b32_e32 v10, 0xffff, v100
	v_or_b32_e32 v101, 0x10000, v100
	s_delay_alu instid0(VALU_DEP_2) | instskip(NEXT) | instid1(VALU_DEP_2)
	v_cmp_eq_u32_e32 vcc_lo, 0, v10
	v_cndmask_b32_e32 v10, v101, v100, vcc_lo
; %bb.382:                              ;   in Loop: Header=BB4_339 Depth=2
	s_or_b32 exec_lo, exec_lo, s12
	v_and_b32_e32 v100, 0xffff0000, v59
	v_lshlrev_b32_e32 v101, 16, v11
	s_delay_alu instid0(VALU_DEP_1) | instskip(NEXT) | instid1(VALU_DEP_1)
	v_add_f32_e32 v101, v100, v101
	v_and_b32_e32 v100, 0x7f800000, v101
	s_delay_alu instid0(VALU_DEP_1) | instskip(SKIP_1) | instid1(SALU_CYCLE_1)
	v_cmp_ne_u32_e32 vcc_lo, 0x7f800000, v100
                                        ; implicit-def: $vgpr100
	s_and_saveexec_b32 s12, vcc_lo
	s_xor_b32 s12, exec_lo, s12
; %bb.383:                              ;   in Loop: Header=BB4_339 Depth=2
	v_bfe_u32 v100, v101, 16, 1
	s_delay_alu instid0(VALU_DEP_1)
	v_add3_u32 v100, v101, v100, 0x7fff
                                        ; implicit-def: $vgpr101
; %bb.384:                              ;   in Loop: Header=BB4_339 Depth=2
	s_and_not1_saveexec_b32 s12, s12
; %bb.385:                              ;   in Loop: Header=BB4_339 Depth=2
	v_and_b32_e32 v100, 0xffff, v101
	v_or_b32_e32 v59, 0x10000, v101
	s_delay_alu instid0(VALU_DEP_2) | instskip(NEXT) | instid1(VALU_DEP_2)
	v_cmp_eq_u32_e32 vcc_lo, 0, v100
	v_cndmask_b32_e32 v100, v59, v101, vcc_lo
; %bb.386:                              ;   in Loop: Header=BB4_339 Depth=2
	s_or_b32 exec_lo, exec_lo, s12
	v_and_b32_e32 v11, 0xffff0000, v11
	v_and_b32_e32 v101, 0xffff0000, v57
	s_delay_alu instid0(VALU_DEP_1) | instskip(NEXT) | instid1(VALU_DEP_1)
	v_add_f32_e32 v101, v101, v11
	v_and_b32_e32 v11, 0x7f800000, v101
	s_delay_alu instid0(VALU_DEP_1) | instskip(SKIP_1) | instid1(SALU_CYCLE_1)
	v_cmp_ne_u32_e32 vcc_lo, 0x7f800000, v11
                                        ; implicit-def: $vgpr11
	s_and_saveexec_b32 s12, vcc_lo
	s_xor_b32 s12, exec_lo, s12
; %bb.387:                              ;   in Loop: Header=BB4_339 Depth=2
	v_bfe_u32 v11, v101, 16, 1
	s_delay_alu instid0(VALU_DEP_1)
	v_add3_u32 v11, v101, v11, 0x7fff
                                        ; implicit-def: $vgpr101
; %bb.388:                              ;   in Loop: Header=BB4_339 Depth=2
	s_and_not1_saveexec_b32 s12, s12
; %bb.389:                              ;   in Loop: Header=BB4_339 Depth=2
	v_and_b32_e32 v11, 0xffff, v101
	v_or_b32_e32 v57, 0x10000, v101
	s_delay_alu instid0(VALU_DEP_2) | instskip(NEXT) | instid1(VALU_DEP_2)
	v_cmp_eq_u32_e32 vcc_lo, 0, v11
	v_cndmask_b32_e32 v11, v57, v101, vcc_lo
; %bb.390:                              ;   in Loop: Header=BB4_339 Depth=2
	s_or_b32 exec_lo, exec_lo, s12
	v_and_b32_e32 v101, 0xffff0000, v58
	v_lshlrev_b32_e32 v57, 16, v12
	s_delay_alu instid0(VALU_DEP_1) | instskip(NEXT) | instid1(VALU_DEP_1)
	v_add_f32_e32 v57, v101, v57
	v_and_b32_e32 v101, 0x7f800000, v57
	s_delay_alu instid0(VALU_DEP_1) | instskip(SKIP_1) | instid1(SALU_CYCLE_1)
	v_cmp_ne_u32_e32 vcc_lo, 0x7f800000, v101
                                        ; implicit-def: $vgpr101
	s_and_saveexec_b32 s12, vcc_lo
	s_xor_b32 s12, exec_lo, s12
; %bb.391:                              ;   in Loop: Header=BB4_339 Depth=2
	v_bfe_u32 v101, v57, 16, 1
	s_delay_alu instid0(VALU_DEP_1)
	v_add3_u32 v101, v57, v101, 0x7fff
                                        ; implicit-def: $vgpr57
; %bb.392:                              ;   in Loop: Header=BB4_339 Depth=2
	s_and_not1_saveexec_b32 s12, s12
; %bb.393:                              ;   in Loop: Header=BB4_339 Depth=2
	v_and_b32_e32 v101, 0xffff, v57
	v_or_b32_e32 v58, 0x10000, v57
	s_delay_alu instid0(VALU_DEP_2) | instskip(NEXT) | instid1(VALU_DEP_2)
	v_cmp_eq_u32_e32 vcc_lo, 0, v101
	v_cndmask_b32_e32 v101, v58, v57, vcc_lo
; %bb.394:                              ;   in Loop: Header=BB4_339 Depth=2
	s_or_b32 exec_lo, exec_lo, s12
	v_and_b32_e32 v12, 0xffff0000, v12
	v_and_b32_e32 v47, 0xffff0000, v47
	s_delay_alu instid0(VALU_DEP_1) | instskip(NEXT) | instid1(VALU_DEP_1)
	v_add_f32_e32 v47, v47, v12
	v_and_b32_e32 v12, 0x7f800000, v47
	s_delay_alu instid0(VALU_DEP_1) | instskip(SKIP_1) | instid1(SALU_CYCLE_1)
	v_cmp_ne_u32_e32 vcc_lo, 0x7f800000, v12
                                        ; implicit-def: $vgpr12
	s_and_saveexec_b32 s12, vcc_lo
	s_xor_b32 s12, exec_lo, s12
; %bb.395:                              ;   in Loop: Header=BB4_339 Depth=2
	v_bfe_u32 v12, v47, 16, 1
	s_delay_alu instid0(VALU_DEP_1)
	v_add3_u32 v12, v47, v12, 0x7fff
                                        ; implicit-def: $vgpr47
; %bb.396:                              ;   in Loop: Header=BB4_339 Depth=2
	s_and_not1_saveexec_b32 s12, s12
; %bb.397:                              ;   in Loop: Header=BB4_339 Depth=2
	v_and_b32_e32 v12, 0xffff, v47
	v_or_b32_e32 v57, 0x10000, v47
	s_delay_alu instid0(VALU_DEP_2) | instskip(NEXT) | instid1(VALU_DEP_2)
	v_cmp_eq_u32_e32 vcc_lo, 0, v12
	v_cndmask_b32_e32 v12, v57, v47, vcc_lo
; %bb.398:                              ;   in Loop: Header=BB4_339 Depth=2
	s_or_b32 exec_lo, exec_lo, s12
	v_and_b32_e32 v47, 0xffff0000, v56
	v_lshlrev_b32_e32 v56, 16, v13
	s_delay_alu instid0(VALU_DEP_1) | instskip(NEXT) | instid1(VALU_DEP_1)
	v_add_f32_e32 v56, v47, v56
	v_and_b32_e32 v47, 0x7f800000, v56
	s_delay_alu instid0(VALU_DEP_1) | instskip(SKIP_1) | instid1(SALU_CYCLE_1)
	v_cmp_ne_u32_e32 vcc_lo, 0x7f800000, v47
                                        ; implicit-def: $vgpr47
	s_and_saveexec_b32 s12, vcc_lo
	s_xor_b32 s12, exec_lo, s12
; %bb.399:                              ;   in Loop: Header=BB4_339 Depth=2
	v_bfe_u32 v47, v56, 16, 1
	s_delay_alu instid0(VALU_DEP_1)
	v_add3_u32 v47, v56, v47, 0x7fff
                                        ; implicit-def: $vgpr56
; %bb.400:                              ;   in Loop: Header=BB4_339 Depth=2
	s_and_not1_saveexec_b32 s12, s12
; %bb.401:                              ;   in Loop: Header=BB4_339 Depth=2
	v_and_b32_e32 v47, 0xffff, v56
	v_or_b32_e32 v57, 0x10000, v56
	s_delay_alu instid0(VALU_DEP_2) | instskip(NEXT) | instid1(VALU_DEP_2)
	v_cmp_eq_u32_e32 vcc_lo, 0, v47
	v_cndmask_b32_e32 v47, v57, v56, vcc_lo
; %bb.402:                              ;   in Loop: Header=BB4_339 Depth=2
	s_or_b32 exec_lo, exec_lo, s12
	v_and_b32_e32 v13, 0xffff0000, v13
	v_and_b32_e32 v45, 0xffff0000, v45
	s_delay_alu instid0(VALU_DEP_1) | instskip(NEXT) | instid1(VALU_DEP_1)
	v_add_f32_e32 v45, v45, v13
	v_and_b32_e32 v13, 0x7f800000, v45
	s_delay_alu instid0(VALU_DEP_1) | instskip(SKIP_1) | instid1(SALU_CYCLE_1)
	v_cmp_ne_u32_e32 vcc_lo, 0x7f800000, v13
                                        ; implicit-def: $vgpr13
	s_and_saveexec_b32 s12, vcc_lo
	s_xor_b32 s12, exec_lo, s12
; %bb.403:                              ;   in Loop: Header=BB4_339 Depth=2
	v_bfe_u32 v13, v45, 16, 1
	s_delay_alu instid0(VALU_DEP_1)
	v_add3_u32 v13, v45, v13, 0x7fff
                                        ; implicit-def: $vgpr45
; %bb.404:                              ;   in Loop: Header=BB4_339 Depth=2
	s_and_not1_saveexec_b32 s12, s12
; %bb.405:                              ;   in Loop: Header=BB4_339 Depth=2
	v_and_b32_e32 v13, 0xffff, v45
	v_or_b32_e32 v56, 0x10000, v45
	s_delay_alu instid0(VALU_DEP_2) | instskip(NEXT) | instid1(VALU_DEP_2)
	v_cmp_eq_u32_e32 vcc_lo, 0, v13
	v_cndmask_b32_e32 v13, v56, v45, vcc_lo
; %bb.406:                              ;   in Loop: Header=BB4_339 Depth=2
	s_or_b32 exec_lo, exec_lo, s12
	v_dual_lshrrev_b32 v100, 16, v100 :: v_dual_lshrrev_b32 v45, 16, v46
	v_dual_lshrrev_b32 v101, 16, v101 :: v_dual_lshrrev_b32 v46, 16, v47
	s_delay_alu instid0(VALU_DEP_2) | instskip(NEXT) | instid1(VALU_DEP_3)
	v_and_or_b32 v11, 0xffff0000, v11, v100
	v_and_or_b32 v10, 0xffff0000, v10, v45
	s_delay_alu instid0(VALU_DEP_3) | instskip(NEXT) | instid1(VALU_DEP_4)
	v_and_or_b32 v12, 0xffff0000, v12, v101
	v_and_or_b32 v13, 0xffff0000, v13, v46
	global_store_b128 v[96:97], v[10:13], off th:TH_STORE_NT
	s_wait_xcnt 0x0
	v_add_nc_u64_e32 v[96:97], v[54:55], v[96:97]
	scratch_store_b128 off, v[10:13], s33 offset:128
.LBB4_407:                              ;   in Loop: Header=BB4_339 Depth=2
	s_wait_xcnt 0x0
	s_or_b32 exec_lo, exec_lo, s11
	v_sub_nc_u32_e32 v118, v118, v113
	v_add_nc_u64_e32 v[98:99], v[98:99], v[18:19]
	v_add_nc_u64_e32 v[86:87], v[86:87], v[18:19]
	s_delay_alu instid0(VALU_DEP_3)
	v_cmp_lt_i32_e64 s44, 15, v118
	s_and_saveexec_b32 s45, s44
	s_cbranch_execz .LBB4_410
; %bb.408:                              ;   in Loop: Header=BB4_339 Depth=2
	s_add_co_i32 s11, s33, 0x80
	s_mov_b64 s[14:15], 0
	s_mov_b32 s46, s11
	s_mov_b32 s47, -1
.LBB4_409:                              ;   Parent Loop BB4_49 Depth=1
                                        ;     Parent Loop BB4_339 Depth=2
                                        ; =>    This Inner Loop Header: Depth=3
	s_cmp_eq_u32 s14, 1
	s_cselect_b32 vcc_lo, -1, 0
	s_cmp_eq_u32 s14, 0
	v_dual_cndmask_b32 v101, v99, v87 :: v_dual_cndmask_b32 v100, v98, v86
	s_cselect_b32 s11, -1, 0
	s_and_b32 s12, exec_lo, s47
	s_mov_b64 s[14:15], 1
	s_mov_b32 s47, 0
	global_load_b128 v[10:13], v[100:101], off th:TH_LOAD_NT
	s_wait_xcnt 0x0
	v_add_nc_u64_e32 v[100:101], 0x200, v[100:101]
	s_delay_alu instid0(VALU_DEP_1)
	v_dual_cndmask_b32 v99, v99, v101, s11 :: v_dual_cndmask_b32 v98, v98, v100, s11
	v_dual_cndmask_b32 v87, v87, v101 :: v_dual_cndmask_b32 v86, v86, v100
	s_mov_b32 vcc_lo, s12
	s_wait_loadcnt 0x0
	scratch_store_b128 off, v[10:13], s46
	s_wait_xcnt 0x0
	s_mov_b32 s46, s25
	s_cbranch_vccnz .LBB4_409
.LBB4_410:                              ;   in Loop: Header=BB4_339 Depth=2
	s_or_b32 exec_lo, exec_lo, s45
	scratch_load_b128 v[10:13], off, s33 offset:96
	s_wait_loadcnt 0x0
	v_lshlrev_b32_e32 v100, 16, v10
	s_delay_alu instid0(VALU_DEP_1) | instskip(NEXT) | instid1(VALU_DEP_1)
	v_mul_f32_e32 v100, v44, v100
	v_and_b32_e32 v101, 0x7f800000, v100
	s_delay_alu instid0(VALU_DEP_1) | instskip(SKIP_2) | instid1(SALU_CYCLE_1)
	v_cmp_ne_u32_e32 vcc_lo, 0x7f800000, v101
                                        ; implicit-def: $vgpr101
	s_wait_xcnt 0x0
	s_and_saveexec_b32 s11, vcc_lo
	s_xor_b32 s11, exec_lo, s11
; %bb.411:                              ;   in Loop: Header=BB4_339 Depth=2
	v_bfe_u32 v101, v100, 16, 1
	s_delay_alu instid0(VALU_DEP_1)
	v_add3_u32 v101, v100, v101, 0x7fff
                                        ; implicit-def: $vgpr100
; %bb.412:                              ;   in Loop: Header=BB4_339 Depth=2
	s_and_not1_saveexec_b32 s11, s11
; %bb.413:                              ;   in Loop: Header=BB4_339 Depth=2
	v_and_b32_e32 v101, 0xffff, v100
	v_or_b32_e32 v45, 0x10000, v100
	s_delay_alu instid0(VALU_DEP_2) | instskip(NEXT) | instid1(VALU_DEP_2)
	v_cmp_eq_u32_e32 vcc_lo, 0, v101
	v_cndmask_b32_e32 v101, v45, v100, vcc_lo
; %bb.414:                              ;   in Loop: Header=BB4_339 Depth=2
	s_or_b32 exec_lo, exec_lo, s11
	v_and_b32_e32 v10, 0xffff0000, v10
	s_delay_alu instid0(VALU_DEP_1) | instskip(NEXT) | instid1(VALU_DEP_1)
	v_mul_f32_e32 v10, v44, v10
	v_and_b32_e32 v100, 0x7f800000, v10
	s_delay_alu instid0(VALU_DEP_1) | instskip(SKIP_1) | instid1(SALU_CYCLE_1)
	v_cmp_ne_u32_e32 vcc_lo, 0x7f800000, v100
                                        ; implicit-def: $vgpr100
	s_and_saveexec_b32 s11, vcc_lo
	s_xor_b32 s11, exec_lo, s11
; %bb.415:                              ;   in Loop: Header=BB4_339 Depth=2
	v_bfe_u32 v100, v10, 16, 1
	s_delay_alu instid0(VALU_DEP_1)
	v_add3_u32 v100, v10, v100, 0x7fff
                                        ; implicit-def: $vgpr10
; %bb.416:                              ;   in Loop: Header=BB4_339 Depth=2
	s_and_not1_saveexec_b32 s11, s11
; %bb.417:                              ;   in Loop: Header=BB4_339 Depth=2
	v_and_b32_e32 v100, 0xffff, v10
	v_or_b32_e32 v45, 0x10000, v10
	s_delay_alu instid0(VALU_DEP_2) | instskip(NEXT) | instid1(VALU_DEP_2)
	v_cmp_eq_u32_e32 vcc_lo, 0, v100
	v_cndmask_b32_e32 v100, v45, v10, vcc_lo
; %bb.418:                              ;   in Loop: Header=BB4_339 Depth=2
	s_or_b32 exec_lo, exec_lo, s11
	v_lshlrev_b32_e32 v10, 16, v11
	s_mov_b32 s11, exec_lo
                                        ; implicit-def: $vgpr59
	s_delay_alu instid0(VALU_DEP_1) | instskip(NEXT) | instid1(VALU_DEP_1)
	v_mul_f32_e32 v10, v44, v10
	v_and_b32_e32 v45, 0x7f800000, v10
	s_delay_alu instid0(VALU_DEP_1)
	v_cmpx_ne_u32_e32 0x7f800000, v45
	s_xor_b32 s11, exec_lo, s11
; %bb.419:                              ;   in Loop: Header=BB4_339 Depth=2
	v_bfe_u32 v45, v10, 16, 1
	s_delay_alu instid0(VALU_DEP_1)
	v_add3_u32 v59, v10, v45, 0x7fff
                                        ; implicit-def: $vgpr10
; %bb.420:                              ;   in Loop: Header=BB4_339 Depth=2
	s_and_not1_saveexec_b32 s11, s11
; %bb.421:                              ;   in Loop: Header=BB4_339 Depth=2
	v_and_b32_e32 v45, 0xffff, v10
	v_or_b32_e32 v46, 0x10000, v10
	s_delay_alu instid0(VALU_DEP_2) | instskip(NEXT) | instid1(VALU_DEP_2)
	v_cmp_eq_u32_e32 vcc_lo, 0, v45
	v_cndmask_b32_e32 v59, v46, v10, vcc_lo
; %bb.422:                              ;   in Loop: Header=BB4_339 Depth=2
	s_or_b32 exec_lo, exec_lo, s11
	v_and_b32_e32 v10, 0xffff0000, v11
	s_mov_b32 s11, exec_lo
                                        ; implicit-def: $vgpr57
	s_delay_alu instid0(VALU_DEP_1) | instskip(NEXT) | instid1(VALU_DEP_1)
	v_mul_f32_e32 v10, v44, v10
	v_and_b32_e32 v11, 0x7f800000, v10
	s_delay_alu instid0(VALU_DEP_1)
	v_cmpx_ne_u32_e32 0x7f800000, v11
	s_xor_b32 s11, exec_lo, s11
; %bb.423:                              ;   in Loop: Header=BB4_339 Depth=2
	v_bfe_u32 v11, v10, 16, 1
	s_delay_alu instid0(VALU_DEP_1)
	v_add3_u32 v57, v10, v11, 0x7fff
                                        ; implicit-def: $vgpr10
; %bb.424:                              ;   in Loop: Header=BB4_339 Depth=2
	s_and_not1_saveexec_b32 s11, s11
; %bb.425:                              ;   in Loop: Header=BB4_339 Depth=2
	v_and_b32_e32 v11, 0xffff, v10
	v_or_b32_e32 v45, 0x10000, v10
	s_delay_alu instid0(VALU_DEP_2) | instskip(NEXT) | instid1(VALU_DEP_2)
	v_cmp_eq_u32_e32 vcc_lo, 0, v11
	v_cndmask_b32_e32 v57, v45, v10, vcc_lo
; %bb.426:                              ;   in Loop: Header=BB4_339 Depth=2
	s_or_b32 exec_lo, exec_lo, s11
	v_lshlrev_b32_e32 v10, 16, v12
	s_mov_b32 s11, exec_lo
                                        ; implicit-def: $vgpr58
	s_delay_alu instid0(VALU_DEP_1) | instskip(NEXT) | instid1(VALU_DEP_1)
	v_mul_f32_e32 v10, v44, v10
	v_and_b32_e32 v11, 0x7f800000, v10
	s_delay_alu instid0(VALU_DEP_1)
	v_cmpx_ne_u32_e32 0x7f800000, v11
	s_xor_b32 s11, exec_lo, s11
; %bb.427:                              ;   in Loop: Header=BB4_339 Depth=2
	v_bfe_u32 v11, v10, 16, 1
	s_delay_alu instid0(VALU_DEP_1)
	v_add3_u32 v58, v10, v11, 0x7fff
                                        ; implicit-def: $vgpr10
; %bb.428:                              ;   in Loop: Header=BB4_339 Depth=2
	s_and_not1_saveexec_b32 s11, s11
; %bb.429:                              ;   in Loop: Header=BB4_339 Depth=2
	v_and_b32_e32 v11, 0xffff, v10
	v_or_b32_e32 v45, 0x10000, v10
	s_delay_alu instid0(VALU_DEP_2) | instskip(NEXT) | instid1(VALU_DEP_2)
	v_cmp_eq_u32_e32 vcc_lo, 0, v11
	v_cndmask_b32_e32 v58, v45, v10, vcc_lo
; %bb.430:                              ;   in Loop: Header=BB4_339 Depth=2
	s_or_b32 exec_lo, exec_lo, s11
	v_and_b32_e32 v10, 0xffff0000, v12
	s_mov_b32 s11, exec_lo
                                        ; implicit-def: $vgpr47
	s_delay_alu instid0(VALU_DEP_1) | instskip(NEXT) | instid1(VALU_DEP_1)
	v_mul_f32_e32 v10, v44, v10
	v_and_b32_e32 v11, 0x7f800000, v10
	s_delay_alu instid0(VALU_DEP_1)
	v_cmpx_ne_u32_e32 0x7f800000, v11
	s_xor_b32 s11, exec_lo, s11
; %bb.431:                              ;   in Loop: Header=BB4_339 Depth=2
	v_bfe_u32 v11, v10, 16, 1
	s_delay_alu instid0(VALU_DEP_1)
	v_add3_u32 v47, v10, v11, 0x7fff
                                        ; implicit-def: $vgpr10
; %bb.432:                              ;   in Loop: Header=BB4_339 Depth=2
	s_and_not1_saveexec_b32 s11, s11
; %bb.433:                              ;   in Loop: Header=BB4_339 Depth=2
	v_and_b32_e32 v11, 0xffff, v10
	v_or_b32_e32 v12, 0x10000, v10
	s_delay_alu instid0(VALU_DEP_2) | instskip(NEXT) | instid1(VALU_DEP_2)
	v_cmp_eq_u32_e32 vcc_lo, 0, v11
	v_cndmask_b32_e32 v47, v12, v10, vcc_lo
; %bb.434:                              ;   in Loop: Header=BB4_339 Depth=2
	s_or_b32 exec_lo, exec_lo, s11
	v_lshlrev_b32_e32 v10, 16, v13
	s_mov_b32 s11, exec_lo
                                        ; implicit-def: $vgpr56
	s_delay_alu instid0(VALU_DEP_1) | instskip(NEXT) | instid1(VALU_DEP_1)
	v_mul_f32_e32 v10, v44, v10
	v_and_b32_e32 v11, 0x7f800000, v10
	s_delay_alu instid0(VALU_DEP_1)
	v_cmpx_ne_u32_e32 0x7f800000, v11
	s_xor_b32 s11, exec_lo, s11
; %bb.435:                              ;   in Loop: Header=BB4_339 Depth=2
	v_bfe_u32 v11, v10, 16, 1
	s_delay_alu instid0(VALU_DEP_1)
	v_add3_u32 v56, v10, v11, 0x7fff
                                        ; implicit-def: $vgpr10
; %bb.436:                              ;   in Loop: Header=BB4_339 Depth=2
	s_and_not1_saveexec_b32 s11, s11
; %bb.437:                              ;   in Loop: Header=BB4_339 Depth=2
	v_and_b32_e32 v11, 0xffff, v10
	v_or_b32_e32 v12, 0x10000, v10
	s_delay_alu instid0(VALU_DEP_2) | instskip(NEXT) | instid1(VALU_DEP_2)
	v_cmp_eq_u32_e32 vcc_lo, 0, v11
	v_cndmask_b32_e32 v56, v12, v10, vcc_lo
; %bb.438:                              ;   in Loop: Header=BB4_339 Depth=2
	s_or_b32 exec_lo, exec_lo, s11
	v_and_b32_e32 v10, 0xffff0000, v13
	s_mov_b32 s11, exec_lo
                                        ; implicit-def: $vgpr46
	s_delay_alu instid0(VALU_DEP_1) | instskip(NEXT) | instid1(VALU_DEP_1)
	v_mul_f32_e32 v10, v44, v10
	v_and_b32_e32 v11, 0x7f800000, v10
	s_delay_alu instid0(VALU_DEP_1)
	v_cmpx_ne_u32_e32 0x7f800000, v11
	s_xor_b32 s11, exec_lo, s11
; %bb.439:                              ;   in Loop: Header=BB4_339 Depth=2
	v_bfe_u32 v11, v10, 16, 1
	s_delay_alu instid0(VALU_DEP_1)
	v_add3_u32 v46, v10, v11, 0x7fff
                                        ; implicit-def: $vgpr10
; %bb.440:                              ;   in Loop: Header=BB4_339 Depth=2
	s_and_not1_saveexec_b32 s11, s11
; %bb.441:                              ;   in Loop: Header=BB4_339 Depth=2
	v_and_b32_e32 v11, 0xffff, v10
	v_or_b32_e32 v12, 0x10000, v10
	s_delay_alu instid0(VALU_DEP_2) | instskip(NEXT) | instid1(VALU_DEP_2)
	v_cmp_eq_u32_e32 vcc_lo, 0, v11
	v_cndmask_b32_e32 v46, v12, v10, vcc_lo
; %bb.442:                              ;   in Loop: Header=BB4_339 Depth=2
	s_or_b32 exec_lo, exec_lo, s11
	scratch_load_b128 v[10:13], off, s33 offset:112
	v_and_b32_e32 v101, 0xffff0000, v101
	s_wait_loadcnt 0x0
	v_lshlrev_b32_e32 v45, 16, v10
	s_delay_alu instid0(VALU_DEP_1) | instskip(NEXT) | instid1(VALU_DEP_1)
	v_add_f32_e32 v101, v101, v45
	v_and_b32_e32 v45, 0x7f800000, v101
	s_delay_alu instid0(VALU_DEP_1) | instskip(SKIP_2) | instid1(SALU_CYCLE_1)
	v_cmp_ne_u32_e32 vcc_lo, 0x7f800000, v45
                                        ; implicit-def: $vgpr45
	s_wait_xcnt 0x0
	s_and_saveexec_b32 s11, vcc_lo
	s_xor_b32 s11, exec_lo, s11
; %bb.443:                              ;   in Loop: Header=BB4_339 Depth=2
	v_bfe_u32 v45, v101, 16, 1
	s_delay_alu instid0(VALU_DEP_1)
	v_add3_u32 v45, v101, v45, 0x7fff
                                        ; implicit-def: $vgpr101
; %bb.444:                              ;   in Loop: Header=BB4_339 Depth=2
	s_and_not1_saveexec_b32 s11, s11
; %bb.445:                              ;   in Loop: Header=BB4_339 Depth=2
	v_and_b32_e32 v45, 0xffff, v101
	v_or_b32_e32 v60, 0x10000, v101
	s_delay_alu instid0(VALU_DEP_2) | instskip(NEXT) | instid1(VALU_DEP_2)
	v_cmp_eq_u32_e32 vcc_lo, 0, v45
	v_cndmask_b32_e32 v45, v60, v101, vcc_lo
; %bb.446:                              ;   in Loop: Header=BB4_339 Depth=2
	s_or_b32 exec_lo, exec_lo, s11
	v_and_b32_e32 v101, 0xffff0000, v10
	v_and_b32_e32 v100, 0xffff0000, v100
	s_delay_alu instid0(VALU_DEP_2) | instskip(NEXT) | instid1(VALU_DEP_1)
	v_mov_b32_e32 v10, v101
	v_pk_add_f32 v[100:101], v[10:11], v[100:101]
	s_delay_alu instid0(VALU_DEP_1) | instskip(NEXT) | instid1(VALU_DEP_1)
	v_and_b32_e32 v10, 0x7f800000, v100
	v_cmp_ne_u32_e32 vcc_lo, 0x7f800000, v10
                                        ; implicit-def: $vgpr10
	s_and_saveexec_b32 s11, vcc_lo
	s_delay_alu instid0(SALU_CYCLE_1)
	s_xor_b32 s11, exec_lo, s11
; %bb.447:                              ;   in Loop: Header=BB4_339 Depth=2
	v_bfe_u32 v10, v100, 16, 1
	s_delay_alu instid0(VALU_DEP_1)
	v_add3_u32 v10, v100, v10, 0x7fff
                                        ; implicit-def: $vgpr100_vgpr101
; %bb.448:                              ;   in Loop: Header=BB4_339 Depth=2
	s_and_not1_saveexec_b32 s11, s11
; %bb.449:                              ;   in Loop: Header=BB4_339 Depth=2
	v_and_b32_e32 v10, 0xffff, v100
	v_or_b32_e32 v101, 0x10000, v100
	s_delay_alu instid0(VALU_DEP_2) | instskip(NEXT) | instid1(VALU_DEP_2)
	v_cmp_eq_u32_e32 vcc_lo, 0, v10
	v_cndmask_b32_e32 v10, v101, v100, vcc_lo
; %bb.450:                              ;   in Loop: Header=BB4_339 Depth=2
	s_or_b32 exec_lo, exec_lo, s11
	v_and_b32_e32 v100, 0xffff0000, v59
	v_lshlrev_b32_e32 v101, 16, v11
	s_delay_alu instid0(VALU_DEP_1) | instskip(NEXT) | instid1(VALU_DEP_1)
	v_add_f32_e32 v101, v100, v101
	v_and_b32_e32 v100, 0x7f800000, v101
	s_delay_alu instid0(VALU_DEP_1) | instskip(SKIP_1) | instid1(SALU_CYCLE_1)
	v_cmp_ne_u32_e32 vcc_lo, 0x7f800000, v100
                                        ; implicit-def: $vgpr100
	s_and_saveexec_b32 s11, vcc_lo
	s_xor_b32 s11, exec_lo, s11
; %bb.451:                              ;   in Loop: Header=BB4_339 Depth=2
	v_bfe_u32 v100, v101, 16, 1
	s_delay_alu instid0(VALU_DEP_1)
	v_add3_u32 v100, v101, v100, 0x7fff
                                        ; implicit-def: $vgpr101
; %bb.452:                              ;   in Loop: Header=BB4_339 Depth=2
	s_and_not1_saveexec_b32 s11, s11
; %bb.453:                              ;   in Loop: Header=BB4_339 Depth=2
	v_and_b32_e32 v100, 0xffff, v101
	v_or_b32_e32 v59, 0x10000, v101
	s_delay_alu instid0(VALU_DEP_2) | instskip(NEXT) | instid1(VALU_DEP_2)
	v_cmp_eq_u32_e32 vcc_lo, 0, v100
	v_cndmask_b32_e32 v100, v59, v101, vcc_lo
; %bb.454:                              ;   in Loop: Header=BB4_339 Depth=2
	s_or_b32 exec_lo, exec_lo, s11
	v_and_b32_e32 v11, 0xffff0000, v11
	v_and_b32_e32 v101, 0xffff0000, v57
	s_delay_alu instid0(VALU_DEP_1) | instskip(NEXT) | instid1(VALU_DEP_1)
	v_add_f32_e32 v101, v101, v11
	v_and_b32_e32 v11, 0x7f800000, v101
	s_delay_alu instid0(VALU_DEP_1) | instskip(SKIP_1) | instid1(SALU_CYCLE_1)
	v_cmp_ne_u32_e32 vcc_lo, 0x7f800000, v11
                                        ; implicit-def: $vgpr11
	s_and_saveexec_b32 s11, vcc_lo
	s_xor_b32 s11, exec_lo, s11
; %bb.455:                              ;   in Loop: Header=BB4_339 Depth=2
	v_bfe_u32 v11, v101, 16, 1
	s_delay_alu instid0(VALU_DEP_1)
	v_add3_u32 v11, v101, v11, 0x7fff
                                        ; implicit-def: $vgpr101
; %bb.456:                              ;   in Loop: Header=BB4_339 Depth=2
	s_and_not1_saveexec_b32 s11, s11
; %bb.457:                              ;   in Loop: Header=BB4_339 Depth=2
	v_and_b32_e32 v11, 0xffff, v101
	v_or_b32_e32 v57, 0x10000, v101
	s_delay_alu instid0(VALU_DEP_2) | instskip(NEXT) | instid1(VALU_DEP_2)
	v_cmp_eq_u32_e32 vcc_lo, 0, v11
	v_cndmask_b32_e32 v11, v57, v101, vcc_lo
; %bb.458:                              ;   in Loop: Header=BB4_339 Depth=2
	s_or_b32 exec_lo, exec_lo, s11
	v_and_b32_e32 v101, 0xffff0000, v58
	v_lshlrev_b32_e32 v57, 16, v12
	s_delay_alu instid0(VALU_DEP_1) | instskip(NEXT) | instid1(VALU_DEP_1)
	v_add_f32_e32 v57, v101, v57
	v_and_b32_e32 v101, 0x7f800000, v57
	s_delay_alu instid0(VALU_DEP_1) | instskip(SKIP_1) | instid1(SALU_CYCLE_1)
	v_cmp_ne_u32_e32 vcc_lo, 0x7f800000, v101
                                        ; implicit-def: $vgpr101
	s_and_saveexec_b32 s11, vcc_lo
	s_xor_b32 s11, exec_lo, s11
; %bb.459:                              ;   in Loop: Header=BB4_339 Depth=2
	v_bfe_u32 v101, v57, 16, 1
	s_delay_alu instid0(VALU_DEP_1)
	v_add3_u32 v101, v57, v101, 0x7fff
                                        ; implicit-def: $vgpr57
; %bb.460:                              ;   in Loop: Header=BB4_339 Depth=2
	s_and_not1_saveexec_b32 s11, s11
; %bb.461:                              ;   in Loop: Header=BB4_339 Depth=2
	v_and_b32_e32 v101, 0xffff, v57
	v_or_b32_e32 v58, 0x10000, v57
	s_delay_alu instid0(VALU_DEP_2) | instskip(NEXT) | instid1(VALU_DEP_2)
	v_cmp_eq_u32_e32 vcc_lo, 0, v101
	v_cndmask_b32_e32 v101, v58, v57, vcc_lo
; %bb.462:                              ;   in Loop: Header=BB4_339 Depth=2
	s_or_b32 exec_lo, exec_lo, s11
	v_and_b32_e32 v12, 0xffff0000, v12
	v_and_b32_e32 v47, 0xffff0000, v47
	s_delay_alu instid0(VALU_DEP_1) | instskip(NEXT) | instid1(VALU_DEP_1)
	v_add_f32_e32 v47, v47, v12
	v_and_b32_e32 v12, 0x7f800000, v47
	s_delay_alu instid0(VALU_DEP_1) | instskip(SKIP_1) | instid1(SALU_CYCLE_1)
	v_cmp_ne_u32_e32 vcc_lo, 0x7f800000, v12
                                        ; implicit-def: $vgpr12
	s_and_saveexec_b32 s11, vcc_lo
	s_xor_b32 s11, exec_lo, s11
; %bb.463:                              ;   in Loop: Header=BB4_339 Depth=2
	v_bfe_u32 v12, v47, 16, 1
	s_delay_alu instid0(VALU_DEP_1)
	v_add3_u32 v12, v47, v12, 0x7fff
                                        ; implicit-def: $vgpr47
; %bb.464:                              ;   in Loop: Header=BB4_339 Depth=2
	s_and_not1_saveexec_b32 s11, s11
; %bb.465:                              ;   in Loop: Header=BB4_339 Depth=2
	v_and_b32_e32 v12, 0xffff, v47
	v_or_b32_e32 v57, 0x10000, v47
	s_delay_alu instid0(VALU_DEP_2) | instskip(NEXT) | instid1(VALU_DEP_2)
	v_cmp_eq_u32_e32 vcc_lo, 0, v12
	v_cndmask_b32_e32 v12, v57, v47, vcc_lo
; %bb.466:                              ;   in Loop: Header=BB4_339 Depth=2
	s_or_b32 exec_lo, exec_lo, s11
	v_and_b32_e32 v47, 0xffff0000, v56
	v_lshlrev_b32_e32 v56, 16, v13
	s_delay_alu instid0(VALU_DEP_1) | instskip(NEXT) | instid1(VALU_DEP_1)
	v_add_f32_e32 v56, v47, v56
	v_and_b32_e32 v47, 0x7f800000, v56
	s_delay_alu instid0(VALU_DEP_1) | instskip(SKIP_1) | instid1(SALU_CYCLE_1)
	v_cmp_ne_u32_e32 vcc_lo, 0x7f800000, v47
                                        ; implicit-def: $vgpr47
	s_and_saveexec_b32 s11, vcc_lo
	s_xor_b32 s11, exec_lo, s11
; %bb.467:                              ;   in Loop: Header=BB4_339 Depth=2
	v_bfe_u32 v47, v56, 16, 1
	s_delay_alu instid0(VALU_DEP_1)
	v_add3_u32 v47, v56, v47, 0x7fff
                                        ; implicit-def: $vgpr56
; %bb.468:                              ;   in Loop: Header=BB4_339 Depth=2
	s_and_not1_saveexec_b32 s11, s11
; %bb.469:                              ;   in Loop: Header=BB4_339 Depth=2
	v_and_b32_e32 v47, 0xffff, v56
	v_or_b32_e32 v57, 0x10000, v56
	s_delay_alu instid0(VALU_DEP_2) | instskip(NEXT) | instid1(VALU_DEP_2)
	v_cmp_eq_u32_e32 vcc_lo, 0, v47
	v_cndmask_b32_e32 v47, v57, v56, vcc_lo
; %bb.470:                              ;   in Loop: Header=BB4_339 Depth=2
	s_or_b32 exec_lo, exec_lo, s11
	v_and_b32_e32 v13, 0xffff0000, v13
	v_and_b32_e32 v46, 0xffff0000, v46
	s_delay_alu instid0(VALU_DEP_1) | instskip(NEXT) | instid1(VALU_DEP_1)
	v_add_f32_e32 v46, v46, v13
	v_and_b32_e32 v13, 0x7f800000, v46
	s_delay_alu instid0(VALU_DEP_1) | instskip(SKIP_1) | instid1(SALU_CYCLE_1)
	v_cmp_ne_u32_e32 vcc_lo, 0x7f800000, v13
                                        ; implicit-def: $vgpr13
	s_and_saveexec_b32 s11, vcc_lo
	s_xor_b32 s11, exec_lo, s11
; %bb.471:                              ;   in Loop: Header=BB4_339 Depth=2
	v_bfe_u32 v13, v46, 16, 1
	s_delay_alu instid0(VALU_DEP_1)
	v_add3_u32 v13, v46, v13, 0x7fff
                                        ; implicit-def: $vgpr46
; %bb.472:                              ;   in Loop: Header=BB4_339 Depth=2
	s_and_not1_saveexec_b32 s11, s11
; %bb.473:                              ;   in Loop: Header=BB4_339 Depth=2
	v_and_b32_e32 v13, 0xffff, v46
	v_or_b32_e32 v56, 0x10000, v46
	s_delay_alu instid0(VALU_DEP_2) | instskip(NEXT) | instid1(VALU_DEP_2)
	v_cmp_eq_u32_e32 vcc_lo, 0, v13
	v_cndmask_b32_e32 v13, v56, v46, vcc_lo
; %bb.474:                              ;   in Loop: Header=BB4_339 Depth=2
	s_or_b32 exec_lo, exec_lo, s11
	v_dual_lshrrev_b32 v100, 16, v100 :: v_dual_lshrrev_b32 v45, 16, v45
	v_dual_lshrrev_b32 v101, 16, v101 :: v_dual_lshrrev_b32 v46, 16, v47
	v_sub_nc_u32_e32 v43, v43, v16
	s_delay_alu instid0(VALU_DEP_3) | instskip(NEXT) | instid1(VALU_DEP_4)
	v_and_or_b32 v11, 0xffff0000, v11, v100
	v_and_or_b32 v10, 0xffff0000, v10, v45
	s_delay_alu instid0(VALU_DEP_4)
	v_and_or_b32 v12, 0xffff0000, v12, v101
	v_and_or_b32 v13, 0xffff0000, v13, v46
	global_store_b128 v[96:97], v[10:13], off th:TH_STORE_NT
	s_wait_xcnt 0x0
	v_add_nc_u64_e32 v[96:97], 0x200, v[96:97]
	scratch_store_b128 off, v[10:13], s33 offset:96
	s_wait_xcnt 0x0
	s_and_saveexec_b32 s11, s44
	s_cbranch_execz .LBB4_338
; %bb.475:                              ;   in Loop: Header=BB4_339 Depth=2
	v_add_nc_u64_e32 v[98:99], v[98:99], v[18:19]
	v_add_nc_u64_e32 v[86:87], v[86:87], v[18:19]
	;; [unrolled: 1-line block ×3, first 2 shown]
	v_dual_sub_nc_u32 v118, v118, v113 :: v_dual_sub_nc_u32 v43, v43, v16
	s_branch .LBB4_338
.LBB4_476:                              ;   in Loop: Header=BB4_49 Depth=1
	s_or_b32 exec_lo, exec_lo, s42
	s_delay_alu instid0(SALU_CYCLE_1)
	s_and_b32 s12, s43, exec_lo
.LBB4_477:                              ;   in Loop: Header=BB4_49 Depth=1
	s_or_b32 exec_lo, exec_lo, s41
	s_and_saveexec_b32 s11, s12
	s_cbranch_execz .LBB4_543
; %bb.478:                              ;   in Loop: Header=BB4_49 Depth=1
	s_trap 2
	scratch_load_b128 v[10:13], off, s33 offset:128
	s_wait_dscnt 0x0
	ds_load_b32 v86, v0
	s_wait_dscnt 0x0
	v_lshlrev_b32_e32 v98, 16, v86
	s_wait_loadcnt 0x0
	v_lshlrev_b32_e32 v86, 16, v10
	s_delay_alu instid0(VALU_DEP_1) | instskip(NEXT) | instid1(VALU_DEP_1)
	v_mul_f32_e32 v86, v98, v86
	v_and_b32_e32 v87, 0x7f800000, v86
	s_delay_alu instid0(VALU_DEP_1) | instskip(SKIP_2) | instid1(SALU_CYCLE_1)
	v_cmp_ne_u32_e32 vcc_lo, 0x7f800000, v87
                                        ; implicit-def: $vgpr87
	s_wait_xcnt 0x0
	s_and_saveexec_b32 s12, vcc_lo
	s_xor_b32 s12, exec_lo, s12
; %bb.479:                              ;   in Loop: Header=BB4_49 Depth=1
	v_bfe_u32 v87, v86, 16, 1
	s_delay_alu instid0(VALU_DEP_1)
	v_add3_u32 v87, v86, v87, 0x7fff
                                        ; implicit-def: $vgpr86
; %bb.480:                              ;   in Loop: Header=BB4_49 Depth=1
	s_and_not1_saveexec_b32 s12, s12
; %bb.481:                              ;   in Loop: Header=BB4_49 Depth=1
	v_and_b32_e32 v87, 0xffff, v86
	v_or_b32_e32 v99, 0x10000, v86
	s_delay_alu instid0(VALU_DEP_2) | instskip(NEXT) | instid1(VALU_DEP_2)
	v_cmp_eq_u32_e32 vcc_lo, 0, v87
	v_cndmask_b32_e32 v87, v99, v86, vcc_lo
; %bb.482:                              ;   in Loop: Header=BB4_49 Depth=1
	s_or_b32 exec_lo, exec_lo, s12
	v_and_b32_e32 v10, 0xffff0000, v10
	s_delay_alu instid0(VALU_DEP_1) | instskip(NEXT) | instid1(VALU_DEP_1)
	v_mul_f32_e32 v10, v98, v10
	v_and_b32_e32 v86, 0x7f800000, v10
	s_delay_alu instid0(VALU_DEP_1) | instskip(SKIP_1) | instid1(SALU_CYCLE_1)
	v_cmp_ne_u32_e32 vcc_lo, 0x7f800000, v86
                                        ; implicit-def: $vgpr86
	s_and_saveexec_b32 s12, vcc_lo
	s_xor_b32 s12, exec_lo, s12
; %bb.483:                              ;   in Loop: Header=BB4_49 Depth=1
	v_bfe_u32 v86, v10, 16, 1
	s_delay_alu instid0(VALU_DEP_1)
	v_add3_u32 v86, v10, v86, 0x7fff
                                        ; implicit-def: $vgpr10
; %bb.484:                              ;   in Loop: Header=BB4_49 Depth=1
	s_and_not1_saveexec_b32 s12, s12
; %bb.485:                              ;   in Loop: Header=BB4_49 Depth=1
	v_and_b32_e32 v86, 0xffff, v10
	v_or_b32_e32 v99, 0x10000, v10
	s_delay_alu instid0(VALU_DEP_2) | instskip(NEXT) | instid1(VALU_DEP_2)
	v_cmp_eq_u32_e32 vcc_lo, 0, v86
	v_cndmask_b32_e32 v86, v99, v10, vcc_lo
; %bb.486:                              ;   in Loop: Header=BB4_49 Depth=1
	s_or_b32 exec_lo, exec_lo, s12
	v_lshlrev_b32_e32 v10, 16, v11
	s_mov_b32 s12, exec_lo
                                        ; implicit-def: $vgpr45
	s_delay_alu instid0(VALU_DEP_1) | instskip(NEXT) | instid1(VALU_DEP_1)
	v_mul_f32_e32 v10, v98, v10
	v_and_b32_e32 v99, 0x7f800000, v10
	s_delay_alu instid0(VALU_DEP_1)
	v_cmpx_ne_u32_e32 0x7f800000, v99
	s_xor_b32 s12, exec_lo, s12
; %bb.487:                              ;   in Loop: Header=BB4_49 Depth=1
	v_bfe_u32 v99, v10, 16, 1
	s_delay_alu instid0(VALU_DEP_1)
	v_add3_u32 v45, v10, v99, 0x7fff
                                        ; implicit-def: $vgpr10
; %bb.488:                              ;   in Loop: Header=BB4_49 Depth=1
	s_and_not1_saveexec_b32 s12, s12
; %bb.489:                              ;   in Loop: Header=BB4_49 Depth=1
	v_and_b32_e32 v99, 0xffff, v10
	v_or_b32_e32 v100, 0x10000, v10
	s_delay_alu instid0(VALU_DEP_2) | instskip(NEXT) | instid1(VALU_DEP_2)
	v_cmp_eq_u32_e32 vcc_lo, 0, v99
	v_cndmask_b32_e32 v45, v100, v10, vcc_lo
; %bb.490:                              ;   in Loop: Header=BB4_49 Depth=1
	s_or_b32 exec_lo, exec_lo, s12
	v_and_b32_e32 v10, 0xffff0000, v11
	s_mov_b32 s12, exec_lo
                                        ; implicit-def: $vgpr118
	s_delay_alu instid0(VALU_DEP_1) | instskip(NEXT) | instid1(VALU_DEP_1)
	v_mul_f32_e32 v10, v98, v10
	v_and_b32_e32 v11, 0x7f800000, v10
	s_delay_alu instid0(VALU_DEP_1)
	v_cmpx_ne_u32_e32 0x7f800000, v11
	s_xor_b32 s12, exec_lo, s12
; %bb.491:                              ;   in Loop: Header=BB4_49 Depth=1
	v_bfe_u32 v11, v10, 16, 1
	s_delay_alu instid0(VALU_DEP_1)
	v_add3_u32 v118, v10, v11, 0x7fff
                                        ; implicit-def: $vgpr10
; %bb.492:                              ;   in Loop: Header=BB4_49 Depth=1
	s_and_not1_saveexec_b32 s12, s12
; %bb.493:                              ;   in Loop: Header=BB4_49 Depth=1
	v_and_b32_e32 v11, 0xffff, v10
	v_or_b32_e32 v99, 0x10000, v10
	s_delay_alu instid0(VALU_DEP_2) | instskip(NEXT) | instid1(VALU_DEP_2)
	v_cmp_eq_u32_e32 vcc_lo, 0, v11
	v_cndmask_b32_e32 v118, v99, v10, vcc_lo
; %bb.494:                              ;   in Loop: Header=BB4_49 Depth=1
	s_or_b32 exec_lo, exec_lo, s12
	v_lshlrev_b32_e32 v10, 16, v12
	s_mov_b32 s12, exec_lo
                                        ; implicit-def: $vgpr44
	s_delay_alu instid0(VALU_DEP_1) | instskip(NEXT) | instid1(VALU_DEP_1)
	v_mul_f32_e32 v10, v98, v10
	v_and_b32_e32 v11, 0x7f800000, v10
	s_delay_alu instid0(VALU_DEP_1)
	v_cmpx_ne_u32_e32 0x7f800000, v11
	s_xor_b32 s12, exec_lo, s12
; %bb.495:                              ;   in Loop: Header=BB4_49 Depth=1
	v_bfe_u32 v11, v10, 16, 1
	s_delay_alu instid0(VALU_DEP_1)
	v_add3_u32 v44, v10, v11, 0x7fff
                                        ; implicit-def: $vgpr10
; %bb.496:                              ;   in Loop: Header=BB4_49 Depth=1
	s_and_not1_saveexec_b32 s12, s12
; %bb.497:                              ;   in Loop: Header=BB4_49 Depth=1
	v_and_b32_e32 v11, 0xffff, v10
	v_or_b32_e32 v99, 0x10000, v10
	s_delay_alu instid0(VALU_DEP_2) | instskip(NEXT) | instid1(VALU_DEP_2)
	v_cmp_eq_u32_e32 vcc_lo, 0, v11
	v_cndmask_b32_e32 v44, v99, v10, vcc_lo
; %bb.498:                              ;   in Loop: Header=BB4_49 Depth=1
	s_or_b32 exec_lo, exec_lo, s12
	v_and_b32_e32 v10, 0xffff0000, v12
	s_mov_b32 s12, exec_lo
                                        ; implicit-def: $vgpr100
	s_delay_alu instid0(VALU_DEP_1) | instskip(NEXT) | instid1(VALU_DEP_1)
	v_mul_f32_e32 v10, v98, v10
	v_and_b32_e32 v11, 0x7f800000, v10
	s_delay_alu instid0(VALU_DEP_1)
	v_cmpx_ne_u32_e32 0x7f800000, v11
	s_xor_b32 s12, exec_lo, s12
; %bb.499:                              ;   in Loop: Header=BB4_49 Depth=1
	v_bfe_u32 v11, v10, 16, 1
	s_delay_alu instid0(VALU_DEP_1)
	v_add3_u32 v100, v10, v11, 0x7fff
                                        ; implicit-def: $vgpr10
; %bb.500:                              ;   in Loop: Header=BB4_49 Depth=1
	s_and_not1_saveexec_b32 s12, s12
; %bb.501:                              ;   in Loop: Header=BB4_49 Depth=1
	v_and_b32_e32 v11, 0xffff, v10
	v_or_b32_e32 v12, 0x10000, v10
	s_delay_alu instid0(VALU_DEP_2) | instskip(NEXT) | instid1(VALU_DEP_2)
	v_cmp_eq_u32_e32 vcc_lo, 0, v11
	v_cndmask_b32_e32 v100, v12, v10, vcc_lo
; %bb.502:                              ;   in Loop: Header=BB4_49 Depth=1
	s_or_b32 exec_lo, exec_lo, s12
	v_lshlrev_b32_e32 v10, 16, v13
	s_mov_b32 s12, exec_lo
                                        ; implicit-def: $vgpr101
	s_delay_alu instid0(VALU_DEP_1) | instskip(NEXT) | instid1(VALU_DEP_1)
	v_mul_f32_e32 v10, v98, v10
	v_and_b32_e32 v11, 0x7f800000, v10
	s_delay_alu instid0(VALU_DEP_1)
	v_cmpx_ne_u32_e32 0x7f800000, v11
	s_xor_b32 s12, exec_lo, s12
; %bb.503:                              ;   in Loop: Header=BB4_49 Depth=1
	v_bfe_u32 v11, v10, 16, 1
	s_delay_alu instid0(VALU_DEP_1)
	v_add3_u32 v101, v10, v11, 0x7fff
                                        ; implicit-def: $vgpr10
; %bb.504:                              ;   in Loop: Header=BB4_49 Depth=1
	s_and_not1_saveexec_b32 s12, s12
; %bb.505:                              ;   in Loop: Header=BB4_49 Depth=1
	v_and_b32_e32 v11, 0xffff, v10
	v_or_b32_e32 v12, 0x10000, v10
	s_delay_alu instid0(VALU_DEP_2) | instskip(NEXT) | instid1(VALU_DEP_2)
	v_cmp_eq_u32_e32 vcc_lo, 0, v11
	v_cndmask_b32_e32 v101, v12, v10, vcc_lo
; %bb.506:                              ;   in Loop: Header=BB4_49 Depth=1
	s_or_b32 exec_lo, exec_lo, s12
	v_and_b32_e32 v10, 0xffff0000, v13
	s_mov_b32 s12, exec_lo
	s_delay_alu instid0(VALU_DEP_1) | instskip(NEXT) | instid1(VALU_DEP_1)
	v_mul_f32_e32 v10, v98, v10
                                        ; implicit-def: $vgpr98
	v_and_b32_e32 v11, 0x7f800000, v10
	s_delay_alu instid0(VALU_DEP_1)
	v_cmpx_ne_u32_e32 0x7f800000, v11
	s_xor_b32 s12, exec_lo, s12
; %bb.507:                              ;   in Loop: Header=BB4_49 Depth=1
	v_bfe_u32 v11, v10, 16, 1
	s_delay_alu instid0(VALU_DEP_1)
	v_add3_u32 v98, v10, v11, 0x7fff
                                        ; implicit-def: $vgpr10
; %bb.508:                              ;   in Loop: Header=BB4_49 Depth=1
	s_and_not1_saveexec_b32 s12, s12
; %bb.509:                              ;   in Loop: Header=BB4_49 Depth=1
	v_and_b32_e32 v11, 0xffff, v10
	v_or_b32_e32 v12, 0x10000, v10
	s_delay_alu instid0(VALU_DEP_2) | instskip(NEXT) | instid1(VALU_DEP_2)
	v_cmp_eq_u32_e32 vcc_lo, 0, v11
	v_cndmask_b32_e32 v98, v12, v10, vcc_lo
; %bb.510:                              ;   in Loop: Header=BB4_49 Depth=1
	s_or_b32 exec_lo, exec_lo, s12
	scratch_load_b128 v[10:13], off, s33 offset:144
	v_and_b32_e32 v87, 0xffff0000, v87
	s_wait_loadcnt 0x0
	v_lshlrev_b32_e32 v99, 16, v10
	s_delay_alu instid0(VALU_DEP_1) | instskip(NEXT) | instid1(VALU_DEP_1)
	v_add_f32_e32 v87, v87, v99
	v_and_b32_e32 v99, 0x7f800000, v87
	s_delay_alu instid0(VALU_DEP_1) | instskip(SKIP_2) | instid1(SALU_CYCLE_1)
	v_cmp_ne_u32_e32 vcc_lo, 0x7f800000, v99
                                        ; implicit-def: $vgpr99
	s_wait_xcnt 0x0
	s_and_saveexec_b32 s12, vcc_lo
	s_xor_b32 s12, exec_lo, s12
; %bb.511:                              ;   in Loop: Header=BB4_49 Depth=1
	v_bfe_u32 v99, v87, 16, 1
	s_delay_alu instid0(VALU_DEP_1)
	v_add3_u32 v99, v87, v99, 0x7fff
                                        ; implicit-def: $vgpr87
; %bb.512:                              ;   in Loop: Header=BB4_49 Depth=1
	s_and_not1_saveexec_b32 s12, s12
; %bb.513:                              ;   in Loop: Header=BB4_49 Depth=1
	v_and_b32_e32 v99, 0xffff, v87
	v_or_b32_e32 v46, 0x10000, v87
	s_delay_alu instid0(VALU_DEP_2) | instskip(NEXT) | instid1(VALU_DEP_2)
	v_cmp_eq_u32_e32 vcc_lo, 0, v99
	v_cndmask_b32_e32 v99, v46, v87, vcc_lo
; %bb.514:                              ;   in Loop: Header=BB4_49 Depth=1
	s_or_b32 exec_lo, exec_lo, s12
	v_and_b32_e32 v87, 0xffff0000, v10
	v_and_b32_e32 v86, 0xffff0000, v86
	s_delay_alu instid0(VALU_DEP_2) | instskip(NEXT) | instid1(VALU_DEP_1)
	v_mov_b32_e32 v10, v87
	v_pk_add_f32 v[86:87], v[10:11], v[86:87]
	s_delay_alu instid0(VALU_DEP_1) | instskip(NEXT) | instid1(VALU_DEP_1)
	v_and_b32_e32 v10, 0x7f800000, v86
	v_cmp_ne_u32_e32 vcc_lo, 0x7f800000, v10
                                        ; implicit-def: $vgpr10
	s_and_saveexec_b32 s12, vcc_lo
	s_delay_alu instid0(SALU_CYCLE_1)
	s_xor_b32 s12, exec_lo, s12
; %bb.515:                              ;   in Loop: Header=BB4_49 Depth=1
	v_bfe_u32 v10, v86, 16, 1
	s_delay_alu instid0(VALU_DEP_1)
	v_add3_u32 v10, v86, v10, 0x7fff
                                        ; implicit-def: $vgpr86_vgpr87
; %bb.516:                              ;   in Loop: Header=BB4_49 Depth=1
	s_and_not1_saveexec_b32 s12, s12
; %bb.517:                              ;   in Loop: Header=BB4_49 Depth=1
	v_and_b32_e32 v10, 0xffff, v86
	v_or_b32_e32 v87, 0x10000, v86
	s_delay_alu instid0(VALU_DEP_2) | instskip(NEXT) | instid1(VALU_DEP_2)
	v_cmp_eq_u32_e32 vcc_lo, 0, v10
	v_cndmask_b32_e32 v10, v87, v86, vcc_lo
; %bb.518:                              ;   in Loop: Header=BB4_49 Depth=1
	s_or_b32 exec_lo, exec_lo, s12
	v_and_b32_e32 v86, 0xffff0000, v45
	v_lshlrev_b32_e32 v87, 16, v11
	s_delay_alu instid0(VALU_DEP_1) | instskip(NEXT) | instid1(VALU_DEP_1)
	v_add_f32_e32 v87, v86, v87
	v_and_b32_e32 v86, 0x7f800000, v87
	s_delay_alu instid0(VALU_DEP_1) | instskip(SKIP_1) | instid1(SALU_CYCLE_1)
	v_cmp_ne_u32_e32 vcc_lo, 0x7f800000, v86
                                        ; implicit-def: $vgpr86
	s_and_saveexec_b32 s12, vcc_lo
	s_xor_b32 s12, exec_lo, s12
; %bb.519:                              ;   in Loop: Header=BB4_49 Depth=1
	v_bfe_u32 v86, v87, 16, 1
	s_delay_alu instid0(VALU_DEP_1)
	v_add3_u32 v86, v87, v86, 0x7fff
                                        ; implicit-def: $vgpr87
; %bb.520:                              ;   in Loop: Header=BB4_49 Depth=1
	s_and_not1_saveexec_b32 s12, s12
; %bb.521:                              ;   in Loop: Header=BB4_49 Depth=1
	v_and_b32_e32 v86, 0xffff, v87
	v_or_b32_e32 v45, 0x10000, v87
	s_delay_alu instid0(VALU_DEP_2) | instskip(NEXT) | instid1(VALU_DEP_2)
	v_cmp_eq_u32_e32 vcc_lo, 0, v86
	v_cndmask_b32_e32 v86, v45, v87, vcc_lo
; %bb.522:                              ;   in Loop: Header=BB4_49 Depth=1
	s_or_b32 exec_lo, exec_lo, s12
	v_and_b32_e32 v11, 0xffff0000, v11
	v_and_b32_e32 v87, 0xffff0000, v118
	s_delay_alu instid0(VALU_DEP_1) | instskip(NEXT) | instid1(VALU_DEP_1)
	v_add_f32_e32 v87, v87, v11
	v_and_b32_e32 v11, 0x7f800000, v87
	s_delay_alu instid0(VALU_DEP_1) | instskip(SKIP_1) | instid1(SALU_CYCLE_1)
	v_cmp_ne_u32_e32 vcc_lo, 0x7f800000, v11
                                        ; implicit-def: $vgpr11
	s_and_saveexec_b32 s12, vcc_lo
	s_xor_b32 s12, exec_lo, s12
; %bb.523:                              ;   in Loop: Header=BB4_49 Depth=1
	v_bfe_u32 v11, v87, 16, 1
	s_delay_alu instid0(VALU_DEP_1)
	v_add3_u32 v11, v87, v11, 0x7fff
                                        ; implicit-def: $vgpr87
; %bb.524:                              ;   in Loop: Header=BB4_49 Depth=1
	s_and_not1_saveexec_b32 s12, s12
; %bb.525:                              ;   in Loop: Header=BB4_49 Depth=1
	v_and_b32_e32 v11, 0xffff, v87
	v_or_b32_e32 v118, 0x10000, v87
	s_delay_alu instid0(VALU_DEP_2) | instskip(NEXT) | instid1(VALU_DEP_2)
	v_cmp_eq_u32_e32 vcc_lo, 0, v11
	v_cndmask_b32_e32 v11, v118, v87, vcc_lo
; %bb.526:                              ;   in Loop: Header=BB4_49 Depth=1
	s_or_b32 exec_lo, exec_lo, s12
	v_and_b32_e32 v87, 0xffff0000, v44
	v_lshlrev_b32_e32 v118, 16, v12
	s_delay_alu instid0(VALU_DEP_1) | instskip(NEXT) | instid1(VALU_DEP_1)
	v_add_f32_e32 v118, v87, v118
	v_and_b32_e32 v87, 0x7f800000, v118
	s_delay_alu instid0(VALU_DEP_1) | instskip(SKIP_1) | instid1(SALU_CYCLE_1)
	v_cmp_ne_u32_e32 vcc_lo, 0x7f800000, v87
                                        ; implicit-def: $vgpr87
	s_and_saveexec_b32 s12, vcc_lo
	s_xor_b32 s12, exec_lo, s12
; %bb.527:                              ;   in Loop: Header=BB4_49 Depth=1
	v_bfe_u32 v87, v118, 16, 1
	s_delay_alu instid0(VALU_DEP_1)
	v_add3_u32 v87, v118, v87, 0x7fff
                                        ; implicit-def: $vgpr118
; %bb.528:                              ;   in Loop: Header=BB4_49 Depth=1
	s_and_not1_saveexec_b32 s12, s12
; %bb.529:                              ;   in Loop: Header=BB4_49 Depth=1
	v_and_b32_e32 v87, 0xffff, v118
	v_or_b32_e32 v44, 0x10000, v118
	s_delay_alu instid0(VALU_DEP_2) | instskip(NEXT) | instid1(VALU_DEP_2)
	v_cmp_eq_u32_e32 vcc_lo, 0, v87
	v_cndmask_b32_e32 v87, v44, v118, vcc_lo
; %bb.530:                              ;   in Loop: Header=BB4_49 Depth=1
	s_or_b32 exec_lo, exec_lo, s12
	v_and_b32_e32 v12, 0xffff0000, v12
	v_and_b32_e32 v100, 0xffff0000, v100
	s_delay_alu instid0(VALU_DEP_1) | instskip(NEXT) | instid1(VALU_DEP_1)
	v_add_f32_e32 v100, v100, v12
	v_and_b32_e32 v12, 0x7f800000, v100
	s_delay_alu instid0(VALU_DEP_1) | instskip(SKIP_1) | instid1(SALU_CYCLE_1)
	v_cmp_ne_u32_e32 vcc_lo, 0x7f800000, v12
                                        ; implicit-def: $vgpr12
	s_and_saveexec_b32 s12, vcc_lo
	s_xor_b32 s12, exec_lo, s12
; %bb.531:                              ;   in Loop: Header=BB4_49 Depth=1
	v_bfe_u32 v12, v100, 16, 1
	s_delay_alu instid0(VALU_DEP_1)
	v_add3_u32 v12, v100, v12, 0x7fff
                                        ; implicit-def: $vgpr100
; %bb.532:                              ;   in Loop: Header=BB4_49 Depth=1
	s_and_not1_saveexec_b32 s12, s12
; %bb.533:                              ;   in Loop: Header=BB4_49 Depth=1
	v_and_b32_e32 v12, 0xffff, v100
	v_or_b32_e32 v118, 0x10000, v100
	s_delay_alu instid0(VALU_DEP_2) | instskip(NEXT) | instid1(VALU_DEP_2)
	v_cmp_eq_u32_e32 vcc_lo, 0, v12
	v_cndmask_b32_e32 v12, v118, v100, vcc_lo
; %bb.534:                              ;   in Loop: Header=BB4_49 Depth=1
	s_or_b32 exec_lo, exec_lo, s12
	v_and_b32_e32 v100, 0xffff0000, v101
	v_lshlrev_b32_e32 v101, 16, v13
	s_delay_alu instid0(VALU_DEP_1) | instskip(NEXT) | instid1(VALU_DEP_1)
	v_add_f32_e32 v101, v100, v101
	v_and_b32_e32 v100, 0x7f800000, v101
	s_delay_alu instid0(VALU_DEP_1) | instskip(SKIP_1) | instid1(SALU_CYCLE_1)
	v_cmp_ne_u32_e32 vcc_lo, 0x7f800000, v100
                                        ; implicit-def: $vgpr100
	s_and_saveexec_b32 s12, vcc_lo
	s_xor_b32 s12, exec_lo, s12
; %bb.535:                              ;   in Loop: Header=BB4_49 Depth=1
	v_bfe_u32 v100, v101, 16, 1
	s_delay_alu instid0(VALU_DEP_1)
	v_add3_u32 v100, v101, v100, 0x7fff
                                        ; implicit-def: $vgpr101
; %bb.536:                              ;   in Loop: Header=BB4_49 Depth=1
	s_and_not1_saveexec_b32 s12, s12
; %bb.537:                              ;   in Loop: Header=BB4_49 Depth=1
	v_and_b32_e32 v100, 0xffff, v101
	v_or_b32_e32 v118, 0x10000, v101
	s_delay_alu instid0(VALU_DEP_2) | instskip(NEXT) | instid1(VALU_DEP_2)
	v_cmp_eq_u32_e32 vcc_lo, 0, v100
	v_cndmask_b32_e32 v100, v118, v101, vcc_lo
; %bb.538:                              ;   in Loop: Header=BB4_49 Depth=1
	s_or_b32 exec_lo, exec_lo, s12
	v_and_b32_e32 v13, 0xffff0000, v13
	v_and_b32_e32 v98, 0xffff0000, v98
	s_delay_alu instid0(VALU_DEP_1) | instskip(NEXT) | instid1(VALU_DEP_1)
	v_add_f32_e32 v98, v98, v13
	v_and_b32_e32 v13, 0x7f800000, v98
	s_delay_alu instid0(VALU_DEP_1) | instskip(SKIP_1) | instid1(SALU_CYCLE_1)
	v_cmp_ne_u32_e32 vcc_lo, 0x7f800000, v13
                                        ; implicit-def: $vgpr13
	s_and_saveexec_b32 s12, vcc_lo
	s_xor_b32 s12, exec_lo, s12
; %bb.539:                              ;   in Loop: Header=BB4_49 Depth=1
	v_bfe_u32 v13, v98, 16, 1
	s_delay_alu instid0(VALU_DEP_1)
	v_add3_u32 v13, v98, v13, 0x7fff
                                        ; implicit-def: $vgpr98
; %bb.540:                              ;   in Loop: Header=BB4_49 Depth=1
	s_and_not1_saveexec_b32 s12, s12
; %bb.541:                              ;   in Loop: Header=BB4_49 Depth=1
	v_and_b32_e32 v13, 0xffff, v98
	v_or_b32_e32 v101, 0x10000, v98
	s_delay_alu instid0(VALU_DEP_2) | instskip(NEXT) | instid1(VALU_DEP_2)
	v_cmp_eq_u32_e32 vcc_lo, 0, v13
	v_cndmask_b32_e32 v13, v101, v98, vcc_lo
; %bb.542:                              ;   in Loop: Header=BB4_49 Depth=1
	s_or_b32 exec_lo, exec_lo, s12
	v_dual_lshrrev_b32 v86, 16, v86 :: v_dual_lshrrev_b32 v98, 16, v99
	v_dual_lshrrev_b32 v87, 16, v87 :: v_dual_lshrrev_b32 v99, 16, v100
	s_delay_alu instid0(VALU_DEP_2) | instskip(NEXT) | instid1(VALU_DEP_3)
	v_and_or_b32 v11, 0xffff0000, v11, v86
	v_and_or_b32 v10, 0xffff0000, v10, v98
	s_delay_alu instid0(VALU_DEP_3) | instskip(NEXT) | instid1(VALU_DEP_4)
	v_and_or_b32 v12, 0xffff0000, v12, v87
	v_and_or_b32 v13, 0xffff0000, v13, v99
	global_store_b128 v[96:97], v[10:13], off th:TH_STORE_NT
.LBB4_543:                              ;   in Loop: Header=BB4_49 Depth=1
	s_wait_xcnt 0x0
	s_or_b32 exec_lo, exec_lo, s11
	v_and_b32_e32 v11, 14, v102
	s_mov_b32 s12, s13
	s_mov_b32 s11, exec_lo
                                        ; implicit-def: $vgpr100
                                        ; implicit-def: $vgpr10
                                        ; implicit-def: $vgpr101
	s_delay_alu instid0(VALU_DEP_1) | instskip(NEXT) | instid1(VALU_DEP_1)
	v_cndmask_b32_e64 v118, v41, v11, s10
	v_cmpx_ne_u32_e32 0, v118
	s_cbranch_execz .LBB4_545
; %bb.544:                              ;   in Loop: Header=BB4_49 Depth=1
	v_cmp_lt_i32_e32 vcc_lo, 0, v43
	s_or_b32 s12, s13, exec_lo
	v_dual_cndmask_b32 v10, 0, v16 :: v_dual_sub_nc_u32 v11, v41, v11
	s_delay_alu instid0(VALU_DEP_1) | instskip(NEXT) | instid1(VALU_DEP_2)
	v_cndmask_b32_e64 v11, 0, v11, s10
	v_sub_nc_u32_e32 v10, v10, v43
	s_delay_alu instid0(VALU_DEP_2) | instskip(NEXT) | instid1(VALU_DEP_2)
	v_add3_u32 v100, v119, v103, v11
	v_lshl_add_u32 v10, v10, 5, v40
	s_delay_alu instid0(VALU_DEP_1) | instskip(NEXT) | instid1(VALU_DEP_1)
	v_ashrrev_i32_e32 v12, 31, v10
	v_lshrrev_b32_e32 v12, 27, v12
	s_delay_alu instid0(VALU_DEP_1) | instskip(NEXT) | instid1(VALU_DEP_1)
	v_add_nc_u32_e32 v12, v10, v12
	v_and_b32_e32 v12, 0xffffffe0, v12
	s_delay_alu instid0(VALU_DEP_1)
	v_sub_nc_u32_e32 v101, v10, v12
.LBB4_545:                              ;   in Loop: Header=BB4_49 Depth=1
	s_or_b32 exec_lo, exec_lo, s11
	s_delay_alu instid0(SALU_CYCLE_1) | instskip(SKIP_1) | instid1(SALU_CYCLE_1)
	s_and_not1_b32 s10, s13, exec_lo
	s_and_b32 s11, s12, exec_lo
	s_or_b32 s13, s10, s11
.LBB4_546:                              ;   in Loop: Header=BB4_49 Depth=1
	s_or_b32 exec_lo, exec_lo, s40
	s_and_saveexec_b32 s14, s13
	s_cbranch_execz .LBB4_690
.LBB4_547:                              ;   in Loop: Header=BB4_49 Depth=1
	s_delay_alu instid0(VALU_DEP_1) | instskip(SKIP_1) | instid1(VALU_DEP_2)
	v_dual_ashrrev_i32 v11, 31, v10 :: v_dual_mov_b32 v45, 0
	v_dual_mov_b32 v44, 0 :: v_dual_mov_b32 v97, 0
	v_dual_mov_b32 v96, 0 :: v_dual_lshrrev_b32 v11, 27, v11
	v_ashrrev_i32_e32 v12, 31, v118
	s_mov_b32 s11, 0
	s_mov_b32 s10, exec_lo
	s_delay_alu instid0(VALU_DEP_2) | instskip(NEXT) | instid1(VALU_DEP_2)
	v_dual_mov_b32 v99, 0 :: v_dual_add_nc_u32 v10, v10, v11
	v_dual_lshrrev_b32 v11, 24, v12 :: v_dual_lshlrev_b32 v12, 1, v101
	s_delay_alu instid0(VALU_DEP_2) | instskip(NEXT) | instid1(VALU_DEP_1)
	v_dual_mov_b32 v98, 0 :: v_dual_ashrrev_i32 v10, 5, v10
	v_dual_add_nc_u32 v11, v118, v11 :: v_dual_lshlrev_b32 v13, 8, v10
	s_delay_alu instid0(VALU_DEP_1) | instskip(SKIP_1) | instid1(VALU_DEP_2)
	v_ashrrev_i32_e32 v102, 8, v11
	s_wait_dscnt 0x0
	v_add3_u32 v86, v100, v12, v13
	s_delay_alu instid0(VALU_DEP_2) | instskip(NEXT) | instid1(VALU_DEP_2)
	v_dual_sub_nc_u32 v103, v102, v10 :: v_dual_mov_b32 v13, 0
	v_dual_mov_b32 v12, 0 :: v_dual_ashrrev_i32 v87, 31, v86
	s_delay_alu instid0(VALU_DEP_1) | instskip(NEXT) | instid1(VALU_DEP_3)
	v_add_nc_u64_e32 v[10:11], v[84:85], v[86:87]
	v_cmpx_lt_i32_e32 0, v103
	s_cbranch_execz .LBB4_619
; %bb.548:                              ;   in Loop: Header=BB4_49 Depth=1
	s_trap 2
	ds_load_b64 v[96:97], v0
	v_add_nc_u64_e32 v[12:13], v[86:87], v[82:83]
	s_mov_b32 s13, 0
	s_mov_b32 s12, 0
                                        ; implicit-def: $sgpr11
                                        ; implicit-def: $vgpr60
                                        ; implicit-def: $vgpr58
                                        ; implicit-def: $vgpr56
                                        ; implicit-def: $vgpr46
                                        ; implicit-def: $vgpr119
                                        ; implicit-def: $vgpr40
                                        ; implicit-def: $vgpr41
                                        ; implicit-def: $vgpr43
	s_wait_dscnt 0x0
	v_add_nc_u64_e32 v[86:87], v[96:97], v[86:87]
	s_branch .LBB4_550
.LBB4_549:                              ;   in Loop: Header=BB4_550 Depth=2
	s_or_b32 exec_lo, exec_lo, s15
	v_dual_cndmask_b32 v47, 0, v16, s13 :: v_dual_cndmask_b32 v73, 0, v65, s13
	v_add_nc_u64_e32 v[44:45], v[12:13], v[20:21]
	v_add_nc_u64_e32 v[62:63], v[86:87], v[20:21]
	v_cndmask_b32_e64 v72, 0x100, v64, s13
	s_delay_alu instid0(VALU_DEP_4)
	v_sub_nc_u32_e32 v103, v103, v47
	s_clause 0x3
	flat_store_d16_hi_b16 v[10:11], v96 th:TH_STORE_NT
	flat_store_d16_hi_b16 v[10:11], v99 offset:64 th:TH_STORE_NT
	flat_store_d16_hi_b16 v[10:11], v98 offset:128 th:TH_STORE_NT
	;; [unrolled: 1-line block ×3, first 2 shown]
	v_cndmask_b32_e64 v13, v13, v45, s13
	v_cmp_gt_i32_e32 vcc_lo, 1, v103
	s_wait_xcnt 0x0
	v_add_nc_u64_e32 v[10:11], v[10:11], v[72:73]
	v_dual_cndmask_b32 v12, v12, v44, s13 :: v_dual_cndmask_b32 v87, v87, v63, s13
	v_cndmask_b32_e64 v86, v86, v62, s13
	s_or_b32 s12, vcc_lo, s12
	s_and_not1_b32 s11, s11, exec_lo
	s_and_b32 s15, s13, exec_lo
	s_delay_alu instid0(SALU_CYCLE_1)
	s_or_b32 s11, s11, s15
	s_and_not1_b32 exec_lo, exec_lo, s12
	s_cbranch_execz .LBB4_618
.LBB4_550:                              ;   Parent Loop BB4_49 Depth=1
                                        ; =>  This Inner Loop Header: Depth=2
	s_clause 0x3
	flat_load_u16 v63, v[12:13] th:TH_LOAD_NT
	flat_load_u16 v62, v[12:13] offset:64 th:TH_LOAD_NT
	flat_load_u16 v61, v[12:13] offset:128 th:TH_LOAD_NT
	;; [unrolled: 1-line block ×3, first 2 shown]
	s_clause 0x3
	flat_load_u16 v57, v[86:87] th:TH_LOAD_NT
	flat_load_u16 v47, v[86:87] offset:64 th:TH_LOAD_NT
	flat_load_u16 v45, v[86:87] offset:128 th:TH_LOAD_NT
	flat_load_u16 v44, v[86:87] offset:192 th:TH_LOAD_NT
	s_wait_xcnt 0x0
	s_and_saveexec_b32 s15, s13
	s_cbranch_execz .LBB4_584
; %bb.551:                              ;   in Loop: Header=BB4_550 Depth=2
	s_trap 2
	ds_load_b32 v96, v0
	s_wait_dscnt 0x0
	v_lshlrev_b32_e32 v97, 16, v96
	s_delay_alu instid0(VALU_DEP_1) | instskip(NEXT) | instid1(VALU_DEP_1)
	v_dual_lshlrev_b32 v96, 16, v60 :: v_dual_mov_b32 v98, v97
	v_pk_mul_f32 v[98:99], v[98:99], v[96:97]
	s_delay_alu instid0(VALU_DEP_1) | instskip(NEXT) | instid1(VALU_DEP_1)
	v_and_b32_e32 v96, 0x7f800000, v98
	v_cmp_ne_u32_e32 vcc_lo, 0x7f800000, v96
                                        ; implicit-def: $vgpr96
	s_and_saveexec_b32 s13, vcc_lo
	s_delay_alu instid0(SALU_CYCLE_1)
	s_xor_b32 s13, exec_lo, s13
; %bb.552:                              ;   in Loop: Header=BB4_550 Depth=2
	v_bfe_u32 v96, v98, 16, 1
	s_delay_alu instid0(VALU_DEP_1)
	v_add3_u32 v96, v98, v96, 0x7fff
                                        ; implicit-def: $vgpr98_vgpr99
; %bb.553:                              ;   in Loop: Header=BB4_550 Depth=2
	s_and_not1_saveexec_b32 s13, s13
; %bb.554:                              ;   in Loop: Header=BB4_550 Depth=2
	v_and_b32_e32 v96, 0xffff, v98
	v_or_b32_e32 v99, 0x10000, v98
	s_delay_alu instid0(VALU_DEP_2) | instskip(NEXT) | instid1(VALU_DEP_2)
	v_cmp_eq_u32_e32 vcc_lo, 0, v96
	v_cndmask_b32_e32 v96, v99, v98, vcc_lo
; %bb.555:                              ;   in Loop: Header=BB4_550 Depth=2
	s_or_b32 exec_lo, exec_lo, s13
	v_lshlrev_b32_e32 v98, 16, v58
	s_delay_alu instid0(VALU_DEP_1) | instskip(NEXT) | instid1(VALU_DEP_1)
	v_mul_f32_e32 v98, v97, v98
	v_and_b32_e32 v99, 0x7f800000, v98
	s_delay_alu instid0(VALU_DEP_1) | instskip(SKIP_1) | instid1(SALU_CYCLE_1)
	v_cmp_ne_u32_e32 vcc_lo, 0x7f800000, v99
                                        ; implicit-def: $vgpr99
	s_and_saveexec_b32 s13, vcc_lo
	s_xor_b32 s13, exec_lo, s13
; %bb.556:                              ;   in Loop: Header=BB4_550 Depth=2
	v_bfe_u32 v99, v98, 16, 1
	s_delay_alu instid0(VALU_DEP_1)
	v_add3_u32 v99, v98, v99, 0x7fff
                                        ; implicit-def: $vgpr98
; %bb.557:                              ;   in Loop: Header=BB4_550 Depth=2
	s_and_not1_saveexec_b32 s13, s13
; %bb.558:                              ;   in Loop: Header=BB4_550 Depth=2
	v_and_b32_e32 v99, 0xffff, v98
	v_or_b32_e32 v58, 0x10000, v98
	s_delay_alu instid0(VALU_DEP_2) | instskip(NEXT) | instid1(VALU_DEP_2)
	v_cmp_eq_u32_e32 vcc_lo, 0, v99
	v_cndmask_b32_e32 v99, v58, v98, vcc_lo
; %bb.559:                              ;   in Loop: Header=BB4_550 Depth=2
	s_or_b32 exec_lo, exec_lo, s13
	v_lshlrev_b32_e32 v98, 16, v56
	s_delay_alu instid0(VALU_DEP_1) | instskip(NEXT) | instid1(VALU_DEP_1)
	v_mul_f32_e32 v56, v97, v98
	v_and_b32_e32 v98, 0x7f800000, v56
	s_delay_alu instid0(VALU_DEP_1) | instskip(SKIP_1) | instid1(SALU_CYCLE_1)
	v_cmp_ne_u32_e32 vcc_lo, 0x7f800000, v98
                                        ; implicit-def: $vgpr98
	s_and_saveexec_b32 s13, vcc_lo
	s_xor_b32 s13, exec_lo, s13
; %bb.560:                              ;   in Loop: Header=BB4_550 Depth=2
	v_bfe_u32 v98, v56, 16, 1
	s_delay_alu instid0(VALU_DEP_1)
	v_add3_u32 v98, v56, v98, 0x7fff
                                        ; implicit-def: $vgpr56
; %bb.561:                              ;   in Loop: Header=BB4_550 Depth=2
	s_and_not1_saveexec_b32 s13, s13
; %bb.562:                              ;   in Loop: Header=BB4_550 Depth=2
	v_and_b32_e32 v98, 0xffff, v56
	v_or_b32_e32 v58, 0x10000, v56
	s_delay_alu instid0(VALU_DEP_2) | instskip(NEXT) | instid1(VALU_DEP_2)
	v_cmp_eq_u32_e32 vcc_lo, 0, v98
	v_cndmask_b32_e32 v98, v58, v56, vcc_lo
; %bb.563:                              ;   in Loop: Header=BB4_550 Depth=2
	s_or_b32 exec_lo, exec_lo, s13
	v_lshlrev_b32_e32 v46, 16, v46
	s_delay_alu instid0(VALU_DEP_1) | instskip(NEXT) | instid1(VALU_DEP_1)
	v_mul_f32_e32 v46, v97, v46
	v_and_b32_e32 v97, 0x7f800000, v46
	s_delay_alu instid0(VALU_DEP_1) | instskip(SKIP_1) | instid1(SALU_CYCLE_1)
	v_cmp_ne_u32_e32 vcc_lo, 0x7f800000, v97
                                        ; implicit-def: $vgpr97
	s_and_saveexec_b32 s13, vcc_lo
	s_xor_b32 s13, exec_lo, s13
; %bb.564:                              ;   in Loop: Header=BB4_550 Depth=2
	v_bfe_u32 v97, v46, 16, 1
	s_delay_alu instid0(VALU_DEP_1)
	v_add3_u32 v97, v46, v97, 0x7fff
                                        ; implicit-def: $vgpr46
; %bb.565:                              ;   in Loop: Header=BB4_550 Depth=2
	s_and_not1_saveexec_b32 s13, s13
; %bb.566:                              ;   in Loop: Header=BB4_550 Depth=2
	v_and_b32_e32 v97, 0xffff, v46
	v_or_b32_e32 v56, 0x10000, v46
	s_delay_alu instid0(VALU_DEP_2) | instskip(NEXT) | instid1(VALU_DEP_2)
	v_cmp_eq_u32_e32 vcc_lo, 0, v97
	v_cndmask_b32_e32 v97, v56, v46, vcc_lo
; %bb.567:                              ;   in Loop: Header=BB4_550 Depth=2
	s_or_b32 exec_lo, exec_lo, s13
	v_and_b32_e32 v96, 0xffff0000, v96
	v_lshlrev_b32_e32 v46, 16, v119
	s_delay_alu instid0(VALU_DEP_1) | instskip(NEXT) | instid1(VALU_DEP_1)
	v_add_f32_e32 v46, v46, v96
	v_and_b32_e32 v96, 0x7f800000, v46
	s_delay_alu instid0(VALU_DEP_1) | instskip(SKIP_1) | instid1(SALU_CYCLE_1)
	v_cmp_ne_u32_e32 vcc_lo, 0x7f800000, v96
                                        ; implicit-def: $vgpr96
	s_and_saveexec_b32 s13, vcc_lo
	s_xor_b32 s13, exec_lo, s13
; %bb.568:                              ;   in Loop: Header=BB4_550 Depth=2
	v_bfe_u32 v96, v46, 16, 1
	s_delay_alu instid0(VALU_DEP_1)
	v_add3_u32 v96, v46, v96, 0x7fff
                                        ; implicit-def: $vgpr46
; %bb.569:                              ;   in Loop: Header=BB4_550 Depth=2
	s_and_not1_saveexec_b32 s13, s13
; %bb.570:                              ;   in Loop: Header=BB4_550 Depth=2
	v_and_b32_e32 v96, 0xffff, v46
	v_or_b32_e32 v56, 0x10000, v46
	s_delay_alu instid0(VALU_DEP_2) | instskip(NEXT) | instid1(VALU_DEP_2)
	v_cmp_eq_u32_e32 vcc_lo, 0, v96
	v_cndmask_b32_e32 v96, v56, v46, vcc_lo
; %bb.571:                              ;   in Loop: Header=BB4_550 Depth=2
	s_or_b32 exec_lo, exec_lo, s13
	v_and_b32_e32 v99, 0xffff0000, v99
	v_lshlrev_b32_e32 v46, 16, v40
	s_delay_alu instid0(VALU_DEP_1) | instskip(NEXT) | instid1(VALU_DEP_1)
	v_add_f32_e32 v46, v46, v99
	v_and_b32_e32 v99, 0x7f800000, v46
	s_delay_alu instid0(VALU_DEP_1) | instskip(SKIP_1) | instid1(SALU_CYCLE_1)
	v_cmp_ne_u32_e32 vcc_lo, 0x7f800000, v99
                                        ; implicit-def: $vgpr99
	s_and_saveexec_b32 s13, vcc_lo
	s_xor_b32 s13, exec_lo, s13
; %bb.572:                              ;   in Loop: Header=BB4_550 Depth=2
	v_bfe_u32 v99, v46, 16, 1
	s_delay_alu instid0(VALU_DEP_1)
	v_add3_u32 v99, v46, v99, 0x7fff
                                        ; implicit-def: $vgpr46
; %bb.573:                              ;   in Loop: Header=BB4_550 Depth=2
	s_and_not1_saveexec_b32 s13, s13
; %bb.574:                              ;   in Loop: Header=BB4_550 Depth=2
	v_and_b32_e32 v99, 0xffff, v46
	v_or_b32_e32 v56, 0x10000, v46
	s_delay_alu instid0(VALU_DEP_2) | instskip(NEXT) | instid1(VALU_DEP_2)
	v_cmp_eq_u32_e32 vcc_lo, 0, v99
	v_cndmask_b32_e32 v99, v56, v46, vcc_lo
; %bb.575:                              ;   in Loop: Header=BB4_550 Depth=2
	s_or_b32 exec_lo, exec_lo, s13
	v_and_b32_e32 v98, 0xffff0000, v98
	v_lshlrev_b32_e32 v46, 16, v41
	s_delay_alu instid0(VALU_DEP_1) | instskip(NEXT) | instid1(VALU_DEP_1)
	v_add_f32_e32 v46, v46, v98
	v_and_b32_e32 v98, 0x7f800000, v46
	s_delay_alu instid0(VALU_DEP_1) | instskip(SKIP_1) | instid1(SALU_CYCLE_1)
	v_cmp_ne_u32_e32 vcc_lo, 0x7f800000, v98
                                        ; implicit-def: $vgpr98
	s_and_saveexec_b32 s13, vcc_lo
	s_xor_b32 s13, exec_lo, s13
; %bb.576:                              ;   in Loop: Header=BB4_550 Depth=2
	v_bfe_u32 v98, v46, 16, 1
	s_delay_alu instid0(VALU_DEP_1)
	v_add3_u32 v98, v46, v98, 0x7fff
                                        ; implicit-def: $vgpr46
; %bb.577:                              ;   in Loop: Header=BB4_550 Depth=2
	s_and_not1_saveexec_b32 s13, s13
; %bb.578:                              ;   in Loop: Header=BB4_550 Depth=2
	v_and_b32_e32 v98, 0xffff, v46
	v_or_b32_e32 v56, 0x10000, v46
	s_delay_alu instid0(VALU_DEP_2) | instskip(NEXT) | instid1(VALU_DEP_2)
	v_cmp_eq_u32_e32 vcc_lo, 0, v98
	v_cndmask_b32_e32 v98, v56, v46, vcc_lo
; %bb.579:                              ;   in Loop: Header=BB4_550 Depth=2
	s_or_b32 exec_lo, exec_lo, s13
	v_and_b32_e32 v97, 0xffff0000, v97
	v_lshlrev_b32_e32 v46, 16, v43
	s_delay_alu instid0(VALU_DEP_1) | instskip(NEXT) | instid1(VALU_DEP_1)
	v_add_f32_e32 v46, v46, v97
	v_and_b32_e32 v97, 0x7f800000, v46
	s_delay_alu instid0(VALU_DEP_1) | instskip(SKIP_1) | instid1(SALU_CYCLE_1)
	v_cmp_ne_u32_e32 vcc_lo, 0x7f800000, v97
                                        ; implicit-def: $vgpr97
	s_and_saveexec_b32 s13, vcc_lo
	s_xor_b32 s13, exec_lo, s13
; %bb.580:                              ;   in Loop: Header=BB4_550 Depth=2
	v_bfe_u32 v97, v46, 16, 1
	s_delay_alu instid0(VALU_DEP_1)
	v_add3_u32 v97, v46, v97, 0x7fff
                                        ; implicit-def: $vgpr46
; %bb.581:                              ;   in Loop: Header=BB4_550 Depth=2
	s_and_not1_saveexec_b32 s13, s13
; %bb.582:                              ;   in Loop: Header=BB4_550 Depth=2
	v_and_b32_e32 v97, 0xffff, v46
	v_or_b32_e32 v56, 0x10000, v46
	s_delay_alu instid0(VALU_DEP_2) | instskip(NEXT) | instid1(VALU_DEP_2)
	v_cmp_eq_u32_e32 vcc_lo, 0, v97
	v_cndmask_b32_e32 v97, v56, v46, vcc_lo
; %bb.583:                              ;   in Loop: Header=BB4_550 Depth=2
	s_or_b32 exec_lo, exec_lo, s13
	v_dual_lshrrev_b32 v60, 16, v96 :: v_dual_lshrrev_b32 v58, 16, v99
	s_delay_alu instid0(VALU_DEP_2)
	v_dual_lshrrev_b32 v56, 16, v98 :: v_dual_lshrrev_b32 v46, 16, v97
	s_clause 0x3
	flat_store_b16 v[10:11], v60 th:TH_STORE_NT
	flat_store_b16 v[10:11], v58 offset:64 th:TH_STORE_NT
	flat_store_b16 v[10:11], v56 offset:128 th:TH_STORE_NT
	;; [unrolled: 1-line block ×3, first 2 shown]
	s_wait_xcnt 0x0
	v_add_nc_u64_e32 v[10:11], v[10:11], v[64:65]
.LBB4_584:                              ;   in Loop: Header=BB4_550 Depth=2
	s_or_b32 exec_lo, exec_lo, s15
	v_sub_nc_u32_e32 v103, v103, v16
	v_add_nc_u64_e32 v[12:13], v[12:13], v[64:65]
	v_add_nc_u64_e32 v[86:87], v[86:87], v[64:65]
	s_delay_alu instid0(VALU_DEP_3)
	v_cmp_lt_i32_e64 s13, 0, v103
	s_and_saveexec_b32 s15, s13
	s_cbranch_execz .LBB4_586
; %bb.585:                              ;   in Loop: Header=BB4_550 Depth=2
	s_clause 0x3
	flat_load_u16 v60, v[12:13] th:TH_LOAD_NT
	flat_load_u16 v58, v[12:13] offset:64 th:TH_LOAD_NT
	flat_load_u16 v56, v[12:13] offset:128 th:TH_LOAD_NT
	;; [unrolled: 1-line block ×3, first 2 shown]
	s_clause 0x3
	flat_load_u16 v119, v[86:87] th:TH_LOAD_NT
	flat_load_u16 v40, v[86:87] offset:64 th:TH_LOAD_NT
	flat_load_u16 v41, v[86:87] offset:128 th:TH_LOAD_NT
	;; [unrolled: 1-line block ×3, first 2 shown]
	s_wait_xcnt 0x4
	v_add_nc_u64_e32 v[12:13], 0x100, v[12:13]
	s_wait_xcnt 0x0
	v_add_nc_u64_e32 v[86:87], 0x100, v[86:87]
.LBB4_586:                              ;   in Loop: Header=BB4_550 Depth=2
	s_or_b32 exec_lo, exec_lo, s15
	s_trap 2
	ds_load_b32 v96, v0
	s_wait_loadcnt_dscnt 0x700
	v_dual_lshlrev_b32 v97, 16, v96 :: v_dual_lshlrev_b32 v96, 16, v63
	s_delay_alu instid0(VALU_DEP_1) | instskip(NEXT) | instid1(VALU_DEP_1)
	v_mov_b32_e32 v98, v97
	v_pk_mul_f32 v[98:99], v[98:99], v[96:97]
	s_delay_alu instid0(VALU_DEP_1) | instskip(NEXT) | instid1(VALU_DEP_1)
	v_and_b32_e32 v96, 0x7f800000, v98
	v_cmp_ne_u32_e32 vcc_lo, 0x7f800000, v96
                                        ; implicit-def: $vgpr96
	s_and_saveexec_b32 s15, vcc_lo
	s_delay_alu instid0(SALU_CYCLE_1)
	s_xor_b32 s15, exec_lo, s15
; %bb.587:                              ;   in Loop: Header=BB4_550 Depth=2
	v_bfe_u32 v96, v98, 16, 1
	s_delay_alu instid0(VALU_DEP_1)
	v_add3_u32 v96, v98, v96, 0x7fff
                                        ; implicit-def: $vgpr98_vgpr99
; %bb.588:                              ;   in Loop: Header=BB4_550 Depth=2
	s_and_not1_saveexec_b32 s15, s15
; %bb.589:                              ;   in Loop: Header=BB4_550 Depth=2
	v_and_b32_e32 v96, 0xffff, v98
	v_or_b32_e32 v99, 0x10000, v98
	s_delay_alu instid0(VALU_DEP_2) | instskip(NEXT) | instid1(VALU_DEP_2)
	v_cmp_eq_u32_e32 vcc_lo, 0, v96
	v_cndmask_b32_e32 v96, v99, v98, vcc_lo
; %bb.590:                              ;   in Loop: Header=BB4_550 Depth=2
	s_or_b32 exec_lo, exec_lo, s15
	s_wait_loadcnt 0x6
	v_lshlrev_b32_e32 v98, 16, v62
	s_delay_alu instid0(VALU_DEP_1) | instskip(NEXT) | instid1(VALU_DEP_1)
	v_mul_f32_e32 v98, v97, v98
	v_and_b32_e32 v99, 0x7f800000, v98
	s_delay_alu instid0(VALU_DEP_1) | instskip(SKIP_1) | instid1(SALU_CYCLE_1)
	v_cmp_ne_u32_e32 vcc_lo, 0x7f800000, v99
                                        ; implicit-def: $vgpr99
	s_and_saveexec_b32 s15, vcc_lo
	s_xor_b32 s15, exec_lo, s15
; %bb.591:                              ;   in Loop: Header=BB4_550 Depth=2
	v_bfe_u32 v99, v98, 16, 1
	s_delay_alu instid0(VALU_DEP_1)
	v_add3_u32 v99, v98, v99, 0x7fff
                                        ; implicit-def: $vgpr98
; %bb.592:                              ;   in Loop: Header=BB4_550 Depth=2
	s_and_not1_saveexec_b32 s15, s15
; %bb.593:                              ;   in Loop: Header=BB4_550 Depth=2
	v_and_b32_e32 v99, 0xffff, v98
	v_or_b32_e32 v62, 0x10000, v98
	s_delay_alu instid0(VALU_DEP_2) | instskip(NEXT) | instid1(VALU_DEP_2)
	v_cmp_eq_u32_e32 vcc_lo, 0, v99
	v_cndmask_b32_e32 v99, v62, v98, vcc_lo
; %bb.594:                              ;   in Loop: Header=BB4_550 Depth=2
	s_or_b32 exec_lo, exec_lo, s15
	s_wait_loadcnt 0x5
	v_lshlrev_b32_e32 v98, 16, v61
	s_delay_alu instid0(VALU_DEP_1) | instskip(NEXT) | instid1(VALU_DEP_1)
	v_mul_f32_e32 v61, v97, v98
	v_and_b32_e32 v98, 0x7f800000, v61
	s_delay_alu instid0(VALU_DEP_1) | instskip(SKIP_1) | instid1(SALU_CYCLE_1)
	v_cmp_ne_u32_e32 vcc_lo, 0x7f800000, v98
                                        ; implicit-def: $vgpr98
	s_and_saveexec_b32 s15, vcc_lo
	s_xor_b32 s15, exec_lo, s15
; %bb.595:                              ;   in Loop: Header=BB4_550 Depth=2
	v_bfe_u32 v98, v61, 16, 1
	s_delay_alu instid0(VALU_DEP_1)
	v_add3_u32 v98, v61, v98, 0x7fff
                                        ; implicit-def: $vgpr61
; %bb.596:                              ;   in Loop: Header=BB4_550 Depth=2
	s_and_not1_saveexec_b32 s15, s15
; %bb.597:                              ;   in Loop: Header=BB4_550 Depth=2
	v_and_b32_e32 v98, 0xffff, v61
	v_or_b32_e32 v62, 0x10000, v61
	s_delay_alu instid0(VALU_DEP_2) | instskip(NEXT) | instid1(VALU_DEP_2)
	v_cmp_eq_u32_e32 vcc_lo, 0, v98
	v_cndmask_b32_e32 v98, v62, v61, vcc_lo
; %bb.598:                              ;   in Loop: Header=BB4_550 Depth=2
	s_or_b32 exec_lo, exec_lo, s15
	s_wait_loadcnt 0x4
	v_lshlrev_b32_e32 v59, 16, v59
	s_delay_alu instid0(VALU_DEP_1) | instskip(NEXT) | instid1(VALU_DEP_1)
	v_mul_f32_e32 v59, v97, v59
	v_and_b32_e32 v97, 0x7f800000, v59
	s_delay_alu instid0(VALU_DEP_1) | instskip(SKIP_1) | instid1(SALU_CYCLE_1)
	v_cmp_ne_u32_e32 vcc_lo, 0x7f800000, v97
                                        ; implicit-def: $vgpr97
	s_and_saveexec_b32 s15, vcc_lo
	s_xor_b32 s15, exec_lo, s15
; %bb.599:                              ;   in Loop: Header=BB4_550 Depth=2
	v_bfe_u32 v97, v59, 16, 1
	s_delay_alu instid0(VALU_DEP_1)
	v_add3_u32 v97, v59, v97, 0x7fff
                                        ; implicit-def: $vgpr59
; %bb.600:                              ;   in Loop: Header=BB4_550 Depth=2
	s_and_not1_saveexec_b32 s15, s15
; %bb.601:                              ;   in Loop: Header=BB4_550 Depth=2
	v_and_b32_e32 v97, 0xffff, v59
	v_or_b32_e32 v61, 0x10000, v59
	s_delay_alu instid0(VALU_DEP_2) | instskip(NEXT) | instid1(VALU_DEP_2)
	v_cmp_eq_u32_e32 vcc_lo, 0, v97
	v_cndmask_b32_e32 v97, v61, v59, vcc_lo
; %bb.602:                              ;   in Loop: Header=BB4_550 Depth=2
	s_or_b32 exec_lo, exec_lo, s15
	v_and_b32_e32 v96, 0xffff0000, v96
	s_wait_loadcnt 0x3
	v_lshlrev_b32_e32 v57, 16, v57
	s_delay_alu instid0(VALU_DEP_1) | instskip(NEXT) | instid1(VALU_DEP_1)
	v_add_f32_e32 v57, v57, v96
	v_and_b32_e32 v96, 0x7f800000, v57
	s_delay_alu instid0(VALU_DEP_1) | instskip(SKIP_1) | instid1(SALU_CYCLE_1)
	v_cmp_ne_u32_e32 vcc_lo, 0x7f800000, v96
                                        ; implicit-def: $vgpr96
	s_and_saveexec_b32 s15, vcc_lo
	s_xor_b32 s15, exec_lo, s15
; %bb.603:                              ;   in Loop: Header=BB4_550 Depth=2
	v_bfe_u32 v96, v57, 16, 1
	s_delay_alu instid0(VALU_DEP_1)
	v_add3_u32 v96, v57, v96, 0x7fff
                                        ; implicit-def: $vgpr57
; %bb.604:                              ;   in Loop: Header=BB4_550 Depth=2
	s_and_not1_saveexec_b32 s15, s15
; %bb.605:                              ;   in Loop: Header=BB4_550 Depth=2
	v_and_b32_e32 v96, 0xffff, v57
	v_or_b32_e32 v59, 0x10000, v57
	s_delay_alu instid0(VALU_DEP_2) | instskip(NEXT) | instid1(VALU_DEP_2)
	v_cmp_eq_u32_e32 vcc_lo, 0, v96
	v_cndmask_b32_e32 v96, v59, v57, vcc_lo
; %bb.606:                              ;   in Loop: Header=BB4_550 Depth=2
	s_or_b32 exec_lo, exec_lo, s15
	v_and_b32_e32 v99, 0xffff0000, v99
	s_wait_loadcnt 0x2
	v_lshlrev_b32_e32 v47, 16, v47
	s_delay_alu instid0(VALU_DEP_1) | instskip(NEXT) | instid1(VALU_DEP_1)
	v_add_f32_e32 v47, v47, v99
	v_and_b32_e32 v99, 0x7f800000, v47
	s_delay_alu instid0(VALU_DEP_1) | instskip(SKIP_1) | instid1(SALU_CYCLE_1)
	v_cmp_ne_u32_e32 vcc_lo, 0x7f800000, v99
                                        ; implicit-def: $vgpr99
	s_and_saveexec_b32 s15, vcc_lo
	s_xor_b32 s15, exec_lo, s15
; %bb.607:                              ;   in Loop: Header=BB4_550 Depth=2
	v_bfe_u32 v99, v47, 16, 1
	s_delay_alu instid0(VALU_DEP_1)
	v_add3_u32 v99, v47, v99, 0x7fff
                                        ; implicit-def: $vgpr47
; %bb.608:                              ;   in Loop: Header=BB4_550 Depth=2
	s_and_not1_saveexec_b32 s15, s15
; %bb.609:                              ;   in Loop: Header=BB4_550 Depth=2
	v_and_b32_e32 v99, 0xffff, v47
	v_or_b32_e32 v57, 0x10000, v47
	s_delay_alu instid0(VALU_DEP_2) | instskip(NEXT) | instid1(VALU_DEP_2)
	v_cmp_eq_u32_e32 vcc_lo, 0, v99
	v_cndmask_b32_e32 v99, v57, v47, vcc_lo
; %bb.610:                              ;   in Loop: Header=BB4_550 Depth=2
	s_or_b32 exec_lo, exec_lo, s15
	v_and_b32_e32 v98, 0xffff0000, v98
	s_wait_loadcnt 0x1
	v_lshlrev_b32_e32 v45, 16, v45
	s_delay_alu instid0(VALU_DEP_1) | instskip(NEXT) | instid1(VALU_DEP_1)
	v_add_f32_e32 v45, v45, v98
	v_and_b32_e32 v98, 0x7f800000, v45
	s_delay_alu instid0(VALU_DEP_1) | instskip(SKIP_1) | instid1(SALU_CYCLE_1)
	v_cmp_ne_u32_e32 vcc_lo, 0x7f800000, v98
                                        ; implicit-def: $vgpr98
	s_and_saveexec_b32 s15, vcc_lo
	s_xor_b32 s15, exec_lo, s15
; %bb.611:                              ;   in Loop: Header=BB4_550 Depth=2
	v_bfe_u32 v98, v45, 16, 1
	s_delay_alu instid0(VALU_DEP_1)
	v_add3_u32 v98, v45, v98, 0x7fff
                                        ; implicit-def: $vgpr45
; %bb.612:                              ;   in Loop: Header=BB4_550 Depth=2
	s_and_not1_saveexec_b32 s15, s15
; %bb.613:                              ;   in Loop: Header=BB4_550 Depth=2
	v_and_b32_e32 v98, 0xffff, v45
	v_or_b32_e32 v47, 0x10000, v45
	s_delay_alu instid0(VALU_DEP_2) | instskip(NEXT) | instid1(VALU_DEP_2)
	v_cmp_eq_u32_e32 vcc_lo, 0, v98
	v_cndmask_b32_e32 v98, v47, v45, vcc_lo
; %bb.614:                              ;   in Loop: Header=BB4_550 Depth=2
	s_or_b32 exec_lo, exec_lo, s15
	v_and_b32_e32 v97, 0xffff0000, v97
	s_wait_loadcnt 0x0
	v_lshlrev_b32_e32 v44, 16, v44
	s_delay_alu instid0(VALU_DEP_1) | instskip(NEXT) | instid1(VALU_DEP_1)
	v_add_f32_e32 v44, v44, v97
	v_and_b32_e32 v97, 0x7f800000, v44
	s_delay_alu instid0(VALU_DEP_1) | instskip(SKIP_1) | instid1(SALU_CYCLE_1)
	v_cmp_ne_u32_e32 vcc_lo, 0x7f800000, v97
                                        ; implicit-def: $vgpr97
	s_and_saveexec_b32 s15, vcc_lo
	s_xor_b32 s15, exec_lo, s15
; %bb.615:                              ;   in Loop: Header=BB4_550 Depth=2
	v_bfe_u32 v97, v44, 16, 1
	s_delay_alu instid0(VALU_DEP_1)
	v_add3_u32 v97, v44, v97, 0x7fff
                                        ; implicit-def: $vgpr44
; %bb.616:                              ;   in Loop: Header=BB4_550 Depth=2
	s_and_not1_saveexec_b32 s15, s15
	s_cbranch_execz .LBB4_549
; %bb.617:                              ;   in Loop: Header=BB4_550 Depth=2
	v_and_b32_e32 v97, 0xffff, v44
	v_or_b32_e32 v45, 0x10000, v44
	s_delay_alu instid0(VALU_DEP_2) | instskip(NEXT) | instid1(VALU_DEP_2)
	v_cmp_eq_u32_e32 vcc_lo, 0, v97
	v_cndmask_b32_e32 v97, v45, v44, vcc_lo
	s_branch .LBB4_549
.LBB4_618:                              ;   in Loop: Header=BB4_49 Depth=1
	s_or_b32 exec_lo, exec_lo, s12
	v_dual_lshlrev_b32 v45, 16, v60 :: v_dual_lshlrev_b32 v44, 16, v58
	v_dual_lshlrev_b32 v99, 16, v56 :: v_dual_lshlrev_b32 v98, 16, v46
	;; [unrolled: 1-line block ×4, first 2 shown]
	s_and_b32 s11, s11, exec_lo
.LBB4_619:                              ;   in Loop: Header=BB4_49 Depth=1
	s_or_b32 exec_lo, exec_lo, s10
	s_and_saveexec_b32 s10, s11
	s_cbranch_execz .LBB4_653
; %bb.620:                              ;   in Loop: Header=BB4_49 Depth=1
	s_trap 2
	ds_load_b32 v86, v0
	s_wait_dscnt 0x0
	v_lshlrev_b32_e32 v86, 16, v86
	s_delay_alu instid0(VALU_DEP_1) | instskip(NEXT) | instid1(VALU_DEP_1)
	v_mul_f32_e32 v119, v45, v86
	v_and_b32_e32 v87, 0x7f800000, v119
	s_delay_alu instid0(VALU_DEP_1) | instskip(SKIP_1) | instid1(SALU_CYCLE_1)
	v_cmp_ne_u32_e32 vcc_lo, 0x7f800000, v87
                                        ; implicit-def: $vgpr87
	s_and_saveexec_b32 s11, vcc_lo
	s_xor_b32 s11, exec_lo, s11
; %bb.621:                              ;   in Loop: Header=BB4_49 Depth=1
	v_bfe_u32 v87, v119, 16, 1
	s_delay_alu instid0(VALU_DEP_1)
	v_add3_u32 v87, v119, v87, 0x7fff
                                        ; implicit-def: $vgpr119
; %bb.622:                              ;   in Loop: Header=BB4_49 Depth=1
	s_and_not1_saveexec_b32 s11, s11
; %bb.623:                              ;   in Loop: Header=BB4_49 Depth=1
	v_and_b32_e32 v87, 0xffff, v119
	v_or_b32_e32 v40, 0x10000, v119
	s_delay_alu instid0(VALU_DEP_2) | instskip(NEXT) | instid1(VALU_DEP_2)
	v_cmp_eq_u32_e32 vcc_lo, 0, v87
	v_cndmask_b32_e32 v87, v40, v119, vcc_lo
; %bb.624:                              ;   in Loop: Header=BB4_49 Depth=1
	s_or_b32 exec_lo, exec_lo, s11
	v_mul_f32_e32 v40, v44, v86
	s_delay_alu instid0(VALU_DEP_1) | instskip(NEXT) | instid1(VALU_DEP_1)
	v_and_b32_e32 v119, 0x7f800000, v40
	v_cmp_ne_u32_e32 vcc_lo, 0x7f800000, v119
                                        ; implicit-def: $vgpr119
	s_and_saveexec_b32 s11, vcc_lo
	s_delay_alu instid0(SALU_CYCLE_1)
	s_xor_b32 s11, exec_lo, s11
; %bb.625:                              ;   in Loop: Header=BB4_49 Depth=1
	v_bfe_u32 v119, v40, 16, 1
	s_delay_alu instid0(VALU_DEP_1)
	v_add3_u32 v119, v40, v119, 0x7fff
                                        ; implicit-def: $vgpr40
; %bb.626:                              ;   in Loop: Header=BB4_49 Depth=1
	s_and_not1_saveexec_b32 s11, s11
; %bb.627:                              ;   in Loop: Header=BB4_49 Depth=1
	v_and_b32_e32 v119, 0xffff, v40
	v_or_b32_e32 v41, 0x10000, v40
	s_delay_alu instid0(VALU_DEP_2) | instskip(NEXT) | instid1(VALU_DEP_2)
	v_cmp_eq_u32_e32 vcc_lo, 0, v119
	v_cndmask_b32_e32 v119, v41, v40, vcc_lo
; %bb.628:                              ;   in Loop: Header=BB4_49 Depth=1
	s_or_b32 exec_lo, exec_lo, s11
	v_mul_f32_e32 v40, v99, v86
	s_delay_alu instid0(VALU_DEP_1) | instskip(NEXT) | instid1(VALU_DEP_1)
	v_and_b32_e32 v99, 0x7f800000, v40
	v_cmp_ne_u32_e32 vcc_lo, 0x7f800000, v99
                                        ; implicit-def: $vgpr99
	s_and_saveexec_b32 s11, vcc_lo
	s_delay_alu instid0(SALU_CYCLE_1)
	s_xor_b32 s11, exec_lo, s11
; %bb.629:                              ;   in Loop: Header=BB4_49 Depth=1
	v_bfe_u32 v99, v40, 16, 1
	s_delay_alu instid0(VALU_DEP_1)
	v_add3_u32 v99, v40, v99, 0x7fff
                                        ; implicit-def: $vgpr40
; %bb.630:                              ;   in Loop: Header=BB4_49 Depth=1
	s_and_not1_saveexec_b32 s11, s11
; %bb.631:                              ;   in Loop: Header=BB4_49 Depth=1
	v_and_b32_e32 v99, 0xffff, v40
	v_or_b32_e32 v41, 0x10000, v40
	s_delay_alu instid0(VALU_DEP_2) | instskip(NEXT) | instid1(VALU_DEP_2)
	v_cmp_eq_u32_e32 vcc_lo, 0, v99
	v_cndmask_b32_e32 v99, v41, v40, vcc_lo
; %bb.632:                              ;   in Loop: Header=BB4_49 Depth=1
	s_or_b32 exec_lo, exec_lo, s11
	v_mul_f32_e32 v98, v98, v86
	s_delay_alu instid0(VALU_DEP_1) | instskip(NEXT) | instid1(VALU_DEP_1)
	v_and_b32_e32 v86, 0x7f800000, v98
	v_cmp_ne_u32_e32 vcc_lo, 0x7f800000, v86
                                        ; implicit-def: $vgpr86
	s_and_saveexec_b32 s11, vcc_lo
	s_delay_alu instid0(SALU_CYCLE_1)
	s_xor_b32 s11, exec_lo, s11
; %bb.633:                              ;   in Loop: Header=BB4_49 Depth=1
	v_bfe_u32 v86, v98, 16, 1
	s_delay_alu instid0(VALU_DEP_1)
	v_add3_u32 v86, v98, v86, 0x7fff
                                        ; implicit-def: $vgpr98
; %bb.634:                              ;   in Loop: Header=BB4_49 Depth=1
	s_and_not1_saveexec_b32 s11, s11
; %bb.635:                              ;   in Loop: Header=BB4_49 Depth=1
	v_and_b32_e32 v86, 0xffff, v98
	v_or_b32_e32 v40, 0x10000, v98
	s_delay_alu instid0(VALU_DEP_2) | instskip(NEXT) | instid1(VALU_DEP_2)
	v_cmp_eq_u32_e32 vcc_lo, 0, v86
	v_cndmask_b32_e32 v86, v40, v98, vcc_lo
; %bb.636:                              ;   in Loop: Header=BB4_49 Depth=1
	s_or_b32 exec_lo, exec_lo, s11
	v_and_b32_e32 v87, 0xffff0000, v87
	s_delay_alu instid0(VALU_DEP_1) | instskip(NEXT) | instid1(VALU_DEP_1)
	v_add_f32_e32 v97, v97, v87
	v_and_b32_e32 v87, 0x7f800000, v97
	s_delay_alu instid0(VALU_DEP_1) | instskip(SKIP_1) | instid1(SALU_CYCLE_1)
	v_cmp_ne_u32_e32 vcc_lo, 0x7f800000, v87
                                        ; implicit-def: $vgpr87
	s_and_saveexec_b32 s11, vcc_lo
	s_xor_b32 s11, exec_lo, s11
; %bb.637:                              ;   in Loop: Header=BB4_49 Depth=1
	v_bfe_u32 v87, v97, 16, 1
	s_delay_alu instid0(VALU_DEP_1)
	v_add3_u32 v87, v97, v87, 0x7fff
                                        ; implicit-def: $vgpr97
; %bb.638:                              ;   in Loop: Header=BB4_49 Depth=1
	s_and_not1_saveexec_b32 s11, s11
; %bb.639:                              ;   in Loop: Header=BB4_49 Depth=1
	v_and_b32_e32 v87, 0xffff, v97
	v_or_b32_e32 v98, 0x10000, v97
	s_delay_alu instid0(VALU_DEP_2) | instskip(NEXT) | instid1(VALU_DEP_2)
	v_cmp_eq_u32_e32 vcc_lo, 0, v87
	v_cndmask_b32_e32 v87, v98, v97, vcc_lo
; %bb.640:                              ;   in Loop: Header=BB4_49 Depth=1
	s_or_b32 exec_lo, exec_lo, s11
	v_and_b32_e32 v97, 0xffff0000, v119
	s_delay_alu instid0(VALU_DEP_1) | instskip(NEXT) | instid1(VALU_DEP_1)
	v_add_f32_e32 v97, v96, v97
	v_and_b32_e32 v96, 0x7f800000, v97
	s_delay_alu instid0(VALU_DEP_1) | instskip(SKIP_1) | instid1(SALU_CYCLE_1)
	v_cmp_ne_u32_e32 vcc_lo, 0x7f800000, v96
                                        ; implicit-def: $vgpr96
	s_and_saveexec_b32 s11, vcc_lo
	s_xor_b32 s11, exec_lo, s11
; %bb.641:                              ;   in Loop: Header=BB4_49 Depth=1
	v_bfe_u32 v96, v97, 16, 1
	s_delay_alu instid0(VALU_DEP_1)
	v_add3_u32 v96, v97, v96, 0x7fff
                                        ; implicit-def: $vgpr97
; %bb.642:                              ;   in Loop: Header=BB4_49 Depth=1
	s_and_not1_saveexec_b32 s11, s11
; %bb.643:                              ;   in Loop: Header=BB4_49 Depth=1
	v_and_b32_e32 v96, 0xffff, v97
	v_or_b32_e32 v98, 0x10000, v97
	s_delay_alu instid0(VALU_DEP_2) | instskip(NEXT) | instid1(VALU_DEP_2)
	v_cmp_eq_u32_e32 vcc_lo, 0, v96
	v_cndmask_b32_e32 v96, v98, v97, vcc_lo
; %bb.644:                              ;   in Loop: Header=BB4_49 Depth=1
	s_or_b32 exec_lo, exec_lo, s11
	v_and_b32_e32 v97, 0xffff0000, v99
	s_delay_alu instid0(VALU_DEP_1) | instskip(NEXT) | instid1(VALU_DEP_1)
	v_add_f32_e32 v97, v13, v97
	v_and_b32_e32 v13, 0x7f800000, v97
	s_delay_alu instid0(VALU_DEP_1) | instskip(SKIP_1) | instid1(SALU_CYCLE_1)
	v_cmp_ne_u32_e32 vcc_lo, 0x7f800000, v13
                                        ; implicit-def: $vgpr13
	s_and_saveexec_b32 s11, vcc_lo
	s_xor_b32 s11, exec_lo, s11
; %bb.645:                              ;   in Loop: Header=BB4_49 Depth=1
	v_bfe_u32 v13, v97, 16, 1
	s_delay_alu instid0(VALU_DEP_1)
	v_add3_u32 v13, v97, v13, 0x7fff
                                        ; implicit-def: $vgpr97
; %bb.646:                              ;   in Loop: Header=BB4_49 Depth=1
	s_and_not1_saveexec_b32 s11, s11
; %bb.647:                              ;   in Loop: Header=BB4_49 Depth=1
	v_and_b32_e32 v13, 0xffff, v97
	v_or_b32_e32 v98, 0x10000, v97
	s_delay_alu instid0(VALU_DEP_2) | instskip(NEXT) | instid1(VALU_DEP_2)
	v_cmp_eq_u32_e32 vcc_lo, 0, v13
	v_cndmask_b32_e32 v13, v98, v97, vcc_lo
; %bb.648:                              ;   in Loop: Header=BB4_49 Depth=1
	s_or_b32 exec_lo, exec_lo, s11
	v_and_b32_e32 v86, 0xffff0000, v86
	s_delay_alu instid0(VALU_DEP_1) | instskip(NEXT) | instid1(VALU_DEP_1)
	v_add_f32_e32 v12, v12, v86
	v_and_b32_e32 v86, 0x7f800000, v12
	s_delay_alu instid0(VALU_DEP_1) | instskip(SKIP_1) | instid1(SALU_CYCLE_1)
	v_cmp_ne_u32_e32 vcc_lo, 0x7f800000, v86
                                        ; implicit-def: $vgpr86
	s_and_saveexec_b32 s11, vcc_lo
	s_xor_b32 s11, exec_lo, s11
; %bb.649:                              ;   in Loop: Header=BB4_49 Depth=1
	v_bfe_u32 v86, v12, 16, 1
	s_delay_alu instid0(VALU_DEP_1)
	v_add3_u32 v86, v12, v86, 0x7fff
                                        ; implicit-def: $vgpr12
; %bb.650:                              ;   in Loop: Header=BB4_49 Depth=1
	s_and_not1_saveexec_b32 s11, s11
; %bb.651:                              ;   in Loop: Header=BB4_49 Depth=1
	v_and_b32_e32 v86, 0xffff, v12
	v_or_b32_e32 v97, 0x10000, v12
	s_delay_alu instid0(VALU_DEP_2) | instskip(NEXT) | instid1(VALU_DEP_2)
	v_cmp_eq_u32_e32 vcc_lo, 0, v86
	v_cndmask_b32_e32 v86, v97, v12, vcc_lo
; %bb.652:                              ;   in Loop: Header=BB4_49 Depth=1
	s_or_b32 exec_lo, exec_lo, s11
	s_clause 0x3
	flat_store_d16_hi_b16 v[10:11], v87 th:TH_STORE_NT
	flat_store_d16_hi_b16 v[10:11], v96 offset:64 th:TH_STORE_NT
	flat_store_d16_hi_b16 v[10:11], v13 offset:128 th:TH_STORE_NT
	;; [unrolled: 1-line block ×3, first 2 shown]
.LBB4_653:                              ;   in Loop: Header=BB4_49 Depth=1
	s_wait_xcnt 0x0
	s_or_b32 exec_lo, exec_lo, s10
	v_lshlrev_b32_e32 v10, 8, v102
	s_delay_alu instid0(VALU_DEP_1)
	v_cmp_ne_u32_e32 vcc_lo, v118, v10
	s_and_b32 exec_lo, exec_lo, vcc_lo
	s_cbranch_execz .LBB4_690
; %bb.654:                              ;   in Loop: Header=BB4_49 Depth=1
	v_lshlrev_b32_e32 v11, 5, v103
	s_delay_alu instid0(VALU_DEP_1) | instskip(NEXT) | instid1(VALU_DEP_1)
	v_sub_nc_u32_e32 v11, v101, v11
	v_ashrrev_i32_e32 v12, 31, v11
	s_delay_alu instid0(VALU_DEP_1) | instskip(NEXT) | instid1(VALU_DEP_1)
	v_lshrrev_b32_e32 v12, 27, v12
	v_add_nc_u32_e32 v12, v11, v12
	s_delay_alu instid0(VALU_DEP_1) | instskip(NEXT) | instid1(VALU_DEP_1)
	v_and_b32_e32 v13, 0x7fffffe0, v12
	v_dual_lshlrev_b32 v12, 1, v12 :: v_dual_sub_nc_u32 v11, v11, v13
	s_delay_alu instid0(VALU_DEP_1) | instskip(NEXT) | instid1(VALU_DEP_2)
	v_and_b32_e32 v12, 0xffffffc0, v12
	v_lshlrev_b32_e32 v11, 1, v11
	s_delay_alu instid0(VALU_DEP_1) | instskip(NEXT) | instid1(VALU_DEP_1)
	v_add3_u32 v10, v12, v11, v10
	v_sub_nc_u32_e32 v86, v118, v10
	s_delay_alu instid0(VALU_DEP_1)
	v_cmp_lt_i32_e32 vcc_lo, 1, v86
	s_and_b32 exec_lo, exec_lo, vcc_lo
	s_cbranch_execz .LBB4_690
; %bb.655:                              ;   in Loop: Header=BB4_49 Depth=1
	s_trap 2
	ds_load_b64 v[12:13], v0
	v_add_nc_u32_e32 v96, v10, v100
	s_mov_b32 s41, 0
	s_mov_b32 s15, 0
                                        ; implicit-def: $sgpr40
	s_delay_alu instid0(VALU_DEP_1) | instskip(NEXT) | instid1(VALU_DEP_1)
	v_ashrrev_i32_e32 v97, 31, v96
	v_add_nc_u64_e32 v[10:11], v[84:85], v[96:97]
	v_add_nc_u64_e32 v[82:83], v[96:97], v[82:83]
	s_wait_dscnt 0x0
	v_add_nc_u64_e32 v[12:13], v[12:13], v[96:97]
	s_branch .LBB4_657
.LBB4_656:                              ;   in Loop: Header=BB4_657 Depth=2
	s_or_b32 exec_lo, exec_lo, s10
	s_delay_alu instid0(VALU_DEP_1) | instskip(SKIP_2) | instid1(VALU_DEP_3)
	v_dual_cndmask_b32 v86, 0, v114, s41 :: v_dual_lshrrev_b32 v87, 16, v85
	v_add_nc_u64_e32 v[96:97], v[12:13], v[22:23]
	v_dual_cndmask_b32 v99, 0, v67, s41 :: v_dual_cndmask_b32 v98, 64, v66, s41
	v_sub_nc_u32_e32 v86, v84, v86
	v_add_nc_u64_e32 v[84:85], v[82:83], v[22:23]
	flat_store_b16 v[10:11], v87 th:TH_STORE_NT
	scratch_store_b16 off, v87, s33 offset:96
	v_cndmask_b32_e64 v13, v13, v97, s41
	v_cmp_gt_i32_e32 vcc_lo, 2, v86
	s_wait_xcnt 0x1
	v_add_nc_u64_e32 v[10:11], v[10:11], v[98:99]
	v_dual_cndmask_b32 v12, v12, v96, s41 :: v_dual_cndmask_b32 v83, v83, v85, s41
	v_cndmask_b32_e64 v82, v82, v84, s41
	s_or_b32 s15, vcc_lo, s15
	s_and_not1_b32 s10, s40, exec_lo
	s_and_b32 s11, s41, exec_lo
	s_delay_alu instid0(SALU_CYCLE_1)
	s_or_b32 s40, s10, s11
	s_wait_xcnt 0x0
	s_and_not1_b32 exec_lo, exec_lo, s15
	s_cbranch_execz .LBB4_680
.LBB4_657:                              ;   Parent Loop BB4_49 Depth=1
                                        ; =>  This Loop Header: Depth=2
                                        ;       Child Loop BB4_658 Depth 3
                                        ;       Child Loop BB4_671 Depth 3
	s_add_co_i32 s10, s33, 0x60
	s_mov_b64 s[12:13], 0
	s_mov_b32 s42, s10
	s_mov_b32 s43, -1
.LBB4_658:                              ;   Parent Loop BB4_49 Depth=1
                                        ;     Parent Loop BB4_657 Depth=2
                                        ; =>    This Inner Loop Header: Depth=3
	s_cmp_eq_u32 s12, 1
	s_cselect_b32 vcc_lo, -1, 0
	s_cmp_eq_u32 s12, 0
	v_dual_cndmask_b32 v85, v83, v13 :: v_dual_cndmask_b32 v84, v82, v12
	s_cselect_b32 s10, -1, 0
	s_and_b32 s11, exec_lo, s43
	s_mov_b64 s[12:13], 1
	s_mov_b32 s43, 0
	flat_load_u16 v87, v[84:85] th:TH_LOAD_NT
	s_wait_xcnt 0x0
	v_add_nc_u64_e32 v[84:85], 64, v[84:85]
	s_delay_alu instid0(VALU_DEP_1)
	v_dual_cndmask_b32 v13, v13, v85 :: v_dual_cndmask_b32 v12, v12, v84
	v_dual_cndmask_b32 v83, v83, v85, s10 :: v_dual_cndmask_b32 v82, v82, v84, s10
	s_add_co_i32 s10, s33, 0x80
	s_mov_b32 vcc_lo, s11
	s_wait_loadcnt_dscnt 0x0
	scratch_store_b16 off, v87, s42
	s_wait_xcnt 0x0
	s_mov_b32 s42, s10
	s_cbranch_vccnz .LBB4_658
; %bb.659:                              ;   in Loop: Header=BB4_657 Depth=2
	s_and_saveexec_b32 s10, s41
	s_cbranch_execz .LBB4_669
; %bb.660:                              ;   in Loop: Header=BB4_657 Depth=2
	s_trap 2
	scratch_load_u16 v84, off, s33 offset:88
	ds_load_b32 v85, v0
	s_wait_loadcnt_dscnt 0x0
	v_dual_lshlrev_b32 v85, 16, v85 :: v_dual_lshlrev_b32 v84, 16, v84
	s_delay_alu instid0(VALU_DEP_1) | instskip(NEXT) | instid1(VALU_DEP_1)
	v_mul_f32_e32 v84, v85, v84
	v_and_b32_e32 v85, 0x7f800000, v84
	s_delay_alu instid0(VALU_DEP_1) | instskip(SKIP_2) | instid1(SALU_CYCLE_1)
	v_cmp_ne_u32_e32 vcc_lo, 0x7f800000, v85
                                        ; implicit-def: $vgpr85
	s_wait_xcnt 0x0
	s_and_saveexec_b32 s11, vcc_lo
	s_xor_b32 s11, exec_lo, s11
; %bb.661:                              ;   in Loop: Header=BB4_657 Depth=2
	v_bfe_u32 v85, v84, 16, 1
	s_delay_alu instid0(VALU_DEP_1)
	v_add3_u32 v85, v84, v85, 0x7fff
                                        ; implicit-def: $vgpr84
; %bb.662:                              ;   in Loop: Header=BB4_657 Depth=2
	s_and_not1_saveexec_b32 s11, s11
; %bb.663:                              ;   in Loop: Header=BB4_657 Depth=2
	v_and_b32_e32 v85, 0xffff, v84
	v_or_b32_e32 v87, 0x10000, v84
	s_delay_alu instid0(VALU_DEP_2) | instskip(NEXT) | instid1(VALU_DEP_2)
	v_cmp_eq_u32_e32 vcc_lo, 0, v85
	v_cndmask_b32_e32 v85, v87, v84, vcc_lo
; %bb.664:                              ;   in Loop: Header=BB4_657 Depth=2
	s_or_b32 exec_lo, exec_lo, s11
	scratch_load_u16 v84, off, s33 offset:90
	v_and_b32_e32 v85, 0xffff0000, v85
	s_wait_loadcnt 0x0
	v_lshlrev_b32_e32 v84, 16, v84
	s_delay_alu instid0(VALU_DEP_1) | instskip(NEXT) | instid1(VALU_DEP_1)
	v_add_f32_e32 v84, v85, v84
	v_and_b32_e32 v85, 0x7f800000, v84
	s_delay_alu instid0(VALU_DEP_1) | instskip(SKIP_2) | instid1(SALU_CYCLE_1)
	v_cmp_ne_u32_e32 vcc_lo, 0x7f800000, v85
                                        ; implicit-def: $vgpr85
	s_wait_xcnt 0x0
	s_and_saveexec_b32 s11, vcc_lo
	s_xor_b32 s11, exec_lo, s11
; %bb.665:                              ;   in Loop: Header=BB4_657 Depth=2
	v_bfe_u32 v85, v84, 16, 1
	s_delay_alu instid0(VALU_DEP_1)
	v_add3_u32 v85, v84, v85, 0x7fff
                                        ; implicit-def: $vgpr84
; %bb.666:                              ;   in Loop: Header=BB4_657 Depth=2
	s_and_not1_saveexec_b32 s11, s11
; %bb.667:                              ;   in Loop: Header=BB4_657 Depth=2
	v_and_b32_e32 v85, 0xffff, v84
	v_or_b32_e32 v87, 0x10000, v84
	s_delay_alu instid0(VALU_DEP_2) | instskip(NEXT) | instid1(VALU_DEP_2)
	v_cmp_eq_u32_e32 vcc_lo, 0, v85
	v_cndmask_b32_e32 v85, v87, v84, vcc_lo
; %bb.668:                              ;   in Loop: Header=BB4_657 Depth=2
	s_or_b32 exec_lo, exec_lo, s11
	s_delay_alu instid0(VALU_DEP_1)
	v_lshrrev_b32_e32 v84, 16, v85
	flat_store_b16 v[10:11], v84 th:TH_STORE_NT
	s_wait_xcnt 0x0
	v_add_nc_u64_e32 v[10:11], v[10:11], v[66:67]
	scratch_store_b16 off, v84, s33 offset:88
.LBB4_669:                              ;   in Loop: Header=BB4_657 Depth=2
	s_wait_xcnt 0x0
	s_or_b32 exec_lo, exec_lo, s10
	v_sub_nc_u32_e32 v84, v86, v114
	v_add_nc_u64_e32 v[82:83], v[82:83], v[22:23]
	v_add_nc_u64_e32 v[12:13], v[12:13], v[22:23]
	s_delay_alu instid0(VALU_DEP_3)
	v_cmp_lt_i32_e64 s41, 1, v84
	s_and_saveexec_b32 s42, s41
	s_cbranch_execz .LBB4_672
; %bb.670:                              ;   in Loop: Header=BB4_657 Depth=2
	s_add_co_i32 s10, s33, 0x58
	s_mov_b64 s[12:13], 0
	s_mov_b32 s43, s10
	s_mov_b32 s44, -1
.LBB4_671:                              ;   Parent Loop BB4_49 Depth=1
                                        ;     Parent Loop BB4_657 Depth=2
                                        ; =>    This Inner Loop Header: Depth=3
	s_cmp_eq_u32 s12, 1
	s_cselect_b32 vcc_lo, -1, 0
	s_cmp_eq_u32 s12, 0
	v_dual_cndmask_b32 v87, v83, v13 :: v_dual_cndmask_b32 v86, v82, v12
	s_cselect_b32 s10, -1, 0
	s_and_b32 s11, exec_lo, s44
	s_mov_b64 s[12:13], 1
	s_mov_b32 s44, 0
	flat_load_u16 v85, v[86:87] th:TH_LOAD_NT
	s_wait_xcnt 0x0
	v_add_nc_u64_e32 v[86:87], 64, v[86:87]
	s_delay_alu instid0(VALU_DEP_1)
	v_dual_cndmask_b32 v83, v83, v87, s10 :: v_dual_cndmask_b32 v82, v82, v86, s10
	v_dual_cndmask_b32 v13, v13, v87 :: v_dual_cndmask_b32 v12, v12, v86
	s_add_co_i32 s10, s33, 0x5a
	s_mov_b32 vcc_lo, s11
	s_wait_loadcnt_dscnt 0x0
	scratch_store_b16 off, v85, s43
	s_wait_xcnt 0x0
	s_mov_b32 s43, s10
	s_cbranch_vccnz .LBB4_671
.LBB4_672:                              ;   in Loop: Header=BB4_657 Depth=2
	s_or_b32 exec_lo, exec_lo, s42
	s_trap 2
	scratch_load_u16 v85, off, s33 offset:96
	ds_load_b32 v86, v0
	s_wait_loadcnt_dscnt 0x0
	v_dual_lshlrev_b32 v86, 16, v86 :: v_dual_lshlrev_b32 v85, 16, v85
	s_delay_alu instid0(VALU_DEP_1) | instskip(NEXT) | instid1(VALU_DEP_1)
	v_mul_f32_e32 v85, v86, v85
	v_and_b32_e32 v86, 0x7f800000, v85
	s_delay_alu instid0(VALU_DEP_1) | instskip(SKIP_2) | instid1(SALU_CYCLE_1)
	v_cmp_ne_u32_e32 vcc_lo, 0x7f800000, v86
                                        ; implicit-def: $vgpr86
	s_wait_xcnt 0x0
	s_and_saveexec_b32 s10, vcc_lo
	s_xor_b32 s10, exec_lo, s10
; %bb.673:                              ;   in Loop: Header=BB4_657 Depth=2
	v_bfe_u32 v86, v85, 16, 1
	s_delay_alu instid0(VALU_DEP_1)
	v_add3_u32 v86, v85, v86, 0x7fff
                                        ; implicit-def: $vgpr85
; %bb.674:                              ;   in Loop: Header=BB4_657 Depth=2
	s_and_not1_saveexec_b32 s10, s10
; %bb.675:                              ;   in Loop: Header=BB4_657 Depth=2
	v_and_b32_e32 v86, 0xffff, v85
	v_or_b32_e32 v87, 0x10000, v85
	s_delay_alu instid0(VALU_DEP_2) | instskip(NEXT) | instid1(VALU_DEP_2)
	v_cmp_eq_u32_e32 vcc_lo, 0, v86
	v_cndmask_b32_e32 v86, v87, v85, vcc_lo
; %bb.676:                              ;   in Loop: Header=BB4_657 Depth=2
	s_or_b32 exec_lo, exec_lo, s10
	scratch_load_u16 v85, off, s33 offset:128
	v_and_b32_e32 v86, 0xffff0000, v86
	s_wait_loadcnt 0x0
	v_lshlrev_b32_e32 v85, 16, v85
	s_delay_alu instid0(VALU_DEP_1) | instskip(NEXT) | instid1(VALU_DEP_1)
	v_add_f32_e32 v86, v86, v85
	v_and_b32_e32 v85, 0x7f800000, v86
	s_delay_alu instid0(VALU_DEP_1) | instskip(SKIP_2) | instid1(SALU_CYCLE_1)
	v_cmp_ne_u32_e32 vcc_lo, 0x7f800000, v85
                                        ; implicit-def: $vgpr85
	s_wait_xcnt 0x0
	s_and_saveexec_b32 s10, vcc_lo
	s_xor_b32 s10, exec_lo, s10
; %bb.677:                              ;   in Loop: Header=BB4_657 Depth=2
	v_bfe_u32 v85, v86, 16, 1
	s_delay_alu instid0(VALU_DEP_1)
	v_add3_u32 v85, v86, v85, 0x7fff
                                        ; implicit-def: $vgpr86
; %bb.678:                              ;   in Loop: Header=BB4_657 Depth=2
	s_and_not1_saveexec_b32 s10, s10
	s_cbranch_execz .LBB4_656
; %bb.679:                              ;   in Loop: Header=BB4_657 Depth=2
	v_and_b32_e32 v85, 0xffff, v86
	v_or_b32_e32 v87, 0x10000, v86
	s_delay_alu instid0(VALU_DEP_2) | instskip(NEXT) | instid1(VALU_DEP_2)
	v_cmp_eq_u32_e32 vcc_lo, 0, v85
	v_cndmask_b32_e32 v85, v87, v86, vcc_lo
	s_branch .LBB4_656
.LBB4_680:                              ;   in Loop: Header=BB4_49 Depth=1
	s_or_b32 exec_lo, exec_lo, s15
	s_delay_alu instid0(SALU_CYCLE_1)
	s_and_b32 exec_lo, exec_lo, s40
	s_cbranch_execz .LBB4_690
; %bb.681:                              ;   in Loop: Header=BB4_49 Depth=1
	s_trap 2
	scratch_load_u16 v12, off, s33 offset:88
	ds_load_b32 v13, v0
	s_wait_loadcnt_dscnt 0x0
	v_dual_lshlrev_b32 v13, 16, v13 :: v_dual_lshlrev_b32 v12, 16, v12
	s_delay_alu instid0(VALU_DEP_1) | instskip(NEXT) | instid1(VALU_DEP_1)
	v_mul_f32_e32 v12, v13, v12
	v_and_b32_e32 v13, 0x7f800000, v12
	s_delay_alu instid0(VALU_DEP_1) | instskip(SKIP_2) | instid1(SALU_CYCLE_1)
	v_cmp_ne_u32_e32 vcc_lo, 0x7f800000, v13
                                        ; implicit-def: $vgpr13
	s_wait_xcnt 0x0
	s_and_saveexec_b32 s10, vcc_lo
	s_xor_b32 s10, exec_lo, s10
; %bb.682:                              ;   in Loop: Header=BB4_49 Depth=1
	v_bfe_u32 v13, v12, 16, 1
	s_delay_alu instid0(VALU_DEP_1)
	v_add3_u32 v13, v12, v13, 0x7fff
                                        ; implicit-def: $vgpr12
; %bb.683:                              ;   in Loop: Header=BB4_49 Depth=1
	s_and_not1_saveexec_b32 s10, s10
; %bb.684:                              ;   in Loop: Header=BB4_49 Depth=1
	v_and_b32_e32 v13, 0xffff, v12
	v_or_b32_e32 v82, 0x10000, v12
	s_delay_alu instid0(VALU_DEP_2) | instskip(NEXT) | instid1(VALU_DEP_2)
	v_cmp_eq_u32_e32 vcc_lo, 0, v13
	v_cndmask_b32_e32 v13, v82, v12, vcc_lo
; %bb.685:                              ;   in Loop: Header=BB4_49 Depth=1
	s_or_b32 exec_lo, exec_lo, s10
	scratch_load_u16 v12, off, s33 offset:90
	v_and_b32_e32 v13, 0xffff0000, v13
	s_wait_loadcnt 0x0
	v_lshlrev_b32_e32 v12, 16, v12
	s_delay_alu instid0(VALU_DEP_1) | instskip(NEXT) | instid1(VALU_DEP_1)
	v_add_f32_e32 v12, v13, v12
	v_and_b32_e32 v13, 0x7f800000, v12
	s_delay_alu instid0(VALU_DEP_1) | instskip(SKIP_2) | instid1(SALU_CYCLE_1)
	v_cmp_ne_u32_e32 vcc_lo, 0x7f800000, v13
                                        ; implicit-def: $vgpr13
	s_wait_xcnt 0x0
	s_and_saveexec_b32 s10, vcc_lo
	s_xor_b32 s10, exec_lo, s10
; %bb.686:                              ;   in Loop: Header=BB4_49 Depth=1
	v_bfe_u32 v13, v12, 16, 1
	s_delay_alu instid0(VALU_DEP_1)
	v_add3_u32 v13, v12, v13, 0x7fff
                                        ; implicit-def: $vgpr12
; %bb.687:                              ;   in Loop: Header=BB4_49 Depth=1
	s_and_not1_saveexec_b32 s10, s10
; %bb.688:                              ;   in Loop: Header=BB4_49 Depth=1
	v_and_b32_e32 v13, 0xffff, v12
	v_or_b32_e32 v82, 0x10000, v12
	s_delay_alu instid0(VALU_DEP_2) | instskip(NEXT) | instid1(VALU_DEP_2)
	v_cmp_eq_u32_e32 vcc_lo, 0, v13
	v_cndmask_b32_e32 v13, v82, v12, vcc_lo
; %bb.689:                              ;   in Loop: Header=BB4_49 Depth=1
	s_or_b32 exec_lo, exec_lo, s10
	flat_store_d16_hi_b16 v[10:11], v13 th:TH_STORE_NT
.LBB4_690:                              ;   in Loop: Header=BB4_49 Depth=1
	s_wait_xcnt 0x0
	s_or_b32 exec_lo, exec_lo, s14
	v_cmp_ne_u32_e64 s10, 0, v14
	s_and_saveexec_b32 s11, s2
	s_cbranch_execz .LBB4_709
.LBB4_691:                              ;   in Loop: Header=BB4_49 Depth=1
	s_and_saveexec_b32 s12, s3
	s_delay_alu instid0(SALU_CYCLE_1)
	s_xor_b32 s12, exec_lo, s12
	s_cbranch_execz .LBB4_706
; %bb.692:                              ;   in Loop: Header=BB4_49 Depth=1
	s_and_saveexec_b32 s13, s4
	s_cbranch_execz .LBB4_705
; %bb.693:                              ;   in Loop: Header=BB4_49 Depth=1
	s_mov_b32 s15, exec_lo
	s_mov_b32 s14, exec_lo
	v_mbcnt_lo_u32_b32 v10, s15, 0
	global_wb scope:SCOPE_DEV
	s_wait_storecnt 0x0
	s_wait_loadcnt_dscnt 0x0
	global_inv scope:SCOPE_DEV
	v_cmpx_eq_u32_e32 0, v10
	s_cbranch_execz .LBB4_695
; %bb.694:                              ;   in Loop: Header=BB4_49 Depth=1
	s_bcnt1_i32_b32 s15, s15
	s_delay_alu instid0(SALU_CYCLE_1)
	v_mov_b32_e32 v14, s15
	s_wait_loadcnt 0x0
	ds_add_u64 v0, v[14:15]
	s_trap 2
.LBB4_695:                              ;   in Loop: Header=BB4_49 Depth=1
	s_or_b32 exec_lo, exec_lo, s14
	s_trap 2
	ds_load_b64 v[10:11], v0
	s_wait_dscnt 0x0
	v_add_nc_u64_e32 v[48:49], v[48:49], v[16:17]
	s_mov_b32 s14, exec_lo
	s_delay_alu instid0(VALU_DEP_1)
	v_cmpx_lt_u64_e64 v[10:11], v[48:49]
	s_cbranch_execz .LBB4_704
; %bb.696:                              ;   in Loop: Header=BB4_49 Depth=1
	s_mov_b32 s15, 0
	s_mov_b32 s42, 0
                                        ; implicit-def: $sgpr40
                                        ; implicit-def: $sgpr41
	s_branch .LBB4_698
.LBB4_697:                              ;   in Loop: Header=BB4_698 Depth=2
	s_or_b32 exec_lo, exec_lo, s44
	s_delay_alu instid0(SALU_CYCLE_1) | instskip(NEXT) | instid1(SALU_CYCLE_1)
	s_and_b32 s43, exec_lo, s45
	s_or_b32 s15, s43, s15
	s_and_not1_b32 s40, s40, exec_lo
	s_and_b32 s43, s41, exec_lo
	s_delay_alu instid0(SALU_CYCLE_1)
	s_or_b32 s40, s40, s43
	s_and_not1_b32 exec_lo, exec_lo, s15
	s_cbranch_execz .LBB4_702
.LBB4_698:                              ;   Parent Loop BB4_49 Depth=1
                                        ; =>  This Inner Loop Header: Depth=2
	s_add_co_i32 s42, s42, 1
	s_delay_alu instid0(SALU_CYCLE_1) | instskip(SKIP_1) | instid1(SALU_CYCLE_1)
	s_cmp_lg_u32 s42, 0x2710
	s_cselect_b32 s43, -1, 0
	s_and_b32 vcc_lo, exec_lo, s43
	s_cbranch_vccz .LBB4_700
; %bb.699:                              ;   in Loop: Header=BB4_698 Depth=2
	s_mov_b32 s45, -1
	s_or_b32 s41, s41, exec_lo
	s_and_saveexec_b32 s44, s43
	s_cbranch_execz .LBB4_697
	s_branch .LBB4_701
.LBB4_700:                              ;   in Loop: Header=BB4_698 Depth=2
	s_trap 2
	ds_load_b64 v[10:11], v0
	s_and_not1_b32 s43, s43, exec_lo
	s_mov_b32 s42, 0
	s_wait_loadcnt_dscnt 0x0
	flat_load_b32 v10, v[10:11] scope:SCOPE_SYS
	s_wait_loadcnt_dscnt 0x0
	global_inv scope:SCOPE_SYS
	v_cmp_eq_u32_e32 vcc_lo, 0, v10
	s_and_b32 s44, vcc_lo, exec_lo
	s_delay_alu instid0(SALU_CYCLE_1)
	s_or_b32 s43, s43, s44
	s_mov_b32 s45, -1
	s_or_b32 s41, s41, exec_lo
	s_and_saveexec_b32 s44, s43
	s_cbranch_execz .LBB4_697
.LBB4_701:                              ;   in Loop: Header=BB4_698 Depth=2
	s_sleep 1
	s_trap 2
	ds_load_b64 v[10:11], v0
	s_wait_dscnt 0x0
	s_and_not1_b32 s41, s41, exec_lo
	v_cmp_ge_u64_e32 vcc_lo, v[10:11], v[48:49]
	s_or_not1_b32 s45, vcc_lo, exec_lo
	s_branch .LBB4_697
.LBB4_702:                              ;   in Loop: Header=BB4_49 Depth=1
	s_or_b32 exec_lo, exec_lo, s15
	s_and_saveexec_b32 s15, s40
	s_delay_alu instid0(SALU_CYCLE_1)
	s_xor_b32 s15, exec_lo, s15
	s_cbranch_execz .LBB4_704
; %bb.703:                              ;   in Loop: Header=BB4_49 Depth=1
	ds_store_b32 v0, v116
	s_trap 2
.LBB4_704:                              ;   in Loop: Header=BB4_49 Depth=1
	s_or_b32 exec_lo, exec_lo, s14
	;;#ASMSTART
	s_wakeup
	;;#ASMEND
.LBB4_705:                              ;   in Loop: Header=BB4_49 Depth=1
	s_or_b32 exec_lo, exec_lo, s13
.LBB4_706:                              ;   in Loop: Header=BB4_49 Depth=1
	s_and_not1_saveexec_b32 s12, s12
	s_cbranch_execz .LBB4_708
; %bb.707:                              ;   in Loop: Header=BB4_49 Depth=1
	global_wb scope:SCOPE_DEV
	s_wait_storecnt 0x0
	s_wait_loadcnt_dscnt 0x0
	global_inv scope:SCOPE_DEV
	s_barrier_signal -1
	s_barrier_wait -1
.LBB4_708:                              ;   in Loop: Header=BB4_49 Depth=1
	s_or_b32 exec_lo, exec_lo, s12
.LBB4_709:                              ;   in Loop: Header=BB4_49 Depth=1
	s_delay_alu instid0(SALU_CYCLE_1) | instskip(SKIP_1) | instid1(VALU_DEP_1)
	s_or_b32 exec_lo, exec_lo, s11
	v_and_b32_e32 v10, 16, v30
	v_cmp_ne_u32_e32 vcc_lo, 0, v10
	s_and_b32 s11, vcc_lo, s10
	s_delay_alu instid0(SALU_CYCLE_1)
	s_and_saveexec_b32 s10, s11
	s_cbranch_execz .LBB4_711
; %bb.710:                              ;   in Loop: Header=BB4_49 Depth=1
	global_wb scope:SCOPE_SYS
	s_wait_storecnt 0x0
	s_wait_loadcnt_dscnt 0x0
	global_inv scope:SCOPE_SYS
.LBB4_711:                              ;   in Loop: Header=BB4_49 Depth=1
	s_or_b32 exec_lo, exec_lo, s10
	v_cmp_ne_u32_e32 vcc_lo, 0, v10
	s_xor_b32 s10, s7, -1
	s_delay_alu instid0(SALU_CYCLE_1) | instskip(NEXT) | instid1(SALU_CYCLE_1)
	s_and_b32 s11, vcc_lo, s10
	s_and_saveexec_b32 s10, s11
	s_cbranch_execz .LBB4_713
; %bb.712:                              ;   in Loop: Header=BB4_49 Depth=1
	global_wb scope:SCOPE_SYS
	s_wait_storecnt 0x0
	s_wait_loadcnt_dscnt 0x0
	flat_store_b32 v[52:53], v116 scope:SCOPE_SYS
.LBB4_713:                              ;   in Loop: Header=BB4_49 Depth=1
	s_wait_xcnt 0x0
	s_or_b32 exec_lo, exec_lo, s10
	v_and_b32_e32 v10, 48, v30
	s_mov_b32 s10, exec_lo
	s_delay_alu instid0(VALU_DEP_1)
	v_cmpx_ne_u32_e32 0, v10
	s_cbranch_execz .LBB4_715
; %bb.714:                              ;   in Loop: Header=BB4_49 Depth=1
	v_add_nc_u64_e32 v[8:9], 1, v[8:9]
	global_wb scope:SCOPE_SYS
	s_wait_storecnt 0x0
	s_wait_loadcnt_dscnt 0x0
	flat_store_b64 v[32:33], v[8:9] scope:SCOPE_SYS
.LBB4_715:                              ;   in Loop: Header=BB4_49 Depth=1
	s_wait_xcnt 0x0
	s_or_b32 exec_lo, exec_lo, s10
	v_mov_b32_e32 v10, v81
.LBB4_716:                              ;   in Loop: Header=BB4_49 Depth=1
	s_or_b32 exec_lo, exec_lo, s29
	s_and_saveexec_b32 s11, s28
	s_cbranch_execz .LBB4_48
; %bb.717:                              ;   in Loop: Header=BB4_49 Depth=1
	s_delay_alu instid0(VALU_DEP_1) | instskip(SKIP_2) | instid1(VALU_DEP_2)
	v_sub_nc_u32_e32 v10, v80, v10
	v_and_b32_e32 v11, 12, v30
	s_mov_b32 s12, exec_lo
	v_min_i32_e32 v10, v81, v10
	s_delay_alu instid0(VALU_DEP_2)
	v_cmpx_ne_u32_e32 0, v11
	s_cbranch_execz .LBB4_743
; %bb.718:                              ;   in Loop: Header=BB4_49 Depth=1
	v_and_b32_e32 v14, 8, v30
	v_add_nc_u64_e32 v[12:13], 1, v[8:9]
	s_mov_b32 s13, exec_lo
	s_wait_loadcnt 0x0
	s_delay_alu instid0(VALU_DEP_2) | instskip(NEXT) | instid1(VALU_DEP_1)
	v_add_nc_u64_e32 v[80:81], v[38:39], v[14:15]
	v_cmpx_lt_u64_e64 v[80:81], v[12:13]
	s_cbranch_execz .LBB4_730
; %bb.719:                              ;   in Loop: Header=BB4_49 Depth=1
	v_and_b32_e32 v9, 64, v30
	s_mov_b32 s14, 0
	s_mov_b32 s40, 0
                                        ; implicit-def: $sgpr15
                                        ; implicit-def: $sgpr28
                                        ; implicit-def: $sgpr29
	s_delay_alu instid0(VALU_DEP_1)
	v_cmp_eq_u32_e32 vcc_lo, 0, v9
	s_branch .LBB4_723
.LBB4_720:                              ;   in Loop: Header=BB4_723 Depth=2
	s_wait_loadcnt_dscnt 0x0
	v_add_nc_u64_e32 v[80:81], v[38:39], v[14:15]
	s_or_b32 s43, s43, exec_lo
	s_delay_alu instid0(VALU_DEP_1)
	v_cmp_ge_u64_e64 s10, v[80:81], v[12:13]
	s_or_not1_b32 s42, s10, exec_lo
.LBB4_721:                              ;   in Loop: Header=BB4_723 Depth=2
	s_or_b32 exec_lo, exec_lo, s45
	s_delay_alu instid0(SALU_CYCLE_1)
	s_and_not1_b32 s10, s29, exec_lo
	s_and_b32 s29, s43, exec_lo
	s_and_not1_b32 s28, s28, exec_lo
	s_and_b32 s42, s42, exec_lo
	s_or_b32 s29, s10, s29
	s_or_b32 s28, s28, s42
.LBB4_722:                              ;   in Loop: Header=BB4_723 Depth=2
	s_or_b32 exec_lo, exec_lo, s41
	s_delay_alu instid0(SALU_CYCLE_1) | instskip(NEXT) | instid1(SALU_CYCLE_1)
	s_and_b32 s10, exec_lo, s28
	s_or_b32 s14, s10, s14
	s_and_not1_b32 s10, s15, exec_lo
	s_and_b32 s15, s29, exec_lo
	s_delay_alu instid0(SALU_CYCLE_1)
	s_or_b32 s15, s10, s15
	s_and_not1_b32 exec_lo, exec_lo, s14
	s_cbranch_execz .LBB4_727
.LBB4_723:                              ;   Parent Loop BB4_49 Depth=1
                                        ; =>  This Inner Loop Header: Depth=2
	s_sleep 1
	s_wait_loadcnt_dscnt 0x0
	flat_load_b64 v[38:39], v[32:33] scope:SCOPE_SYS
	s_or_b32 s29, s29, exec_lo
	s_or_b32 s28, s28, exec_lo
                                        ; implicit-def: $vgpr9
	s_wait_xcnt 0x0
	s_and_saveexec_b32 s41, vcc_lo
	s_cbranch_execz .LBB4_722
; %bb.724:                              ;   in Loop: Header=BB4_723 Depth=2
	s_cmp_lt_i32 s40, 0x270f
	s_mov_b32 s42, -1
	s_cselect_b32 s44, -1, 0
	s_cmp_gt_i32 s40, 0x270e
	s_cbranch_scc0 .LBB4_726
; %bb.725:                              ;   in Loop: Header=BB4_723 Depth=2
	s_trap 2
	ds_load_b64 v[80:81], v0
	s_and_not1_b32 s40, s44, exec_lo
	s_mov_b32 s43, 0
	s_wait_storecnt 0x0
	s_wait_loadcnt_dscnt 0x0
	flat_load_b32 v9, v[80:81] scope:SCOPE_SYS
	s_wait_loadcnt_dscnt 0x0
	global_inv scope:SCOPE_SYS
	v_cmp_eq_u32_e64 s10, 0, v9
	s_and_b32 s10, s10, exec_lo
	s_delay_alu instid0(SALU_CYCLE_1)
	s_or_b32 s44, s40, s10
	s_mov_b32 s40, 0
	s_and_saveexec_b32 s45, s44
	s_cbranch_execz .LBB4_721
	s_branch .LBB4_720
.LBB4_726:                              ;   in Loop: Header=BB4_723 Depth=2
	s_add_co_i32 s40, s40, 1
	s_mov_b32 s43, -1
                                        ; implicit-def: $vgpr9
	s_and_saveexec_b32 s45, s44
	s_cbranch_execz .LBB4_721
	s_branch .LBB4_720
.LBB4_727:                              ;   in Loop: Header=BB4_49 Depth=1
	s_or_b32 exec_lo, exec_lo, s14
	s_xor_b32 s10, s15, -1
	s_delay_alu instid0(SALU_CYCLE_1) | instskip(NEXT) | instid1(SALU_CYCLE_1)
	s_and_saveexec_b32 s14, s10
	s_xor_b32 s10, exec_lo, s14
	s_cbranch_execz .LBB4_729
; %bb.728:                              ;   in Loop: Header=BB4_49 Depth=1
	v_or_b32_e32 v30, 64, v30
	s_wait_storecnt 0x0
	s_wait_loadcnt_dscnt 0x0
	ds_store_b32 v0, v9
	s_trap 2
.LBB4_729:                              ;   in Loop: Header=BB4_49 Depth=1
	s_or_b32 exec_lo, exec_lo, s10
.LBB4_730:                              ;   in Loop: Header=BB4_49 Depth=1
	s_delay_alu instid0(SALU_CYCLE_1) | instskip(SKIP_3) | instid1(VALU_DEP_1)
	s_or_b32 exec_lo, exec_lo, s13
	v_and_b32_e32 v9, 0x108, v30
	s_mov_b32 s10, exec_lo
	;;#ASMSTART
	s_wakeup
	;;#ASMEND
                                        ; implicit-def: $vgpr80_vgpr81
	v_cmpx_ne_u32_e32 0x108, v9
	s_xor_b32 s10, exec_lo, s10
; %bb.731:                              ;   in Loop: Header=BB4_49 Depth=1
	v_dual_mov_b32 v81, v15 :: v_dual_bitop2_b32 v80, 7, v8 bitop3:0x40
; %bb.732:                              ;   in Loop: Header=BB4_49 Depth=1
	s_and_not1_saveexec_b32 s10, s10
	s_cbranch_execz .LBB4_734
; %bb.733:                              ;   in Loop: Header=BB4_49 Depth=1
	v_dual_ashrrev_i32 v11, 31, v10 :: v_dual_bitop2_b32 v80, 7, v8 bitop3:0x40
	v_mov_b32_e32 v81, v15
	s_delay_alu instid0(VALU_DEP_2) | instskip(NEXT) | instid1(VALU_DEP_3)
	v_mad_nc_u64_u32 v[8:9], v80, 24, v[6:7]
	v_lshlrev_b64_e32 v[82:83], 1, v[10:11]
	flat_store_b64 v[8:9], v[82:83] offset:8
.LBB4_734:                              ;   in Loop: Header=BB4_49 Depth=1
	s_wait_xcnt 0x0
	s_or_b32 exec_lo, exec_lo, s10
	v_and_b32_e32 v8, 0x100, v30
	s_mov_b32 s10, -1
	s_delay_alu instid0(VALU_DEP_1)
	v_cmp_ne_u32_e32 vcc_lo, 0, v8
                                        ; implicit-def: $vgpr8_vgpr9
	s_and_saveexec_b32 s13, vcc_lo
	s_cbranch_execz .LBB4_738
; %bb.735:                              ;   in Loop: Header=BB4_49 Depth=1
	v_mad_nc_u64_u32 v[82:83], v80, 24, v[6:7]
	s_delay_alu instid0(VALU_DEP_1)
	v_mad_u32 v83, v81, 24, v83
	flat_load_b32 v8, v[82:83]
	s_wait_loadcnt_dscnt 0x0
	v_cmp_eq_u32_e64 s10, 1, v8
	v_cmp_ne_u32_e32 vcc_lo, 1, v8
                                        ; implicit-def: $vgpr8_vgpr9
	s_wait_xcnt 0x0
	s_and_saveexec_b32 s14, s10
	s_cbranch_execz .LBB4_737
; %bb.736:                              ;   in Loop: Header=BB4_49 Depth=1
	flat_load_b32 v8, v[82:83] offset:4 scope:SCOPE_SYS
	s_wait_loadcnt_dscnt 0x0
	v_ashrrev_i32_e32 v9, 31, v8
	s_delay_alu instid0(VALU_DEP_1)
	v_lshrrev_b64 v[8:9], 1, v[8:9]
.LBB4_737:                              ;   in Loop: Header=BB4_49 Depth=1
	s_wait_xcnt 0x0
	s_or_b32 exec_lo, exec_lo, s14
	s_delay_alu instid0(SALU_CYCLE_1)
	s_or_not1_b32 s10, vcc_lo, exec_lo
.LBB4_738:                              ;   in Loop: Header=BB4_49 Depth=1
	s_or_b32 exec_lo, exec_lo, s13
	s_and_saveexec_b32 s13, s10
; %bb.739:                              ;   in Loop: Header=BB4_49 Depth=1
	v_mul_u64_e32 v[8:9], v[80:81], v[34:35]
; %bb.740:                              ;   in Loop: Header=BB4_49 Depth=1
	s_or_b32 exec_lo, exec_lo, s13
	v_cmp_eq_u32_e32 vcc_lo, 0, v14
	v_and_b32_e32 v14, 0x2000, v30
	s_delay_alu instid0(VALU_DEP_3) | instskip(SKIP_2) | instid1(VALU_DEP_1)
	v_lshl_add_u64 v[8:9], v[8:9], 1, v[36:37]
	s_mov_b32 s10, exec_lo
	v_cndmask_b32_e32 v11, 0xc8, v117, vcc_lo
	v_add_nc_u32_e32 v11, v0, v11
	ds_store_b64 v11, v[8:9] offset:584
	v_cmpx_ne_u32_e32 0, v14
	s_cbranch_execz .LBB4_742
; %bb.741:                              ;   in Loop: Header=BB4_49 Depth=1
	ds_load_b64 v[8:9], v0 offset:872
	s_wait_dscnt 0x0
	v_add_nc_u64_e32 v[8:9], 1, v[8:9]
	ds_store_b64 v0, v[8:9] offset:872
.LBB4_742:                              ;   in Loop: Header=BB4_49 Depth=1
	s_or_b32 exec_lo, exec_lo, s10
	v_mov_b64_e32 v[8:9], v[12:13]
.LBB4_743:                              ;   in Loop: Header=BB4_49 Depth=1
	s_or_b32 exec_lo, exec_lo, s12
	s_and_saveexec_b32 s10, s2
	s_cbranch_execz .LBB4_762
; %bb.744:                              ;   in Loop: Header=BB4_49 Depth=1
	s_and_saveexec_b32 s12, s3
	s_delay_alu instid0(SALU_CYCLE_1)
	s_xor_b32 s12, exec_lo, s12
	s_cbranch_execz .LBB4_759
; %bb.745:                              ;   in Loop: Header=BB4_49 Depth=1
	s_and_saveexec_b32 s13, s4
	s_cbranch_execz .LBB4_758
; %bb.746:                              ;   in Loop: Header=BB4_49 Depth=1
	s_mov_b32 s15, exec_lo
	s_mov_b32 s14, exec_lo
	v_mbcnt_lo_u32_b32 v11, s15, 0
	global_wb scope:SCOPE_DEV
	s_wait_storecnt 0x0
	s_wait_loadcnt_dscnt 0x0
	global_inv scope:SCOPE_DEV
	v_cmpx_eq_u32_e32 0, v11
	s_cbranch_execz .LBB4_748
; %bb.747:                              ;   in Loop: Header=BB4_49 Depth=1
	s_bcnt1_i32_b32 s15, s15
	s_delay_alu instid0(SALU_CYCLE_1)
	v_mov_b32_e32 v14, s15
	s_wait_loadcnt 0x0
	ds_add_u64 v0, v[14:15]
	s_trap 2
.LBB4_748:                              ;   in Loop: Header=BB4_49 Depth=1
	s_or_b32 exec_lo, exec_lo, s14
	s_trap 2
	ds_load_b64 v[12:13], v0
	s_wait_dscnt 0x0
	v_add_nc_u64_e32 v[48:49], v[48:49], v[16:17]
	s_mov_b32 s14, exec_lo
	s_delay_alu instid0(VALU_DEP_1)
	v_cmpx_lt_u64_e64 v[12:13], v[48:49]
	s_cbranch_execz .LBB4_757
; %bb.749:                              ;   in Loop: Header=BB4_49 Depth=1
	s_mov_b32 s15, 0
	s_mov_b32 s40, 0
                                        ; implicit-def: $sgpr28
                                        ; implicit-def: $sgpr29
	s_branch .LBB4_751
.LBB4_750:                              ;   in Loop: Header=BB4_751 Depth=2
	s_or_b32 exec_lo, exec_lo, s42
	s_delay_alu instid0(SALU_CYCLE_1) | instskip(NEXT) | instid1(SALU_CYCLE_1)
	s_and_b32 s41, exec_lo, s43
	s_or_b32 s15, s41, s15
	s_and_not1_b32 s28, s28, exec_lo
	s_and_b32 s41, s29, exec_lo
	s_delay_alu instid0(SALU_CYCLE_1)
	s_or_b32 s28, s28, s41
	s_and_not1_b32 exec_lo, exec_lo, s15
	s_cbranch_execz .LBB4_755
.LBB4_751:                              ;   Parent Loop BB4_49 Depth=1
                                        ; =>  This Inner Loop Header: Depth=2
	s_add_co_i32 s40, s40, 1
	s_delay_alu instid0(SALU_CYCLE_1) | instskip(SKIP_1) | instid1(SALU_CYCLE_1)
	s_cmp_lg_u32 s40, 0x2710
	s_cselect_b32 s41, -1, 0
	s_and_b32 vcc_lo, exec_lo, s41
	s_cbranch_vccz .LBB4_753
; %bb.752:                              ;   in Loop: Header=BB4_751 Depth=2
	s_mov_b32 s43, -1
	s_or_b32 s29, s29, exec_lo
	s_and_saveexec_b32 s42, s41
	s_cbranch_execz .LBB4_750
	s_branch .LBB4_754
.LBB4_753:                              ;   in Loop: Header=BB4_751 Depth=2
	s_trap 2
	ds_load_b64 v[12:13], v0
	s_and_not1_b32 s41, s41, exec_lo
	s_mov_b32 s40, 0
	s_wait_loadcnt_dscnt 0x0
	flat_load_b32 v11, v[12:13] scope:SCOPE_SYS
	s_wait_loadcnt_dscnt 0x0
	global_inv scope:SCOPE_SYS
	v_cmp_eq_u32_e32 vcc_lo, 0, v11
	s_and_b32 s42, vcc_lo, exec_lo
	s_delay_alu instid0(SALU_CYCLE_1)
	s_or_b32 s41, s41, s42
	s_mov_b32 s43, -1
	s_or_b32 s29, s29, exec_lo
	s_and_saveexec_b32 s42, s41
	s_cbranch_execz .LBB4_750
.LBB4_754:                              ;   in Loop: Header=BB4_751 Depth=2
	s_sleep 1
	s_trap 2
	ds_load_b64 v[12:13], v0
	s_wait_dscnt 0x0
	s_and_not1_b32 s29, s29, exec_lo
	v_cmp_ge_u64_e32 vcc_lo, v[12:13], v[48:49]
	s_or_not1_b32 s43, vcc_lo, exec_lo
	s_branch .LBB4_750
.LBB4_755:                              ;   in Loop: Header=BB4_49 Depth=1
	s_or_b32 exec_lo, exec_lo, s15
	s_and_saveexec_b32 s15, s28
	s_delay_alu instid0(SALU_CYCLE_1)
	s_xor_b32 s15, exec_lo, s15
	s_cbranch_execz .LBB4_757
; %bb.756:                              ;   in Loop: Header=BB4_49 Depth=1
	ds_store_b32 v0, v116
	s_trap 2
.LBB4_757:                              ;   in Loop: Header=BB4_49 Depth=1
	s_or_b32 exec_lo, exec_lo, s14
	;;#ASMSTART
	s_wakeup
	;;#ASMEND
.LBB4_758:                              ;   in Loop: Header=BB4_49 Depth=1
	s_or_b32 exec_lo, exec_lo, s13
.LBB4_759:                              ;   in Loop: Header=BB4_49 Depth=1
	s_and_not1_saveexec_b32 s12, s12
	s_cbranch_execz .LBB4_761
; %bb.760:                              ;   in Loop: Header=BB4_49 Depth=1
	global_wb scope:SCOPE_DEV
	s_wait_storecnt 0x0
	s_wait_loadcnt_dscnt 0x0
	global_inv scope:SCOPE_DEV
	s_barrier_signal -1
	s_barrier_wait -1
.LBB4_761:                              ;   in Loop: Header=BB4_49 Depth=1
	s_or_b32 exec_lo, exec_lo, s12
.LBB4_762:                              ;   in Loop: Header=BB4_49 Depth=1
	s_delay_alu instid0(SALU_CYCLE_1)
	s_or_b32 exec_lo, exec_lo, s10
	s_trap 2
	ds_load_b32 v11, v0
	v_cmp_lt_i32_e32 vcc_lo, 0, v10
	s_wait_dscnt 0x0
	v_readfirstlane_b32 s10, v11
	v_and_b32_e32 v11, 16, v30
	s_cmp_eq_u32 s10, 0
	s_delay_alu instid0(VALU_DEP_1) | instskip(SKIP_1) | instid1(SALU_CYCLE_1)
	v_cmp_ne_u32_e64 s10, 0, v11
	s_cselect_b32 s12, -1, 0
	s_and_b32 s12, vcc_lo, s12
	s_delay_alu instid0(SALU_CYCLE_1) | instskip(NEXT) | instid1(SALU_CYCLE_1)
	s_and_b32 s12, s10, s12
	s_and_saveexec_b32 s10, s12
	s_cbranch_execz .LBB4_764
; %bb.763:                              ;   in Loop: Header=BB4_49 Depth=1
	global_wb scope:SCOPE_SYS
	s_wait_loadcnt 0x0
	s_wait_storecnt 0x0
	global_inv scope:SCOPE_SYS
.LBB4_764:                              ;   in Loop: Header=BB4_49 Depth=1
	s_or_b32 exec_lo, exec_lo, s10
	v_cmp_ne_u32_e32 vcc_lo, 0, v11
	s_xor_b32 s10, s7, -1
	s_delay_alu instid0(SALU_CYCLE_1) | instskip(NEXT) | instid1(SALU_CYCLE_1)
	s_and_b32 s12, vcc_lo, s10
	s_and_saveexec_b32 s10, s12
	s_cbranch_execz .LBB4_766
; %bb.765:                              ;   in Loop: Header=BB4_49 Depth=1
	global_wb scope:SCOPE_SYS
	s_wait_loadcnt 0x0
	s_wait_storecnt 0x0
	flat_store_b32 v[52:53], v116 scope:SCOPE_SYS
.LBB4_766:                              ;   in Loop: Header=BB4_49 Depth=1
	s_wait_xcnt 0x0
	s_or_b32 exec_lo, exec_lo, s10
	v_and_b32_e32 v10, 48, v30
	s_mov_b32 s10, exec_lo
	s_delay_alu instid0(VALU_DEP_1)
	v_cmpx_ne_u32_e32 0, v10
	s_cbranch_execz .LBB4_47
; %bb.767:                              ;   in Loop: Header=BB4_49 Depth=1
	v_add_nc_u64_e32 v[8:9], 1, v[8:9]
	global_wb scope:SCOPE_SYS
	s_wait_storecnt 0x0
	s_wait_loadcnt_dscnt 0x0
	flat_store_b64 v[32:33], v[8:9] scope:SCOPE_SYS
	s_branch .LBB4_47
.LBB4_768:
	s_or_b32 exec_lo, exec_lo, s22
.LBB4_769:
	s_delay_alu instid0(SALU_CYCLE_1)
	s_or_b32 exec_lo, exec_lo, s20
                                        ; implicit-def: $vgpr26_vgpr27
                                        ; implicit-def: $vgpr4_vgpr5
                                        ; implicit-def: $vgpr34
                                        ; implicit-def: $vgpr38_vgpr39
                                        ; implicit-def: $vgpr36_vgpr37
                                        ; implicit-def: $vgpr32_vgpr33
                                        ; implicit-def: $vgpr0
                                        ; implicit-def: $vgpr19
                                        ; implicit-def: $vgpr50_vgpr51
.LBB4_770:
	s_and_not1_saveexec_b32 s14, s19
	s_cbranch_execz .LBB4_1484
; %bb.771:
	v_mov_b64_e32 v[48:49], 0
	s_mov_b32 s15, exec_lo
	v_cmpx_ne_u64_e32 0, v[4:5]
	s_cbranch_execz .LBB4_1483
; %bb.772:
	v_dual_mov_b32 v17, 0 :: v_dual_lshrrev_b32 v14, 5, v1
	v_dual_ashrrev_i32 v35, 31, v34 :: v_dual_bitop2_b32 v100, 31, v0 bitop3:0x40
	s_delay_alu instid0(VALU_DEP_2) | instskip(NEXT) | instid1(VALU_DEP_3)
	v_dual_lshlrev_b32 v101, 9, v14 :: v_dual_bitop2_b32 v10, 31, v31 bitop3:0x40
	v_dual_mov_b32 v15, v17 :: v_dual_lshlrev_b32 v102, 6, v14
	v_lshl_add_u32 v20, v14, 8, 0xffffff00
	s_delay_alu instid0(VALU_DEP_4)
	v_cmp_le_u32_e64 s5, v100, v19
	s_wait_dscnt 0x0
	v_dual_mov_b32 v25, v17 :: v_dual_add_nc_u32 v18, 0xfffffe00, v101
	v_subrev_nc_u32_e32 v22, 64, v102
	s_lshr_b32 s2, s17, 27
	v_cmp_eq_u32_e32 vcc_lo, 32, v1
	s_delay_alu instid0(VALU_DEP_3) | instskip(NEXT) | instid1(VALU_DEP_3)
	v_dual_ashrrev_i32 v19, 31, v18 :: v_dual_ashrrev_i32 v21, 31, v20
	v_dual_mov_b32 v112, 1 :: v_dual_ashrrev_i32 v23, 31, v22
	s_add_co_i32 s2, s17, s2
	s_delay_alu instid0(VALU_DEP_2) | instskip(NEXT) | instid1(VALU_DEP_3)
	v_add_nc_u64_e32 v[52:53], 0x200, v[18:19]
	v_add_nc_u64_e32 v[54:55], 0x100, v[20:21]
	s_delay_alu instid0(VALU_DEP_3)
	v_add_nc_u64_e32 v[64:65], 64, v[22:23]
	v_mov_b64_e32 v[66:67], 0
	v_mov_b64_e32 v[48:49], 0
	v_cmp_ge_u32_e64 s1, v0, v1
	s_ashr_i32 s19, s2, 5
	v_cmp_ne_u32_e64 s2, 32, v1
	v_cmp_ne_u32_e64 s3, v1, v42
	v_cmp_eq_u32_e64 s4, 0, v10
	v_cmp_eq_u32_e64 s6, 0, v100
	v_dual_lshrrev_b32 v103, 5, v0 :: v_dual_lshlrev_b32 v24, 4, v0
	s_mov_b32 s20, 0
	s_add_co_i32 s21, s33, 0x90
	s_add_co_i32 s22, s33, 0x70
	;; [unrolled: 1-line block ×4, first 2 shown]
	s_xor_b32 s25, vcc_lo, -1
	s_trap 2
	s_branch .LBB4_775
.LBB4_773:                              ;   in Loop: Header=BB4_775 Depth=1
	s_wait_xcnt 0x0
	s_or_b32 exec_lo, exec_lo, s7
.LBB4_774:                              ;   in Loop: Header=BB4_775 Depth=1
	s_delay_alu instid0(SALU_CYCLE_1) | instskip(SKIP_1) | instid1(VALU_DEP_1)
	s_or_b32 exec_lo, exec_lo, s10
	v_add_nc_u64_e32 v[66:67], v[66:67], v[50:51]
	v_cmp_ge_u64_e32 vcc_lo, v[66:67], v[4:5]
	s_or_b32 s20, vcc_lo, s20
	s_delay_alu instid0(SALU_CYCLE_1)
	s_and_not1_b32 exec_lo, exec_lo, s20
	s_cbranch_execz .LBB4_1482
.LBB4_775:                              ; =>This Loop Header: Depth=1
                                        ;     Child Loop BB4_784 Depth 2
                                        ;     Child Loop BB4_808 Depth 2
	;; [unrolled: 1-line block ×4, first 2 shown]
                                        ;       Child Loop BB4_853 Depth 3
                                        ;       Child Loop BB4_922 Depth 3
                                        ;     Child Loop BB4_1061 Depth 2
                                        ;       Child Loop BB4_1062 Depth 3
                                        ;       Child Loop BB4_1131 Depth 3
                                        ;     Child Loop BB4_1272 Depth 2
                                        ;     Child Loop BB4_1379 Depth 2
                                        ;       Child Loop BB4_1380 Depth 3
                                        ;       Child Loop BB4_1393 Depth 3
                                        ;     Child Loop BB4_1420 Depth 2
                                        ;     Child Loop BB4_1443 Depth 2
	;; [unrolled: 1-line block ×3, first 2 shown]
	v_sub_nc_u64_e32 v[10:11], v[4:5], v[66:67]
	v_mov_b32_e32 v70, 0
	s_delay_alu instid0(VALU_DEP_2) | instskip(NEXT) | instid1(VALU_DEP_1)
	v_min_u64 v[68:69], v[50:51], v[10:11]
	v_add_nc_u32_e32 v10, 15, v68
	s_delay_alu instid0(VALU_DEP_2) | instskip(NEXT) | instid1(VALU_DEP_2)
	v_cmp_eq_u64_e32 vcc_lo, 0, v[68:69]
	v_and_b32_e32 v10, 0x3ffffff0, v10
	s_or_b32 s26, s1, vcc_lo
	s_delay_alu instid0(SALU_CYCLE_1) | instskip(NEXT) | instid1(VALU_DEP_1)
	s_xor_b32 s7, s26, -1
	v_max_i32_e32 v69, s19, v10
	s_and_saveexec_b32 s27, s7
	s_cbranch_execz .LBB4_1436
; %bb.776:                              ;   in Loop: Header=BB4_775 Depth=1
	s_and_saveexec_b32 s7, s0
	s_cbranch_execz .LBB4_778
; %bb.777:                              ;   in Loop: Header=BB4_775 Depth=1
	s_trap 2
	ds_load_b64 v[70:71], v0
	ds_load_2addr_b64 v[10:13], v0 offset1:1
	v_add_nc_u64_e32 v[80:81], v[66:67], v[26:27]
	s_delay_alu instid0(VALU_DEP_1) | instskip(SKIP_1) | instid1(VALU_DEP_1)
	v_lshlrev_b64_e32 v[80:81], 1, v[80:81]
	s_wait_dscnt 0x1
	v_add_nc_u64_e32 v[82:83], v[70:71], v[80:81]
	v_cmp_ne_u64_e32 vcc_lo, 0, v[70:71]
	s_wait_dscnt 0x0
	v_add_nc_u64_e32 v[10:11], v[10:11], v[80:81]
	v_add_nc_u64_e32 v[12:13], v[12:13], v[80:81]
	s_delay_alu instid0(VALU_DEP_4)
	v_dual_cndmask_b32 v71, 0, v83 :: v_dual_cndmask_b32 v70, 0, v82
	ds_store_b64 v0, v[10:11]
	ds_store_b64 v0, v[12:13]
	;; [unrolled: 1-line block ×3, first 2 shown]
.LBB4_778:                              ;   in Loop: Header=BB4_775 Depth=1
	s_or_b32 exec_lo, exec_lo, s7
	v_and_b32_e32 v10, 4, v30
	s_mov_b32 s10, exec_lo
	s_delay_alu instid0(VALU_DEP_1)
	v_cmpx_ne_u32_e32 0, v10
	s_cbranch_execz .LBB4_800
; %bb.779:                              ;   in Loop: Header=BB4_775 Depth=1
	v_add_nc_u64_e32 v[10:11], 1, v[8:9]
	s_mov_b32 s11, exec_lo
	s_wait_loadcnt 0x0
	s_delay_alu instid0(VALU_DEP_1)
	v_cmpx_lt_u64_e64 v[38:39], v[10:11]
	s_cbranch_execz .LBB4_791
; %bb.780:                              ;   in Loop: Header=BB4_775 Depth=1
	v_and_b32_e32 v9, 64, v30
	s_mov_b32 s12, 0
	s_mov_b32 s40, 0
                                        ; implicit-def: $sgpr13
                                        ; implicit-def: $sgpr28
                                        ; implicit-def: $sgpr29
	s_delay_alu instid0(VALU_DEP_1)
	v_cmp_eq_u32_e32 vcc_lo, 0, v9
	s_branch .LBB4_784
.LBB4_781:                              ;   in Loop: Header=BB4_784 Depth=2
	s_wait_loadcnt_dscnt 0x0
	v_cmp_ge_u64_e64 s7, v[38:39], v[10:11]
	s_or_b32 s43, s43, exec_lo
	s_or_not1_b32 s42, s7, exec_lo
.LBB4_782:                              ;   in Loop: Header=BB4_784 Depth=2
	s_or_b32 exec_lo, exec_lo, s45
	s_delay_alu instid0(SALU_CYCLE_1)
	s_and_not1_b32 s7, s29, exec_lo
	s_and_b32 s29, s43, exec_lo
	s_and_not1_b32 s28, s28, exec_lo
	s_and_b32 s42, s42, exec_lo
	s_or_b32 s29, s7, s29
	s_or_b32 s28, s28, s42
.LBB4_783:                              ;   in Loop: Header=BB4_784 Depth=2
	s_or_b32 exec_lo, exec_lo, s41
	s_delay_alu instid0(SALU_CYCLE_1) | instskip(NEXT) | instid1(SALU_CYCLE_1)
	s_and_b32 s7, exec_lo, s28
	s_or_b32 s12, s7, s12
	s_and_not1_b32 s7, s13, exec_lo
	s_and_b32 s13, s29, exec_lo
	s_delay_alu instid0(SALU_CYCLE_1)
	s_or_b32 s13, s7, s13
	s_and_not1_b32 exec_lo, exec_lo, s12
	s_cbranch_execz .LBB4_788
.LBB4_784:                              ;   Parent Loop BB4_775 Depth=1
                                        ; =>  This Inner Loop Header: Depth=2
	s_sleep 1
	s_wait_loadcnt_dscnt 0x0
	flat_load_b64 v[38:39], v[32:33] scope:SCOPE_SYS
	s_or_b32 s29, s29, exec_lo
	s_or_b32 s28, s28, exec_lo
                                        ; implicit-def: $vgpr9
	s_wait_xcnt 0x0
	s_and_saveexec_b32 s41, vcc_lo
	s_cbranch_execz .LBB4_783
; %bb.785:                              ;   in Loop: Header=BB4_784 Depth=2
	s_cmp_lt_i32 s40, 0x270f
	s_mov_b32 s42, -1
	s_cselect_b32 s44, -1, 0
	s_cmp_gt_i32 s40, 0x270e
	s_cbranch_scc0 .LBB4_787
; %bb.786:                              ;   in Loop: Header=BB4_784 Depth=2
	s_trap 2
	ds_load_b64 v[12:13], v0
	s_and_not1_b32 s40, s44, exec_lo
	s_mov_b32 s43, 0
	s_wait_storecnt 0x0
	s_wait_loadcnt_dscnt 0x0
	flat_load_b32 v9, v[12:13] scope:SCOPE_SYS
	s_wait_loadcnt_dscnt 0x0
	global_inv scope:SCOPE_SYS
	v_cmp_eq_u32_e64 s7, 0, v9
	s_and_b32 s7, s7, exec_lo
	s_delay_alu instid0(SALU_CYCLE_1)
	s_or_b32 s44, s40, s7
	s_mov_b32 s40, 0
	s_and_saveexec_b32 s45, s44
	s_cbranch_execz .LBB4_782
	s_branch .LBB4_781
.LBB4_787:                              ;   in Loop: Header=BB4_784 Depth=2
	s_add_co_i32 s40, s40, 1
	s_mov_b32 s43, -1
                                        ; implicit-def: $vgpr9
	s_and_saveexec_b32 s45, s44
	s_cbranch_execz .LBB4_782
	s_branch .LBB4_781
.LBB4_788:                              ;   in Loop: Header=BB4_775 Depth=1
	s_or_b32 exec_lo, exec_lo, s12
	s_xor_b32 s7, s13, -1
	s_delay_alu instid0(SALU_CYCLE_1) | instskip(NEXT) | instid1(SALU_CYCLE_1)
	s_and_saveexec_b32 s12, s7
	s_xor_b32 s7, exec_lo, s12
	s_cbranch_execz .LBB4_790
; %bb.789:                              ;   in Loop: Header=BB4_775 Depth=1
	v_or_b32_e32 v30, 64, v30
	s_wait_storecnt 0x0
	s_wait_loadcnt_dscnt 0x0
	ds_store_b32 v0, v9
	s_trap 2
.LBB4_790:                              ;   in Loop: Header=BB4_775 Depth=1
	s_or_b32 exec_lo, exec_lo, s7
.LBB4_791:                              ;   in Loop: Header=BB4_775 Depth=1
	s_delay_alu instid0(SALU_CYCLE_1) | instskip(SKIP_4) | instid1(VALU_DEP_2)
	s_or_b32 exec_lo, exec_lo, s11
	v_and_b32_e32 v9, 0x100, v30
	v_and_b32_e32 v16, 7, v8
	s_mov_b32 s7, -1
	;;#ASMSTART
	s_wakeup
	;;#ASMEND
	v_cmp_ne_u32_e32 vcc_lo, 0, v9
                                        ; implicit-def: $vgpr8_vgpr9
	s_and_saveexec_b32 s11, vcc_lo
	s_cbranch_execz .LBB4_795
; %bb.792:                              ;   in Loop: Header=BB4_775 Depth=1
	v_mad_nc_u64_u32 v[12:13], v16, 24, v[6:7]
	flat_load_b32 v8, v[12:13]
	s_wait_loadcnt_dscnt 0x0
	v_cmp_eq_u32_e64 s7, 1, v8
	v_cmp_ne_u32_e32 vcc_lo, 1, v8
                                        ; implicit-def: $vgpr8_vgpr9
	s_wait_xcnt 0x0
	s_and_saveexec_b32 s12, s7
	s_cbranch_execz .LBB4_794
; %bb.793:                              ;   in Loop: Header=BB4_775 Depth=1
	flat_load_b32 v8, v[12:13] offset:4 scope:SCOPE_SYS
	s_wait_loadcnt_dscnt 0x0
	v_ashrrev_i32_e32 v9, 31, v8
	s_delay_alu instid0(VALU_DEP_1)
	v_lshrrev_b64 v[8:9], 1, v[8:9]
.LBB4_794:                              ;   in Loop: Header=BB4_775 Depth=1
	s_wait_xcnt 0x0
	s_or_b32 exec_lo, exec_lo, s12
	s_delay_alu instid0(SALU_CYCLE_1)
	s_or_not1_b32 s7, vcc_lo, exec_lo
.LBB4_795:                              ;   in Loop: Header=BB4_775 Depth=1
	s_or_b32 exec_lo, exec_lo, s11
	s_and_saveexec_b32 s11, s7
; %bb.796:                              ;   in Loop: Header=BB4_775 Depth=1
	v_mul_u64_e32 v[8:9], v[16:17], v[34:35]
; %bb.797:                              ;   in Loop: Header=BB4_775 Depth=1
	s_or_b32 exec_lo, exec_lo, s11
	v_and_b32_e32 v12, 0x2000, v30
	s_delay_alu instid0(VALU_DEP_2)
	v_lshl_add_u64 v[8:9], v[8:9], 1, v[36:37]
	s_mov_b32 s7, exec_lo
	ds_store_b64 v0, v[8:9] offset:728
	v_cmpx_ne_u32_e32 0, v12
	s_cbranch_execz .LBB4_799
; %bb.798:                              ;   in Loop: Header=BB4_775 Depth=1
	ds_load_b64 v[8:9], v0 offset:872
	s_wait_dscnt 0x0
	v_add_nc_u64_e32 v[8:9], 1, v[8:9]
	ds_store_b64 v0, v[8:9] offset:872
.LBB4_799:                              ;   in Loop: Header=BB4_775 Depth=1
	s_or_b32 exec_lo, exec_lo, s7
	v_mov_b64_e32 v[8:9], v[10:11]
.LBB4_800:                              ;   in Loop: Header=BB4_775 Depth=1
	s_or_b32 exec_lo, exec_lo, s10
	s_and_saveexec_b32 s7, s2
	s_cbranch_execz .LBB4_819
; %bb.801:                              ;   in Loop: Header=BB4_775 Depth=1
	s_and_saveexec_b32 s10, s3
	s_delay_alu instid0(SALU_CYCLE_1)
	s_xor_b32 s10, exec_lo, s10
	s_cbranch_execz .LBB4_816
; %bb.802:                              ;   in Loop: Header=BB4_775 Depth=1
	s_and_saveexec_b32 s11, s4
	s_cbranch_execz .LBB4_815
; %bb.803:                              ;   in Loop: Header=BB4_775 Depth=1
	s_mov_b32 s13, exec_lo
	s_mov_b32 s12, exec_lo
	v_mbcnt_lo_u32_b32 v10, s13, 0
	global_wb scope:SCOPE_DEV
	s_wait_storecnt 0x0
	s_wait_loadcnt_dscnt 0x0
	global_inv scope:SCOPE_DEV
	v_cmpx_eq_u32_e32 0, v10
	s_cbranch_execz .LBB4_805
; %bb.804:                              ;   in Loop: Header=BB4_775 Depth=1
	s_bcnt1_i32_b32 s13, s13
	s_delay_alu instid0(SALU_CYCLE_1)
	v_mov_b32_e32 v16, s13
	s_wait_loadcnt 0x0
	ds_add_u64 v0, v[16:17]
	s_trap 2
.LBB4_805:                              ;   in Loop: Header=BB4_775 Depth=1
	s_or_b32 exec_lo, exec_lo, s12
	s_trap 2
	ds_load_b64 v[10:11], v0
	s_wait_dscnt 0x0
	v_add_nc_u64_e32 v[48:49], v[48:49], v[14:15]
	s_mov_b32 s12, exec_lo
	s_delay_alu instid0(VALU_DEP_1)
	v_cmpx_lt_u64_e64 v[10:11], v[48:49]
	s_cbranch_execz .LBB4_814
; %bb.806:                              ;   in Loop: Header=BB4_775 Depth=1
	s_mov_b32 s13, 0
	s_mov_b32 s40, 0
                                        ; implicit-def: $sgpr28
                                        ; implicit-def: $sgpr29
	s_branch .LBB4_808
.LBB4_807:                              ;   in Loop: Header=BB4_808 Depth=2
	s_or_b32 exec_lo, exec_lo, s42
	s_delay_alu instid0(SALU_CYCLE_1) | instskip(NEXT) | instid1(SALU_CYCLE_1)
	s_and_b32 s41, exec_lo, s43
	s_or_b32 s13, s41, s13
	s_and_not1_b32 s28, s28, exec_lo
	s_and_b32 s41, s29, exec_lo
	s_delay_alu instid0(SALU_CYCLE_1)
	s_or_b32 s28, s28, s41
	s_and_not1_b32 exec_lo, exec_lo, s13
	s_cbranch_execz .LBB4_812
.LBB4_808:                              ;   Parent Loop BB4_775 Depth=1
                                        ; =>  This Inner Loop Header: Depth=2
	s_add_co_i32 s40, s40, 1
	s_delay_alu instid0(SALU_CYCLE_1) | instskip(SKIP_1) | instid1(SALU_CYCLE_1)
	s_cmp_lg_u32 s40, 0x2710
	s_cselect_b32 s41, -1, 0
	s_and_b32 vcc_lo, exec_lo, s41
	s_cbranch_vccz .LBB4_810
; %bb.809:                              ;   in Loop: Header=BB4_808 Depth=2
	s_mov_b32 s43, -1
	s_or_b32 s29, s29, exec_lo
	s_and_saveexec_b32 s42, s41
	s_cbranch_execz .LBB4_807
	s_branch .LBB4_811
.LBB4_810:                              ;   in Loop: Header=BB4_808 Depth=2
	s_trap 2
	ds_load_b64 v[10:11], v0
	s_and_not1_b32 s41, s41, exec_lo
	s_mov_b32 s40, 0
	s_wait_loadcnt_dscnt 0x0
	flat_load_b32 v10, v[10:11] scope:SCOPE_SYS
	s_wait_loadcnt_dscnt 0x0
	global_inv scope:SCOPE_SYS
	v_cmp_eq_u32_e32 vcc_lo, 0, v10
	s_and_b32 s42, vcc_lo, exec_lo
	s_delay_alu instid0(SALU_CYCLE_1)
	s_or_b32 s41, s41, s42
	s_mov_b32 s43, -1
	s_or_b32 s29, s29, exec_lo
	s_and_saveexec_b32 s42, s41
	s_cbranch_execz .LBB4_807
.LBB4_811:                              ;   in Loop: Header=BB4_808 Depth=2
	s_sleep 1
	s_trap 2
	ds_load_b64 v[10:11], v0
	s_wait_dscnt 0x0
	s_and_not1_b32 s29, s29, exec_lo
	v_cmp_ge_u64_e32 vcc_lo, v[10:11], v[48:49]
	s_or_not1_b32 s43, vcc_lo, exec_lo
	s_branch .LBB4_807
.LBB4_812:                              ;   in Loop: Header=BB4_775 Depth=1
	s_or_b32 exec_lo, exec_lo, s13
	s_and_saveexec_b32 s13, s28
	s_delay_alu instid0(SALU_CYCLE_1)
	s_xor_b32 s13, exec_lo, s13
	s_cbranch_execz .LBB4_814
; %bb.813:                              ;   in Loop: Header=BB4_775 Depth=1
	ds_store_b32 v0, v112
	s_trap 2
.LBB4_814:                              ;   in Loop: Header=BB4_775 Depth=1
	s_or_b32 exec_lo, exec_lo, s12
	;;#ASMSTART
	s_wakeup
	;;#ASMEND
.LBB4_815:                              ;   in Loop: Header=BB4_775 Depth=1
	s_or_b32 exec_lo, exec_lo, s11
.LBB4_816:                              ;   in Loop: Header=BB4_775 Depth=1
	s_and_not1_saveexec_b32 s10, s10
	s_cbranch_execz .LBB4_818
; %bb.817:                              ;   in Loop: Header=BB4_775 Depth=1
	global_wb scope:SCOPE_DEV
	s_wait_storecnt 0x0
	s_wait_loadcnt_dscnt 0x0
	global_inv scope:SCOPE_DEV
	s_barrier_signal -1
	s_barrier_wait -1
.LBB4_818:                              ;   in Loop: Header=BB4_775 Depth=1
	s_or_b32 exec_lo, exec_lo, s10
.LBB4_819:                              ;   in Loop: Header=BB4_775 Depth=1
	s_delay_alu instid0(SALU_CYCLE_1) | instskip(SKIP_3) | instid1(VALU_DEP_1)
	s_or_b32 exec_lo, exec_lo, s7
	s_trap 2
	ds_load_b32 v10, v0
	v_and_b32_e32 v11, 0x4000, v30
	v_cmp_ne_u32_e32 vcc_lo, 0, v11
	s_and_b32 s10, s25, vcc_lo
	s_delay_alu instid0(SALU_CYCLE_1)
	s_and_saveexec_b32 s7, s10
	s_cbranch_execz .LBB4_838
; %bb.820:                              ;   in Loop: Header=BB4_775 Depth=1
	s_and_saveexec_b32 s10, s3
	s_delay_alu instid0(SALU_CYCLE_1)
	s_xor_b32 s10, exec_lo, s10
	s_cbranch_execz .LBB4_835
; %bb.821:                              ;   in Loop: Header=BB4_775 Depth=1
	s_and_saveexec_b32 s11, s4
	s_cbranch_execz .LBB4_834
; %bb.822:                              ;   in Loop: Header=BB4_775 Depth=1
	s_mov_b32 s13, exec_lo
	s_mov_b32 s12, exec_lo
	v_mbcnt_lo_u32_b32 v11, s13, 0
	global_wb scope:SCOPE_DEV
	s_wait_storecnt 0x0
	s_wait_loadcnt_dscnt 0x0
	global_inv scope:SCOPE_DEV
	v_cmpx_eq_u32_e32 0, v11
	s_cbranch_execz .LBB4_824
; %bb.823:                              ;   in Loop: Header=BB4_775 Depth=1
	s_bcnt1_i32_b32 s13, s13
	s_delay_alu instid0(SALU_CYCLE_1)
	v_mov_b32_e32 v16, s13
	s_wait_loadcnt 0x0
	ds_add_u64 v0, v[16:17]
	s_trap 2
.LBB4_824:                              ;   in Loop: Header=BB4_775 Depth=1
	s_or_b32 exec_lo, exec_lo, s12
	s_trap 2
	ds_load_b64 v[12:13], v0
	s_wait_dscnt 0x0
	v_add_nc_u64_e32 v[48:49], v[48:49], v[14:15]
	s_mov_b32 s12, exec_lo
	s_delay_alu instid0(VALU_DEP_1)
	v_cmpx_lt_u64_e64 v[12:13], v[48:49]
	s_cbranch_execz .LBB4_833
; %bb.825:                              ;   in Loop: Header=BB4_775 Depth=1
	s_mov_b32 s13, 0
	s_mov_b32 s40, 0
                                        ; implicit-def: $sgpr28
                                        ; implicit-def: $sgpr29
	s_branch .LBB4_827
.LBB4_826:                              ;   in Loop: Header=BB4_827 Depth=2
	s_or_b32 exec_lo, exec_lo, s42
	s_delay_alu instid0(SALU_CYCLE_1) | instskip(NEXT) | instid1(SALU_CYCLE_1)
	s_and_b32 s41, exec_lo, s43
	s_or_b32 s13, s41, s13
	s_and_not1_b32 s28, s28, exec_lo
	s_and_b32 s41, s29, exec_lo
	s_delay_alu instid0(SALU_CYCLE_1)
	s_or_b32 s28, s28, s41
	s_and_not1_b32 exec_lo, exec_lo, s13
	s_cbranch_execz .LBB4_831
.LBB4_827:                              ;   Parent Loop BB4_775 Depth=1
                                        ; =>  This Inner Loop Header: Depth=2
	s_add_co_i32 s40, s40, 1
	s_delay_alu instid0(SALU_CYCLE_1) | instskip(SKIP_1) | instid1(SALU_CYCLE_1)
	s_cmp_lg_u32 s40, 0x2710
	s_cselect_b32 s41, -1, 0
	s_and_b32 vcc_lo, exec_lo, s41
	s_cbranch_vccz .LBB4_829
; %bb.828:                              ;   in Loop: Header=BB4_827 Depth=2
	s_mov_b32 s43, -1
	s_or_b32 s29, s29, exec_lo
	s_and_saveexec_b32 s42, s41
	s_cbranch_execz .LBB4_826
	s_branch .LBB4_830
.LBB4_829:                              ;   in Loop: Header=BB4_827 Depth=2
	s_trap 2
	ds_load_b64 v[12:13], v0
	s_and_not1_b32 s41, s41, exec_lo
	s_mov_b32 s40, 0
	s_wait_loadcnt_dscnt 0x0
	flat_load_b32 v11, v[12:13] scope:SCOPE_SYS
	s_wait_loadcnt_dscnt 0x0
	global_inv scope:SCOPE_SYS
	v_cmp_eq_u32_e32 vcc_lo, 0, v11
	s_and_b32 s42, vcc_lo, exec_lo
	s_delay_alu instid0(SALU_CYCLE_1)
	s_or_b32 s41, s41, s42
	s_mov_b32 s43, -1
	s_or_b32 s29, s29, exec_lo
	s_and_saveexec_b32 s42, s41
	s_cbranch_execz .LBB4_826
.LBB4_830:                              ;   in Loop: Header=BB4_827 Depth=2
	s_sleep 1
	s_trap 2
	ds_load_b64 v[12:13], v0
	s_wait_dscnt 0x0
	s_and_not1_b32 s29, s29, exec_lo
	v_cmp_ge_u64_e32 vcc_lo, v[12:13], v[48:49]
	s_or_not1_b32 s43, vcc_lo, exec_lo
	s_branch .LBB4_826
.LBB4_831:                              ;   in Loop: Header=BB4_775 Depth=1
	s_or_b32 exec_lo, exec_lo, s13
	s_and_saveexec_b32 s13, s28
	s_delay_alu instid0(SALU_CYCLE_1)
	s_xor_b32 s13, exec_lo, s13
	s_cbranch_execz .LBB4_833
; %bb.832:                              ;   in Loop: Header=BB4_775 Depth=1
	ds_store_b32 v0, v112
	s_trap 2
.LBB4_833:                              ;   in Loop: Header=BB4_775 Depth=1
	s_or_b32 exec_lo, exec_lo, s12
	;;#ASMSTART
	s_wakeup
	;;#ASMEND
.LBB4_834:                              ;   in Loop: Header=BB4_775 Depth=1
	s_or_b32 exec_lo, exec_lo, s11
.LBB4_835:                              ;   in Loop: Header=BB4_775 Depth=1
	s_and_not1_saveexec_b32 s10, s10
	s_cbranch_execz .LBB4_837
; %bb.836:                              ;   in Loop: Header=BB4_775 Depth=1
	global_wb scope:SCOPE_DEV
	s_wait_storecnt 0x0
	s_wait_loadcnt_dscnt 0x0
	global_inv scope:SCOPE_DEV
	s_barrier_signal -1
	s_barrier_wait -1
.LBB4_837:                              ;   in Loop: Header=BB4_775 Depth=1
	s_or_b32 exec_lo, exec_lo, s10
.LBB4_838:                              ;   in Loop: Header=BB4_775 Depth=1
	s_delay_alu instid0(SALU_CYCLE_1)
	s_or_b32 exec_lo, exec_lo, s7
	s_trap 2
	ds_load_b64 v[70:71], v0
	v_min_u32_e32 v69, v69, v68
	s_wait_dscnt 0x0
	v_cmp_eq_u64_e32 vcc_lo, 0, v[70:71]
	s_cbranch_vccnz .LBB4_846
; %bb.839:                              ;   in Loop: Header=BB4_775 Depth=1
	s_trap 2
	ds_load_b64 v[80:81], v0
	s_wait_dscnt 0x0
	v_cmp_eq_u64_e32 vcc_lo, 0, v[80:81]
	s_cbranch_vccnz .LBB4_846
; %bb.840:                              ;   in Loop: Header=BB4_775 Depth=1
	s_mov_b32 s7, -1
	s_and_saveexec_b32 s10, s5
	s_cbranch_execz .LBB4_842
; %bb.841:                              ;   in Loop: Header=BB4_775 Depth=1
	ds_load_b32 v11, v0 offset:720
	s_wait_dscnt 0x0
	v_and_b32_e32 v11, 15, v11
	s_delay_alu instid0(VALU_DEP_1)
	v_cmp_eq_u32_e32 vcc_lo, 0, v11
	s_or_not1_b32 s7, vcc_lo, exec_lo
.LBB4_842:                              ;   in Loop: Header=BB4_775 Depth=1
	s_or_b32 exec_lo, exec_lo, s10
	s_and_saveexec_b32 s10, s6
	s_cbranch_execz .LBB4_844
; %bb.843:                              ;   in Loop: Header=BB4_775 Depth=1
	ds_load_b32 v11, v0 offset:784
	s_wait_dscnt 0x0
	v_and_b32_e32 v11, 15, v11
	s_delay_alu instid0(VALU_DEP_1) | instskip(SKIP_3) | instid1(SALU_CYCLE_1)
	v_cmp_eq_u32_e32 vcc_lo, 0, v11
	s_and_b32 s11, s7, vcc_lo
	s_and_not1_b32 s7, s7, exec_lo
	s_and_b32 s11, s11, exec_lo
	s_or_b32 s7, s7, s11
.LBB4_844:                              ;   in Loop: Header=BB4_775 Depth=1
	s_or_b32 exec_lo, exec_lo, s10
	s_xor_b32 s7, s7, -1
	s_mov_b32 s10, -1
	v_cndmask_b32_e64 v11, 0, 1, s7
	v_cmp_eq_u32_e64 s7, 0, v10
	s_delay_alu instid0(VALU_DEP_2)
	v_cmp_ne_u32_e32 vcc_lo, 0, v11
	s_cbranch_vccz .LBB4_847
; %bb.845:                              ;   in Loop: Header=BB4_775 Depth=1
	s_mov_b32 s10, 0
	s_mov_b32 s28, -1
	s_branch .LBB4_848
.LBB4_846:                              ;   in Loop: Header=BB4_775 Depth=1
	s_mov_b32 s7, 0
	s_and_saveexec_b32 s10, s2
	s_cbranch_execnz .LBB4_1413
	s_branch .LBB4_1431
.LBB4_847:                              ;   in Loop: Header=BB4_775 Depth=1
	s_mov_b32 s28, 0
.LBB4_848:                              ;   in Loop: Header=BB4_775 Depth=1
	v_dual_cndmask_b32 v16, 0, v69, s7 :: v_dual_mov_b32 v96, 0
	s_and_not1_b32 vcc_lo, exec_lo, s10
	s_delay_alu instid0(VALU_DEP_1)
	v_lshlrev_b32_e32 v113, 1, v16
	s_cbranch_vccnz .LBB4_989
; %bb.849:                              ;   in Loop: Header=BB4_775 Depth=1
	v_lshrrev_b32_e32 v10, 8, v16
	s_trap 2
	ds_load_b64 v[82:83], v0
	v_add_nc_u64_e32 v[84:85], v[80:81], v[24:25]
	v_dual_sub_nc_u32 v117, v113, v24 :: v_dual_lshlrev_b32 v114, 9, v10
	s_mov_b32 s11, 0
	s_mov_b32 s29, exec_lo
	s_delay_alu instid0(VALU_DEP_1) | instskip(NEXT) | instid1(VALU_DEP_1)
	v_dual_sub_nc_u32 v115, v113, v114 :: v_dual_sub_nc_u32 v10, v10, v103
	v_cmp_lt_i32_e64 s7, 15, v115
	s_delay_alu instid0(VALU_DEP_1)
	v_add_co_ci_u32_e64 v116, null, 0, v10, s7
	v_cmpx_lt_i32_e32 15, v117
	s_cbranch_execz .LBB4_991
; %bb.850:                              ;   in Loop: Header=BB4_775 Depth=1
	s_trap 2
	ds_load_b32 v10, v0
	v_add_nc_u64_e32 v[86:87], v[70:71], v[24:25]
	s_wait_dscnt 0x1
	v_add_nc_u64_e32 v[96:97], v[82:83], v[24:25]
	s_mov_b32 s42, 0
	s_mov_b32 s40, 0
                                        ; implicit-def: $sgpr41
	s_wait_dscnt 0x0
	v_lshlrev_b32_e32 v118, 16, v10
	s_branch .LBB4_852
.LBB4_851:                              ;   in Loop: Header=BB4_852 Depth=2
	s_or_b32 exec_lo, exec_lo, s10
	s_delay_alu instid0(VALU_DEP_1) | instskip(SKIP_3) | instid1(SALU_CYCLE_1)
	v_cmp_gt_i32_e32 vcc_lo, 16, v117
	s_or_b32 s40, vcc_lo, s40
	s_and_not1_b32 s10, s41, exec_lo
	s_and_b32 s11, s42, exec_lo
	s_or_b32 s41, s10, s11
	s_and_not1_b32 exec_lo, exec_lo, s40
	s_cbranch_execz .LBB4_990
.LBB4_852:                              ;   Parent Loop BB4_775 Depth=1
                                        ; =>  This Loop Header: Depth=2
                                        ;       Child Loop BB4_853 Depth 3
                                        ;       Child Loop BB4_922 Depth 3
	s_add_co_i32 s10, s33, 0x60
	s_mov_b64 s[12:13], 0
	s_mov_b32 s43, s10
	s_mov_b32 s44, -1
.LBB4_853:                              ;   Parent Loop BB4_775 Depth=1
                                        ;     Parent Loop BB4_852 Depth=2
                                        ; =>    This Inner Loop Header: Depth=3
	s_cmp_eq_u32 s12, 1
	s_cselect_b32 vcc_lo, -1, 0
	s_cmp_eq_u32 s12, 0
	v_dual_cndmask_b32 v99, v87, v97 :: v_dual_cndmask_b32 v98, v86, v96
	s_cselect_b32 s10, -1, 0
	s_and_b32 s11, exec_lo, s44
	s_mov_b64 s[12:13], 1
	s_mov_b32 s44, 0
	global_load_b128 v[10:13], v[98:99], off th:TH_LOAD_NT
	s_wait_xcnt 0x0
	v_add_nc_u64_e32 v[98:99], 0x200, v[98:99]
	s_delay_alu instid0(VALU_DEP_1)
	v_dual_cndmask_b32 v87, v87, v99, s10 :: v_dual_cndmask_b32 v86, v86, v98, s10
	v_dual_cndmask_b32 v97, v97, v99 :: v_dual_cndmask_b32 v96, v96, v98
	s_mov_b32 vcc_lo, s11
	s_wait_loadcnt 0x0
	scratch_store_b128 off, v[10:13], s43
	s_wait_xcnt 0x0
	s_mov_b32 s43, s22
	s_cbranch_vccnz .LBB4_853
; %bb.854:                              ;   in Loop: Header=BB4_852 Depth=2
	s_and_saveexec_b32 s10, s42
	s_cbranch_execz .LBB4_920
; %bb.855:                              ;   in Loop: Header=BB4_852 Depth=2
	scratch_load_b128 v[10:13], off, s33 offset:128
	s_wait_loadcnt 0x0
	v_lshlrev_b32_e32 v98, 16, v10
	s_delay_alu instid0(VALU_DEP_1) | instskip(NEXT) | instid1(VALU_DEP_1)
	v_mul_f32_e32 v98, v118, v98
	v_and_b32_e32 v99, 0x7f800000, v98
	s_delay_alu instid0(VALU_DEP_1) | instskip(SKIP_2) | instid1(SALU_CYCLE_1)
	v_cmp_ne_u32_e32 vcc_lo, 0x7f800000, v99
                                        ; implicit-def: $vgpr99
	s_wait_xcnt 0x0
	s_and_saveexec_b32 s11, vcc_lo
	s_xor_b32 s11, exec_lo, s11
; %bb.856:                              ;   in Loop: Header=BB4_852 Depth=2
	v_bfe_u32 v99, v98, 16, 1
	s_delay_alu instid0(VALU_DEP_1)
	v_add3_u32 v99, v98, v99, 0x7fff
                                        ; implicit-def: $vgpr98
; %bb.857:                              ;   in Loop: Header=BB4_852 Depth=2
	s_and_not1_saveexec_b32 s11, s11
; %bb.858:                              ;   in Loop: Header=BB4_852 Depth=2
	v_and_b32_e32 v99, 0xffff, v98
	v_or_b32_e32 v119, 0x10000, v98
	s_delay_alu instid0(VALU_DEP_2) | instskip(NEXT) | instid1(VALU_DEP_2)
	v_cmp_eq_u32_e32 vcc_lo, 0, v99
	v_cndmask_b32_e32 v99, v119, v98, vcc_lo
; %bb.859:                              ;   in Loop: Header=BB4_852 Depth=2
	s_or_b32 exec_lo, exec_lo, s11
	v_and_b32_e32 v10, 0xffff0000, v10
	s_delay_alu instid0(VALU_DEP_1) | instskip(NEXT) | instid1(VALU_DEP_1)
	v_mul_f32_e32 v10, v118, v10
	v_and_b32_e32 v98, 0x7f800000, v10
	s_delay_alu instid0(VALU_DEP_1) | instskip(SKIP_1) | instid1(SALU_CYCLE_1)
	v_cmp_ne_u32_e32 vcc_lo, 0x7f800000, v98
                                        ; implicit-def: $vgpr98
	s_and_saveexec_b32 s11, vcc_lo
	s_xor_b32 s11, exec_lo, s11
; %bb.860:                              ;   in Loop: Header=BB4_852 Depth=2
	v_bfe_u32 v98, v10, 16, 1
	s_delay_alu instid0(VALU_DEP_1)
	v_add3_u32 v98, v10, v98, 0x7fff
                                        ; implicit-def: $vgpr10
; %bb.861:                              ;   in Loop: Header=BB4_852 Depth=2
	s_and_not1_saveexec_b32 s11, s11
; %bb.862:                              ;   in Loop: Header=BB4_852 Depth=2
	v_and_b32_e32 v98, 0xffff, v10
	v_or_b32_e32 v119, 0x10000, v10
	s_delay_alu instid0(VALU_DEP_2) | instskip(NEXT) | instid1(VALU_DEP_2)
	v_cmp_eq_u32_e32 vcc_lo, 0, v98
	v_cndmask_b32_e32 v98, v119, v10, vcc_lo
; %bb.863:                              ;   in Loop: Header=BB4_852 Depth=2
	s_or_b32 exec_lo, exec_lo, s11
	v_lshlrev_b32_e32 v10, 16, v11
	s_mov_b32 s11, exec_lo
                                        ; implicit-def: $vgpr46
	s_delay_alu instid0(VALU_DEP_1) | instskip(NEXT) | instid1(VALU_DEP_1)
	v_mul_f32_e32 v10, v118, v10
	v_and_b32_e32 v119, 0x7f800000, v10
	s_delay_alu instid0(VALU_DEP_1)
	v_cmpx_ne_u32_e32 0x7f800000, v119
	s_xor_b32 s11, exec_lo, s11
; %bb.864:                              ;   in Loop: Header=BB4_852 Depth=2
	v_bfe_u32 v119, v10, 16, 1
	s_delay_alu instid0(VALU_DEP_1)
	v_add3_u32 v46, v10, v119, 0x7fff
                                        ; implicit-def: $vgpr10
; %bb.865:                              ;   in Loop: Header=BB4_852 Depth=2
	s_and_not1_saveexec_b32 s11, s11
; %bb.866:                              ;   in Loop: Header=BB4_852 Depth=2
	v_and_b32_e32 v119, 0xffff, v10
	v_or_b32_e32 v40, 0x10000, v10
	s_delay_alu instid0(VALU_DEP_2) | instskip(NEXT) | instid1(VALU_DEP_2)
	v_cmp_eq_u32_e32 vcc_lo, 0, v119
	v_cndmask_b32_e32 v46, v40, v10, vcc_lo
; %bb.867:                              ;   in Loop: Header=BB4_852 Depth=2
	s_or_b32 exec_lo, exec_lo, s11
	v_and_b32_e32 v10, 0xffff0000, v11
	s_mov_b32 s11, exec_lo
                                        ; implicit-def: $vgpr44
	s_delay_alu instid0(VALU_DEP_1) | instskip(NEXT) | instid1(VALU_DEP_1)
	v_mul_f32_e32 v10, v118, v10
	v_and_b32_e32 v11, 0x7f800000, v10
	s_delay_alu instid0(VALU_DEP_1)
	v_cmpx_ne_u32_e32 0x7f800000, v11
	s_xor_b32 s11, exec_lo, s11
; %bb.868:                              ;   in Loop: Header=BB4_852 Depth=2
	v_bfe_u32 v11, v10, 16, 1
	s_delay_alu instid0(VALU_DEP_1)
	v_add3_u32 v44, v10, v11, 0x7fff
                                        ; implicit-def: $vgpr10
; %bb.869:                              ;   in Loop: Header=BB4_852 Depth=2
	s_and_not1_saveexec_b32 s11, s11
; %bb.870:                              ;   in Loop: Header=BB4_852 Depth=2
	v_and_b32_e32 v11, 0xffff, v10
	v_or_b32_e32 v119, 0x10000, v10
	s_delay_alu instid0(VALU_DEP_2) | instskip(NEXT) | instid1(VALU_DEP_2)
	v_cmp_eq_u32_e32 vcc_lo, 0, v11
	v_cndmask_b32_e32 v44, v119, v10, vcc_lo
; %bb.871:                              ;   in Loop: Header=BB4_852 Depth=2
	s_or_b32 exec_lo, exec_lo, s11
	v_lshlrev_b32_e32 v10, 16, v12
	s_mov_b32 s11, exec_lo
                                        ; implicit-def: $vgpr45
	s_delay_alu instid0(VALU_DEP_1) | instskip(NEXT) | instid1(VALU_DEP_1)
	v_mul_f32_e32 v10, v118, v10
	v_and_b32_e32 v11, 0x7f800000, v10
	s_delay_alu instid0(VALU_DEP_1)
	v_cmpx_ne_u32_e32 0x7f800000, v11
	s_xor_b32 s11, exec_lo, s11
; %bb.872:                              ;   in Loop: Header=BB4_852 Depth=2
	v_bfe_u32 v11, v10, 16, 1
	s_delay_alu instid0(VALU_DEP_1)
	v_add3_u32 v45, v10, v11, 0x7fff
                                        ; implicit-def: $vgpr10
; %bb.873:                              ;   in Loop: Header=BB4_852 Depth=2
	s_and_not1_saveexec_b32 s11, s11
; %bb.874:                              ;   in Loop: Header=BB4_852 Depth=2
	v_and_b32_e32 v11, 0xffff, v10
	v_or_b32_e32 v119, 0x10000, v10
	s_delay_alu instid0(VALU_DEP_2) | instskip(NEXT) | instid1(VALU_DEP_2)
	v_cmp_eq_u32_e32 vcc_lo, 0, v11
	v_cndmask_b32_e32 v45, v119, v10, vcc_lo
; %bb.875:                              ;   in Loop: Header=BB4_852 Depth=2
	s_or_b32 exec_lo, exec_lo, s11
	v_and_b32_e32 v10, 0xffff0000, v12
	s_mov_b32 s11, exec_lo
                                        ; implicit-def: $vgpr41
	s_delay_alu instid0(VALU_DEP_1) | instskip(NEXT) | instid1(VALU_DEP_1)
	v_mul_f32_e32 v10, v118, v10
	v_and_b32_e32 v11, 0x7f800000, v10
	s_delay_alu instid0(VALU_DEP_1)
	v_cmpx_ne_u32_e32 0x7f800000, v11
	s_xor_b32 s11, exec_lo, s11
; %bb.876:                              ;   in Loop: Header=BB4_852 Depth=2
	v_bfe_u32 v11, v10, 16, 1
	s_delay_alu instid0(VALU_DEP_1)
	v_add3_u32 v41, v10, v11, 0x7fff
                                        ; implicit-def: $vgpr10
; %bb.877:                              ;   in Loop: Header=BB4_852 Depth=2
	s_and_not1_saveexec_b32 s11, s11
; %bb.878:                              ;   in Loop: Header=BB4_852 Depth=2
	v_and_b32_e32 v11, 0xffff, v10
	v_or_b32_e32 v12, 0x10000, v10
	s_delay_alu instid0(VALU_DEP_2) | instskip(NEXT) | instid1(VALU_DEP_2)
	v_cmp_eq_u32_e32 vcc_lo, 0, v11
	v_cndmask_b32_e32 v41, v12, v10, vcc_lo
; %bb.879:                              ;   in Loop: Header=BB4_852 Depth=2
	s_or_b32 exec_lo, exec_lo, s11
	v_lshlrev_b32_e32 v10, 16, v13
	s_mov_b32 s11, exec_lo
                                        ; implicit-def: $vgpr43
	s_delay_alu instid0(VALU_DEP_1) | instskip(NEXT) | instid1(VALU_DEP_1)
	v_mul_f32_e32 v10, v118, v10
	v_and_b32_e32 v11, 0x7f800000, v10
	s_delay_alu instid0(VALU_DEP_1)
	v_cmpx_ne_u32_e32 0x7f800000, v11
	s_xor_b32 s11, exec_lo, s11
; %bb.880:                              ;   in Loop: Header=BB4_852 Depth=2
	v_bfe_u32 v11, v10, 16, 1
	s_delay_alu instid0(VALU_DEP_1)
	v_add3_u32 v43, v10, v11, 0x7fff
                                        ; implicit-def: $vgpr10
; %bb.881:                              ;   in Loop: Header=BB4_852 Depth=2
	s_and_not1_saveexec_b32 s11, s11
; %bb.882:                              ;   in Loop: Header=BB4_852 Depth=2
	v_and_b32_e32 v11, 0xffff, v10
	v_or_b32_e32 v12, 0x10000, v10
	s_delay_alu instid0(VALU_DEP_2) | instskip(NEXT) | instid1(VALU_DEP_2)
	v_cmp_eq_u32_e32 vcc_lo, 0, v11
	v_cndmask_b32_e32 v43, v12, v10, vcc_lo
; %bb.883:                              ;   in Loop: Header=BB4_852 Depth=2
	s_or_b32 exec_lo, exec_lo, s11
	v_and_b32_e32 v10, 0xffff0000, v13
	s_mov_b32 s11, exec_lo
                                        ; implicit-def: $vgpr119
	s_delay_alu instid0(VALU_DEP_1) | instskip(NEXT) | instid1(VALU_DEP_1)
	v_mul_f32_e32 v10, v118, v10
	v_and_b32_e32 v11, 0x7f800000, v10
	s_delay_alu instid0(VALU_DEP_1)
	v_cmpx_ne_u32_e32 0x7f800000, v11
	s_xor_b32 s11, exec_lo, s11
; %bb.884:                              ;   in Loop: Header=BB4_852 Depth=2
	v_bfe_u32 v11, v10, 16, 1
	s_delay_alu instid0(VALU_DEP_1)
	v_add3_u32 v119, v10, v11, 0x7fff
                                        ; implicit-def: $vgpr10
; %bb.885:                              ;   in Loop: Header=BB4_852 Depth=2
	s_and_not1_saveexec_b32 s11, s11
; %bb.886:                              ;   in Loop: Header=BB4_852 Depth=2
	v_and_b32_e32 v11, 0xffff, v10
	v_or_b32_e32 v12, 0x10000, v10
	s_delay_alu instid0(VALU_DEP_2) | instskip(NEXT) | instid1(VALU_DEP_2)
	v_cmp_eq_u32_e32 vcc_lo, 0, v11
	v_cndmask_b32_e32 v119, v12, v10, vcc_lo
; %bb.887:                              ;   in Loop: Header=BB4_852 Depth=2
	s_or_b32 exec_lo, exec_lo, s11
	scratch_load_b128 v[10:13], off, s33 offset:144
	v_and_b32_e32 v99, 0xffff0000, v99
	s_wait_loadcnt 0x0
	v_lshlrev_b32_e32 v40, 16, v10
	s_delay_alu instid0(VALU_DEP_1) | instskip(NEXT) | instid1(VALU_DEP_1)
	v_add_f32_e32 v99, v99, v40
	v_and_b32_e32 v40, 0x7f800000, v99
	s_delay_alu instid0(VALU_DEP_1) | instskip(SKIP_2) | instid1(SALU_CYCLE_1)
	v_cmp_ne_u32_e32 vcc_lo, 0x7f800000, v40
                                        ; implicit-def: $vgpr40
	s_wait_xcnt 0x0
	s_and_saveexec_b32 s11, vcc_lo
	s_xor_b32 s11, exec_lo, s11
; %bb.888:                              ;   in Loop: Header=BB4_852 Depth=2
	v_bfe_u32 v40, v99, 16, 1
	s_delay_alu instid0(VALU_DEP_1)
	v_add3_u32 v40, v99, v40, 0x7fff
                                        ; implicit-def: $vgpr99
; %bb.889:                              ;   in Loop: Header=BB4_852 Depth=2
	s_and_not1_saveexec_b32 s11, s11
; %bb.890:                              ;   in Loop: Header=BB4_852 Depth=2
	v_and_b32_e32 v40, 0xffff, v99
	v_or_b32_e32 v47, 0x10000, v99
	s_delay_alu instid0(VALU_DEP_2) | instskip(NEXT) | instid1(VALU_DEP_2)
	v_cmp_eq_u32_e32 vcc_lo, 0, v40
	v_cndmask_b32_e32 v40, v47, v99, vcc_lo
; %bb.891:                              ;   in Loop: Header=BB4_852 Depth=2
	s_or_b32 exec_lo, exec_lo, s11
	v_and_b32_e32 v99, 0xffff0000, v10
	v_and_b32_e32 v98, 0xffff0000, v98
	s_delay_alu instid0(VALU_DEP_2) | instskip(NEXT) | instid1(VALU_DEP_1)
	v_mov_b32_e32 v10, v99
	v_pk_add_f32 v[98:99], v[10:11], v[98:99]
	s_delay_alu instid0(VALU_DEP_1) | instskip(NEXT) | instid1(VALU_DEP_1)
	v_and_b32_e32 v10, 0x7f800000, v98
	v_cmp_ne_u32_e32 vcc_lo, 0x7f800000, v10
                                        ; implicit-def: $vgpr10
	s_and_saveexec_b32 s11, vcc_lo
	s_delay_alu instid0(SALU_CYCLE_1)
	s_xor_b32 s11, exec_lo, s11
; %bb.892:                              ;   in Loop: Header=BB4_852 Depth=2
	v_bfe_u32 v10, v98, 16, 1
	s_delay_alu instid0(VALU_DEP_1)
	v_add3_u32 v10, v98, v10, 0x7fff
                                        ; implicit-def: $vgpr98_vgpr99
; %bb.893:                              ;   in Loop: Header=BB4_852 Depth=2
	s_and_not1_saveexec_b32 s11, s11
; %bb.894:                              ;   in Loop: Header=BB4_852 Depth=2
	v_and_b32_e32 v10, 0xffff, v98
	v_or_b32_e32 v99, 0x10000, v98
	s_delay_alu instid0(VALU_DEP_2) | instskip(NEXT) | instid1(VALU_DEP_2)
	v_cmp_eq_u32_e32 vcc_lo, 0, v10
	v_cndmask_b32_e32 v10, v99, v98, vcc_lo
; %bb.895:                              ;   in Loop: Header=BB4_852 Depth=2
	s_or_b32 exec_lo, exec_lo, s11
	v_and_b32_e32 v98, 0xffff0000, v46
	v_lshlrev_b32_e32 v99, 16, v11
	s_delay_alu instid0(VALU_DEP_1) | instskip(NEXT) | instid1(VALU_DEP_1)
	v_add_f32_e32 v99, v98, v99
	v_and_b32_e32 v98, 0x7f800000, v99
	s_delay_alu instid0(VALU_DEP_1) | instskip(SKIP_1) | instid1(SALU_CYCLE_1)
	v_cmp_ne_u32_e32 vcc_lo, 0x7f800000, v98
                                        ; implicit-def: $vgpr98
	s_and_saveexec_b32 s11, vcc_lo
	s_xor_b32 s11, exec_lo, s11
; %bb.896:                              ;   in Loop: Header=BB4_852 Depth=2
	v_bfe_u32 v98, v99, 16, 1
	s_delay_alu instid0(VALU_DEP_1)
	v_add3_u32 v98, v99, v98, 0x7fff
                                        ; implicit-def: $vgpr99
; %bb.897:                              ;   in Loop: Header=BB4_852 Depth=2
	s_and_not1_saveexec_b32 s11, s11
; %bb.898:                              ;   in Loop: Header=BB4_852 Depth=2
	v_and_b32_e32 v98, 0xffff, v99
	v_or_b32_e32 v46, 0x10000, v99
	s_delay_alu instid0(VALU_DEP_2) | instskip(NEXT) | instid1(VALU_DEP_2)
	v_cmp_eq_u32_e32 vcc_lo, 0, v98
	v_cndmask_b32_e32 v98, v46, v99, vcc_lo
; %bb.899:                              ;   in Loop: Header=BB4_852 Depth=2
	s_or_b32 exec_lo, exec_lo, s11
	v_and_b32_e32 v11, 0xffff0000, v11
	v_and_b32_e32 v99, 0xffff0000, v44
	s_delay_alu instid0(VALU_DEP_1) | instskip(NEXT) | instid1(VALU_DEP_1)
	v_add_f32_e32 v99, v99, v11
	v_and_b32_e32 v11, 0x7f800000, v99
	s_delay_alu instid0(VALU_DEP_1) | instskip(SKIP_1) | instid1(SALU_CYCLE_1)
	v_cmp_ne_u32_e32 vcc_lo, 0x7f800000, v11
                                        ; implicit-def: $vgpr11
	s_and_saveexec_b32 s11, vcc_lo
	s_xor_b32 s11, exec_lo, s11
; %bb.900:                              ;   in Loop: Header=BB4_852 Depth=2
	v_bfe_u32 v11, v99, 16, 1
	s_delay_alu instid0(VALU_DEP_1)
	v_add3_u32 v11, v99, v11, 0x7fff
                                        ; implicit-def: $vgpr99
; %bb.901:                              ;   in Loop: Header=BB4_852 Depth=2
	s_and_not1_saveexec_b32 s11, s11
; %bb.902:                              ;   in Loop: Header=BB4_852 Depth=2
	v_and_b32_e32 v11, 0xffff, v99
	v_or_b32_e32 v44, 0x10000, v99
	s_delay_alu instid0(VALU_DEP_2) | instskip(NEXT) | instid1(VALU_DEP_2)
	v_cmp_eq_u32_e32 vcc_lo, 0, v11
	v_cndmask_b32_e32 v11, v44, v99, vcc_lo
; %bb.903:                              ;   in Loop: Header=BB4_852 Depth=2
	s_or_b32 exec_lo, exec_lo, s11
	v_and_b32_e32 v99, 0xffff0000, v45
	v_lshlrev_b32_e32 v44, 16, v12
	s_delay_alu instid0(VALU_DEP_1) | instskip(NEXT) | instid1(VALU_DEP_1)
	v_add_f32_e32 v44, v99, v44
	v_and_b32_e32 v99, 0x7f800000, v44
	s_delay_alu instid0(VALU_DEP_1) | instskip(SKIP_1) | instid1(SALU_CYCLE_1)
	v_cmp_ne_u32_e32 vcc_lo, 0x7f800000, v99
                                        ; implicit-def: $vgpr99
	s_and_saveexec_b32 s11, vcc_lo
	s_xor_b32 s11, exec_lo, s11
; %bb.904:                              ;   in Loop: Header=BB4_852 Depth=2
	v_bfe_u32 v99, v44, 16, 1
	s_delay_alu instid0(VALU_DEP_1)
	v_add3_u32 v99, v44, v99, 0x7fff
                                        ; implicit-def: $vgpr44
; %bb.905:                              ;   in Loop: Header=BB4_852 Depth=2
	s_and_not1_saveexec_b32 s11, s11
; %bb.906:                              ;   in Loop: Header=BB4_852 Depth=2
	v_and_b32_e32 v99, 0xffff, v44
	v_or_b32_e32 v45, 0x10000, v44
	s_delay_alu instid0(VALU_DEP_2) | instskip(NEXT) | instid1(VALU_DEP_2)
	v_cmp_eq_u32_e32 vcc_lo, 0, v99
	v_cndmask_b32_e32 v99, v45, v44, vcc_lo
; %bb.907:                              ;   in Loop: Header=BB4_852 Depth=2
	s_or_b32 exec_lo, exec_lo, s11
	v_and_b32_e32 v12, 0xffff0000, v12
	v_and_b32_e32 v41, 0xffff0000, v41
	s_delay_alu instid0(VALU_DEP_1) | instskip(NEXT) | instid1(VALU_DEP_1)
	v_add_f32_e32 v41, v41, v12
	v_and_b32_e32 v12, 0x7f800000, v41
	s_delay_alu instid0(VALU_DEP_1) | instskip(SKIP_1) | instid1(SALU_CYCLE_1)
	v_cmp_ne_u32_e32 vcc_lo, 0x7f800000, v12
                                        ; implicit-def: $vgpr12
	s_and_saveexec_b32 s11, vcc_lo
	s_xor_b32 s11, exec_lo, s11
; %bb.908:                              ;   in Loop: Header=BB4_852 Depth=2
	v_bfe_u32 v12, v41, 16, 1
	s_delay_alu instid0(VALU_DEP_1)
	v_add3_u32 v12, v41, v12, 0x7fff
                                        ; implicit-def: $vgpr41
; %bb.909:                              ;   in Loop: Header=BB4_852 Depth=2
	s_and_not1_saveexec_b32 s11, s11
; %bb.910:                              ;   in Loop: Header=BB4_852 Depth=2
	v_and_b32_e32 v12, 0xffff, v41
	v_or_b32_e32 v44, 0x10000, v41
	s_delay_alu instid0(VALU_DEP_2) | instskip(NEXT) | instid1(VALU_DEP_2)
	v_cmp_eq_u32_e32 vcc_lo, 0, v12
	v_cndmask_b32_e32 v12, v44, v41, vcc_lo
; %bb.911:                              ;   in Loop: Header=BB4_852 Depth=2
	s_or_b32 exec_lo, exec_lo, s11
	v_and_b32_e32 v41, 0xffff0000, v43
	v_lshlrev_b32_e32 v43, 16, v13
	s_delay_alu instid0(VALU_DEP_1) | instskip(NEXT) | instid1(VALU_DEP_1)
	v_add_f32_e32 v43, v41, v43
	v_and_b32_e32 v41, 0x7f800000, v43
	s_delay_alu instid0(VALU_DEP_1) | instskip(SKIP_1) | instid1(SALU_CYCLE_1)
	v_cmp_ne_u32_e32 vcc_lo, 0x7f800000, v41
                                        ; implicit-def: $vgpr41
	s_and_saveexec_b32 s11, vcc_lo
	s_xor_b32 s11, exec_lo, s11
; %bb.912:                              ;   in Loop: Header=BB4_852 Depth=2
	v_bfe_u32 v41, v43, 16, 1
	s_delay_alu instid0(VALU_DEP_1)
	v_add3_u32 v41, v43, v41, 0x7fff
                                        ; implicit-def: $vgpr43
; %bb.913:                              ;   in Loop: Header=BB4_852 Depth=2
	s_and_not1_saveexec_b32 s11, s11
; %bb.914:                              ;   in Loop: Header=BB4_852 Depth=2
	v_and_b32_e32 v41, 0xffff, v43
	v_or_b32_e32 v44, 0x10000, v43
	s_delay_alu instid0(VALU_DEP_2) | instskip(NEXT) | instid1(VALU_DEP_2)
	v_cmp_eq_u32_e32 vcc_lo, 0, v41
	v_cndmask_b32_e32 v41, v44, v43, vcc_lo
; %bb.915:                              ;   in Loop: Header=BB4_852 Depth=2
	s_or_b32 exec_lo, exec_lo, s11
	v_and_b32_e32 v13, 0xffff0000, v13
	v_and_b32_e32 v119, 0xffff0000, v119
	s_delay_alu instid0(VALU_DEP_1) | instskip(NEXT) | instid1(VALU_DEP_1)
	v_add_f32_e32 v119, v119, v13
	v_and_b32_e32 v13, 0x7f800000, v119
	s_delay_alu instid0(VALU_DEP_1) | instskip(SKIP_1) | instid1(SALU_CYCLE_1)
	v_cmp_ne_u32_e32 vcc_lo, 0x7f800000, v13
                                        ; implicit-def: $vgpr13
	s_and_saveexec_b32 s11, vcc_lo
	s_xor_b32 s11, exec_lo, s11
; %bb.916:                              ;   in Loop: Header=BB4_852 Depth=2
	v_bfe_u32 v13, v119, 16, 1
	s_delay_alu instid0(VALU_DEP_1)
	v_add3_u32 v13, v119, v13, 0x7fff
                                        ; implicit-def: $vgpr119
; %bb.917:                              ;   in Loop: Header=BB4_852 Depth=2
	s_and_not1_saveexec_b32 s11, s11
; %bb.918:                              ;   in Loop: Header=BB4_852 Depth=2
	v_and_b32_e32 v13, 0xffff, v119
	v_or_b32_e32 v43, 0x10000, v119
	s_delay_alu instid0(VALU_DEP_2) | instskip(NEXT) | instid1(VALU_DEP_2)
	v_cmp_eq_u32_e32 vcc_lo, 0, v13
	v_cndmask_b32_e32 v13, v43, v119, vcc_lo
; %bb.919:                              ;   in Loop: Header=BB4_852 Depth=2
	s_or_b32 exec_lo, exec_lo, s11
	v_dual_lshrrev_b32 v98, 16, v98 :: v_dual_lshrrev_b32 v119, 16, v40
	v_dual_lshrrev_b32 v99, 16, v99 :: v_dual_lshrrev_b32 v40, 16, v41
	s_delay_alu instid0(VALU_DEP_2) | instskip(NEXT) | instid1(VALU_DEP_3)
	v_and_or_b32 v11, 0xffff0000, v11, v98
	v_and_or_b32 v10, 0xffff0000, v10, v119
	s_delay_alu instid0(VALU_DEP_3) | instskip(NEXT) | instid1(VALU_DEP_4)
	v_and_or_b32 v12, 0xffff0000, v12, v99
	v_and_or_b32 v13, 0xffff0000, v13, v40
	global_store_b128 v[84:85], v[10:13], off th:TH_STORE_NT
	s_wait_xcnt 0x0
	v_add_nc_u64_e32 v[84:85], v[52:53], v[84:85]
	scratch_store_b128 off, v[10:13], s33 offset:128
.LBB4_920:                              ;   in Loop: Header=BB4_852 Depth=2
	s_wait_xcnt 0x0
	s_or_b32 exec_lo, exec_lo, s10
	v_sub_nc_u32_e32 v117, v117, v101
	v_add_nc_u64_e32 v[86:87], v[86:87], v[18:19]
	v_add_nc_u64_e32 v[96:97], v[96:97], v[18:19]
	s_delay_alu instid0(VALU_DEP_3)
	v_cmp_lt_i32_e64 s42, 15, v117
	s_and_saveexec_b32 s43, s42
	s_cbranch_execz .LBB4_923
; %bb.921:                              ;   in Loop: Header=BB4_852 Depth=2
	s_add_co_i32 s10, s33, 0x80
	s_mov_b64 s[12:13], 0
	s_mov_b32 s44, s10
	s_mov_b32 s45, -1
.LBB4_922:                              ;   Parent Loop BB4_775 Depth=1
                                        ;     Parent Loop BB4_852 Depth=2
                                        ; =>    This Inner Loop Header: Depth=3
	s_cmp_eq_u32 s12, 1
	s_cselect_b32 vcc_lo, -1, 0
	s_cmp_eq_u32 s12, 0
	v_dual_cndmask_b32 v99, v87, v97 :: v_dual_cndmask_b32 v98, v86, v96
	s_cselect_b32 s10, -1, 0
	s_and_b32 s11, exec_lo, s45
	s_mov_b64 s[12:13], 1
	s_mov_b32 s45, 0
	global_load_b128 v[10:13], v[98:99], off th:TH_LOAD_NT
	s_wait_xcnt 0x0
	v_add_nc_u64_e32 v[98:99], 0x200, v[98:99]
	s_delay_alu instid0(VALU_DEP_1)
	v_dual_cndmask_b32 v87, v87, v99, s10 :: v_dual_cndmask_b32 v86, v86, v98, s10
	v_dual_cndmask_b32 v97, v97, v99 :: v_dual_cndmask_b32 v96, v96, v98
	s_mov_b32 vcc_lo, s11
	s_wait_loadcnt 0x0
	scratch_store_b128 off, v[10:13], s44
	s_wait_xcnt 0x0
	s_mov_b32 s44, s21
	s_cbranch_vccnz .LBB4_922
.LBB4_923:                              ;   in Loop: Header=BB4_852 Depth=2
	s_or_b32 exec_lo, exec_lo, s43
	scratch_load_b128 v[10:13], off, s33 offset:96
	s_wait_loadcnt 0x0
	v_lshlrev_b32_e32 v98, 16, v10
	s_delay_alu instid0(VALU_DEP_1) | instskip(NEXT) | instid1(VALU_DEP_1)
	v_mul_f32_e32 v98, v118, v98
	v_and_b32_e32 v99, 0x7f800000, v98
	s_delay_alu instid0(VALU_DEP_1) | instskip(SKIP_2) | instid1(SALU_CYCLE_1)
	v_cmp_ne_u32_e32 vcc_lo, 0x7f800000, v99
                                        ; implicit-def: $vgpr99
	s_wait_xcnt 0x0
	s_and_saveexec_b32 s10, vcc_lo
	s_xor_b32 s10, exec_lo, s10
; %bb.924:                              ;   in Loop: Header=BB4_852 Depth=2
	v_bfe_u32 v99, v98, 16, 1
	s_delay_alu instid0(VALU_DEP_1)
	v_add3_u32 v99, v98, v99, 0x7fff
                                        ; implicit-def: $vgpr98
; %bb.925:                              ;   in Loop: Header=BB4_852 Depth=2
	s_and_not1_saveexec_b32 s10, s10
; %bb.926:                              ;   in Loop: Header=BB4_852 Depth=2
	v_and_b32_e32 v99, 0xffff, v98
	v_or_b32_e32 v119, 0x10000, v98
	s_delay_alu instid0(VALU_DEP_2) | instskip(NEXT) | instid1(VALU_DEP_2)
	v_cmp_eq_u32_e32 vcc_lo, 0, v99
	v_cndmask_b32_e32 v99, v119, v98, vcc_lo
; %bb.927:                              ;   in Loop: Header=BB4_852 Depth=2
	s_or_b32 exec_lo, exec_lo, s10
	v_and_b32_e32 v10, 0xffff0000, v10
	s_delay_alu instid0(VALU_DEP_1) | instskip(NEXT) | instid1(VALU_DEP_1)
	v_mul_f32_e32 v10, v118, v10
	v_and_b32_e32 v98, 0x7f800000, v10
	s_delay_alu instid0(VALU_DEP_1) | instskip(SKIP_1) | instid1(SALU_CYCLE_1)
	v_cmp_ne_u32_e32 vcc_lo, 0x7f800000, v98
                                        ; implicit-def: $vgpr98
	s_and_saveexec_b32 s10, vcc_lo
	s_xor_b32 s10, exec_lo, s10
; %bb.928:                              ;   in Loop: Header=BB4_852 Depth=2
	v_bfe_u32 v98, v10, 16, 1
	s_delay_alu instid0(VALU_DEP_1)
	v_add3_u32 v98, v10, v98, 0x7fff
                                        ; implicit-def: $vgpr10
; %bb.929:                              ;   in Loop: Header=BB4_852 Depth=2
	s_and_not1_saveexec_b32 s10, s10
; %bb.930:                              ;   in Loop: Header=BB4_852 Depth=2
	v_and_b32_e32 v98, 0xffff, v10
	v_or_b32_e32 v119, 0x10000, v10
	s_delay_alu instid0(VALU_DEP_2) | instskip(NEXT) | instid1(VALU_DEP_2)
	v_cmp_eq_u32_e32 vcc_lo, 0, v98
	v_cndmask_b32_e32 v98, v119, v10, vcc_lo
; %bb.931:                              ;   in Loop: Header=BB4_852 Depth=2
	s_or_b32 exec_lo, exec_lo, s10
	v_lshlrev_b32_e32 v10, 16, v11
	s_mov_b32 s10, exec_lo
                                        ; implicit-def: $vgpr46
	s_delay_alu instid0(VALU_DEP_1) | instskip(NEXT) | instid1(VALU_DEP_1)
	v_mul_f32_e32 v10, v118, v10
	v_and_b32_e32 v119, 0x7f800000, v10
	s_delay_alu instid0(VALU_DEP_1)
	v_cmpx_ne_u32_e32 0x7f800000, v119
	s_xor_b32 s10, exec_lo, s10
; %bb.932:                              ;   in Loop: Header=BB4_852 Depth=2
	v_bfe_u32 v119, v10, 16, 1
	s_delay_alu instid0(VALU_DEP_1)
	v_add3_u32 v46, v10, v119, 0x7fff
                                        ; implicit-def: $vgpr10
; %bb.933:                              ;   in Loop: Header=BB4_852 Depth=2
	s_and_not1_saveexec_b32 s10, s10
; %bb.934:                              ;   in Loop: Header=BB4_852 Depth=2
	v_and_b32_e32 v119, 0xffff, v10
	v_or_b32_e32 v40, 0x10000, v10
	s_delay_alu instid0(VALU_DEP_2) | instskip(NEXT) | instid1(VALU_DEP_2)
	v_cmp_eq_u32_e32 vcc_lo, 0, v119
	v_cndmask_b32_e32 v46, v40, v10, vcc_lo
; %bb.935:                              ;   in Loop: Header=BB4_852 Depth=2
	s_or_b32 exec_lo, exec_lo, s10
	v_and_b32_e32 v10, 0xffff0000, v11
	s_mov_b32 s10, exec_lo
                                        ; implicit-def: $vgpr44
	s_delay_alu instid0(VALU_DEP_1) | instskip(NEXT) | instid1(VALU_DEP_1)
	v_mul_f32_e32 v10, v118, v10
	v_and_b32_e32 v11, 0x7f800000, v10
	s_delay_alu instid0(VALU_DEP_1)
	v_cmpx_ne_u32_e32 0x7f800000, v11
	s_xor_b32 s10, exec_lo, s10
; %bb.936:                              ;   in Loop: Header=BB4_852 Depth=2
	v_bfe_u32 v11, v10, 16, 1
	s_delay_alu instid0(VALU_DEP_1)
	v_add3_u32 v44, v10, v11, 0x7fff
                                        ; implicit-def: $vgpr10
; %bb.937:                              ;   in Loop: Header=BB4_852 Depth=2
	s_and_not1_saveexec_b32 s10, s10
; %bb.938:                              ;   in Loop: Header=BB4_852 Depth=2
	v_and_b32_e32 v11, 0xffff, v10
	v_or_b32_e32 v119, 0x10000, v10
	s_delay_alu instid0(VALU_DEP_2) | instskip(NEXT) | instid1(VALU_DEP_2)
	v_cmp_eq_u32_e32 vcc_lo, 0, v11
	v_cndmask_b32_e32 v44, v119, v10, vcc_lo
; %bb.939:                              ;   in Loop: Header=BB4_852 Depth=2
	s_or_b32 exec_lo, exec_lo, s10
	v_lshlrev_b32_e32 v10, 16, v12
	s_mov_b32 s10, exec_lo
                                        ; implicit-def: $vgpr45
	s_delay_alu instid0(VALU_DEP_1) | instskip(NEXT) | instid1(VALU_DEP_1)
	v_mul_f32_e32 v10, v118, v10
	v_and_b32_e32 v11, 0x7f800000, v10
	s_delay_alu instid0(VALU_DEP_1)
	v_cmpx_ne_u32_e32 0x7f800000, v11
	s_xor_b32 s10, exec_lo, s10
; %bb.940:                              ;   in Loop: Header=BB4_852 Depth=2
	v_bfe_u32 v11, v10, 16, 1
	s_delay_alu instid0(VALU_DEP_1)
	v_add3_u32 v45, v10, v11, 0x7fff
                                        ; implicit-def: $vgpr10
; %bb.941:                              ;   in Loop: Header=BB4_852 Depth=2
	s_and_not1_saveexec_b32 s10, s10
; %bb.942:                              ;   in Loop: Header=BB4_852 Depth=2
	v_and_b32_e32 v11, 0xffff, v10
	v_or_b32_e32 v119, 0x10000, v10
	s_delay_alu instid0(VALU_DEP_2) | instskip(NEXT) | instid1(VALU_DEP_2)
	v_cmp_eq_u32_e32 vcc_lo, 0, v11
	v_cndmask_b32_e32 v45, v119, v10, vcc_lo
; %bb.943:                              ;   in Loop: Header=BB4_852 Depth=2
	s_or_b32 exec_lo, exec_lo, s10
	v_and_b32_e32 v10, 0xffff0000, v12
	s_mov_b32 s10, exec_lo
                                        ; implicit-def: $vgpr41
	s_delay_alu instid0(VALU_DEP_1) | instskip(NEXT) | instid1(VALU_DEP_1)
	v_mul_f32_e32 v10, v118, v10
	v_and_b32_e32 v11, 0x7f800000, v10
	s_delay_alu instid0(VALU_DEP_1)
	v_cmpx_ne_u32_e32 0x7f800000, v11
	s_xor_b32 s10, exec_lo, s10
; %bb.944:                              ;   in Loop: Header=BB4_852 Depth=2
	v_bfe_u32 v11, v10, 16, 1
	s_delay_alu instid0(VALU_DEP_1)
	v_add3_u32 v41, v10, v11, 0x7fff
                                        ; implicit-def: $vgpr10
; %bb.945:                              ;   in Loop: Header=BB4_852 Depth=2
	s_and_not1_saveexec_b32 s10, s10
; %bb.946:                              ;   in Loop: Header=BB4_852 Depth=2
	v_and_b32_e32 v11, 0xffff, v10
	v_or_b32_e32 v12, 0x10000, v10
	s_delay_alu instid0(VALU_DEP_2) | instskip(NEXT) | instid1(VALU_DEP_2)
	v_cmp_eq_u32_e32 vcc_lo, 0, v11
	v_cndmask_b32_e32 v41, v12, v10, vcc_lo
; %bb.947:                              ;   in Loop: Header=BB4_852 Depth=2
	s_or_b32 exec_lo, exec_lo, s10
	v_lshlrev_b32_e32 v10, 16, v13
	s_mov_b32 s10, exec_lo
                                        ; implicit-def: $vgpr43
	s_delay_alu instid0(VALU_DEP_1) | instskip(NEXT) | instid1(VALU_DEP_1)
	v_mul_f32_e32 v10, v118, v10
	v_and_b32_e32 v11, 0x7f800000, v10
	s_delay_alu instid0(VALU_DEP_1)
	v_cmpx_ne_u32_e32 0x7f800000, v11
	s_xor_b32 s10, exec_lo, s10
; %bb.948:                              ;   in Loop: Header=BB4_852 Depth=2
	v_bfe_u32 v11, v10, 16, 1
	s_delay_alu instid0(VALU_DEP_1)
	v_add3_u32 v43, v10, v11, 0x7fff
                                        ; implicit-def: $vgpr10
; %bb.949:                              ;   in Loop: Header=BB4_852 Depth=2
	s_and_not1_saveexec_b32 s10, s10
; %bb.950:                              ;   in Loop: Header=BB4_852 Depth=2
	v_and_b32_e32 v11, 0xffff, v10
	v_or_b32_e32 v12, 0x10000, v10
	s_delay_alu instid0(VALU_DEP_2) | instskip(NEXT) | instid1(VALU_DEP_2)
	v_cmp_eq_u32_e32 vcc_lo, 0, v11
	v_cndmask_b32_e32 v43, v12, v10, vcc_lo
; %bb.951:                              ;   in Loop: Header=BB4_852 Depth=2
	s_or_b32 exec_lo, exec_lo, s10
	v_and_b32_e32 v10, 0xffff0000, v13
	s_mov_b32 s10, exec_lo
                                        ; implicit-def: $vgpr40
	s_delay_alu instid0(VALU_DEP_1) | instskip(NEXT) | instid1(VALU_DEP_1)
	v_mul_f32_e32 v10, v118, v10
	v_and_b32_e32 v11, 0x7f800000, v10
	s_delay_alu instid0(VALU_DEP_1)
	v_cmpx_ne_u32_e32 0x7f800000, v11
	s_xor_b32 s10, exec_lo, s10
; %bb.952:                              ;   in Loop: Header=BB4_852 Depth=2
	v_bfe_u32 v11, v10, 16, 1
	s_delay_alu instid0(VALU_DEP_1)
	v_add3_u32 v40, v10, v11, 0x7fff
                                        ; implicit-def: $vgpr10
; %bb.953:                              ;   in Loop: Header=BB4_852 Depth=2
	s_and_not1_saveexec_b32 s10, s10
; %bb.954:                              ;   in Loop: Header=BB4_852 Depth=2
	v_and_b32_e32 v11, 0xffff, v10
	v_or_b32_e32 v12, 0x10000, v10
	s_delay_alu instid0(VALU_DEP_2) | instskip(NEXT) | instid1(VALU_DEP_2)
	v_cmp_eq_u32_e32 vcc_lo, 0, v11
	v_cndmask_b32_e32 v40, v12, v10, vcc_lo
; %bb.955:                              ;   in Loop: Header=BB4_852 Depth=2
	s_or_b32 exec_lo, exec_lo, s10
	scratch_load_b128 v[10:13], off, s33 offset:112
	v_and_b32_e32 v99, 0xffff0000, v99
	s_wait_loadcnt 0x0
	v_lshlrev_b32_e32 v119, 16, v10
	s_delay_alu instid0(VALU_DEP_1) | instskip(NEXT) | instid1(VALU_DEP_1)
	v_add_f32_e32 v99, v99, v119
	v_and_b32_e32 v119, 0x7f800000, v99
	s_delay_alu instid0(VALU_DEP_1) | instskip(SKIP_2) | instid1(SALU_CYCLE_1)
	v_cmp_ne_u32_e32 vcc_lo, 0x7f800000, v119
                                        ; implicit-def: $vgpr119
	s_wait_xcnt 0x0
	s_and_saveexec_b32 s10, vcc_lo
	s_xor_b32 s10, exec_lo, s10
; %bb.956:                              ;   in Loop: Header=BB4_852 Depth=2
	v_bfe_u32 v119, v99, 16, 1
	s_delay_alu instid0(VALU_DEP_1)
	v_add3_u32 v119, v99, v119, 0x7fff
                                        ; implicit-def: $vgpr99
; %bb.957:                              ;   in Loop: Header=BB4_852 Depth=2
	s_and_not1_saveexec_b32 s10, s10
; %bb.958:                              ;   in Loop: Header=BB4_852 Depth=2
	v_and_b32_e32 v119, 0xffff, v99
	v_or_b32_e32 v47, 0x10000, v99
	s_delay_alu instid0(VALU_DEP_2) | instskip(NEXT) | instid1(VALU_DEP_2)
	v_cmp_eq_u32_e32 vcc_lo, 0, v119
	v_cndmask_b32_e32 v119, v47, v99, vcc_lo
; %bb.959:                              ;   in Loop: Header=BB4_852 Depth=2
	s_or_b32 exec_lo, exec_lo, s10
	v_and_b32_e32 v99, 0xffff0000, v10
	v_and_b32_e32 v98, 0xffff0000, v98
	s_delay_alu instid0(VALU_DEP_2) | instskip(NEXT) | instid1(VALU_DEP_1)
	v_mov_b32_e32 v10, v99
	v_pk_add_f32 v[98:99], v[10:11], v[98:99]
	s_delay_alu instid0(VALU_DEP_1) | instskip(NEXT) | instid1(VALU_DEP_1)
	v_and_b32_e32 v10, 0x7f800000, v98
	v_cmp_ne_u32_e32 vcc_lo, 0x7f800000, v10
                                        ; implicit-def: $vgpr10
	s_and_saveexec_b32 s10, vcc_lo
	s_delay_alu instid0(SALU_CYCLE_1)
	s_xor_b32 s10, exec_lo, s10
; %bb.960:                              ;   in Loop: Header=BB4_852 Depth=2
	v_bfe_u32 v10, v98, 16, 1
	s_delay_alu instid0(VALU_DEP_1)
	v_add3_u32 v10, v98, v10, 0x7fff
                                        ; implicit-def: $vgpr98_vgpr99
; %bb.961:                              ;   in Loop: Header=BB4_852 Depth=2
	s_and_not1_saveexec_b32 s10, s10
; %bb.962:                              ;   in Loop: Header=BB4_852 Depth=2
	v_and_b32_e32 v10, 0xffff, v98
	v_or_b32_e32 v99, 0x10000, v98
	s_delay_alu instid0(VALU_DEP_2) | instskip(NEXT) | instid1(VALU_DEP_2)
	v_cmp_eq_u32_e32 vcc_lo, 0, v10
	v_cndmask_b32_e32 v10, v99, v98, vcc_lo
; %bb.963:                              ;   in Loop: Header=BB4_852 Depth=2
	s_or_b32 exec_lo, exec_lo, s10
	v_and_b32_e32 v98, 0xffff0000, v46
	v_lshlrev_b32_e32 v99, 16, v11
	s_delay_alu instid0(VALU_DEP_1) | instskip(NEXT) | instid1(VALU_DEP_1)
	v_add_f32_e32 v99, v98, v99
	v_and_b32_e32 v98, 0x7f800000, v99
	s_delay_alu instid0(VALU_DEP_1) | instskip(SKIP_1) | instid1(SALU_CYCLE_1)
	v_cmp_ne_u32_e32 vcc_lo, 0x7f800000, v98
                                        ; implicit-def: $vgpr98
	s_and_saveexec_b32 s10, vcc_lo
	s_xor_b32 s10, exec_lo, s10
; %bb.964:                              ;   in Loop: Header=BB4_852 Depth=2
	v_bfe_u32 v98, v99, 16, 1
	s_delay_alu instid0(VALU_DEP_1)
	v_add3_u32 v98, v99, v98, 0x7fff
                                        ; implicit-def: $vgpr99
; %bb.965:                              ;   in Loop: Header=BB4_852 Depth=2
	s_and_not1_saveexec_b32 s10, s10
; %bb.966:                              ;   in Loop: Header=BB4_852 Depth=2
	v_and_b32_e32 v98, 0xffff, v99
	v_or_b32_e32 v46, 0x10000, v99
	s_delay_alu instid0(VALU_DEP_2) | instskip(NEXT) | instid1(VALU_DEP_2)
	v_cmp_eq_u32_e32 vcc_lo, 0, v98
	v_cndmask_b32_e32 v98, v46, v99, vcc_lo
; %bb.967:                              ;   in Loop: Header=BB4_852 Depth=2
	s_or_b32 exec_lo, exec_lo, s10
	v_and_b32_e32 v11, 0xffff0000, v11
	v_and_b32_e32 v99, 0xffff0000, v44
	s_delay_alu instid0(VALU_DEP_1) | instskip(NEXT) | instid1(VALU_DEP_1)
	v_add_f32_e32 v99, v99, v11
	v_and_b32_e32 v11, 0x7f800000, v99
	s_delay_alu instid0(VALU_DEP_1) | instskip(SKIP_1) | instid1(SALU_CYCLE_1)
	v_cmp_ne_u32_e32 vcc_lo, 0x7f800000, v11
                                        ; implicit-def: $vgpr11
	s_and_saveexec_b32 s10, vcc_lo
	s_xor_b32 s10, exec_lo, s10
; %bb.968:                              ;   in Loop: Header=BB4_852 Depth=2
	v_bfe_u32 v11, v99, 16, 1
	s_delay_alu instid0(VALU_DEP_1)
	v_add3_u32 v11, v99, v11, 0x7fff
                                        ; implicit-def: $vgpr99
; %bb.969:                              ;   in Loop: Header=BB4_852 Depth=2
	s_and_not1_saveexec_b32 s10, s10
; %bb.970:                              ;   in Loop: Header=BB4_852 Depth=2
	v_and_b32_e32 v11, 0xffff, v99
	v_or_b32_e32 v44, 0x10000, v99
	s_delay_alu instid0(VALU_DEP_2) | instskip(NEXT) | instid1(VALU_DEP_2)
	v_cmp_eq_u32_e32 vcc_lo, 0, v11
	v_cndmask_b32_e32 v11, v44, v99, vcc_lo
; %bb.971:                              ;   in Loop: Header=BB4_852 Depth=2
	s_or_b32 exec_lo, exec_lo, s10
	v_and_b32_e32 v99, 0xffff0000, v45
	v_lshlrev_b32_e32 v44, 16, v12
	s_delay_alu instid0(VALU_DEP_1) | instskip(NEXT) | instid1(VALU_DEP_1)
	v_add_f32_e32 v44, v99, v44
	v_and_b32_e32 v99, 0x7f800000, v44
	s_delay_alu instid0(VALU_DEP_1) | instskip(SKIP_1) | instid1(SALU_CYCLE_1)
	v_cmp_ne_u32_e32 vcc_lo, 0x7f800000, v99
                                        ; implicit-def: $vgpr99
	s_and_saveexec_b32 s10, vcc_lo
	s_xor_b32 s10, exec_lo, s10
; %bb.972:                              ;   in Loop: Header=BB4_852 Depth=2
	v_bfe_u32 v99, v44, 16, 1
	s_delay_alu instid0(VALU_DEP_1)
	v_add3_u32 v99, v44, v99, 0x7fff
                                        ; implicit-def: $vgpr44
; %bb.973:                              ;   in Loop: Header=BB4_852 Depth=2
	s_and_not1_saveexec_b32 s10, s10
; %bb.974:                              ;   in Loop: Header=BB4_852 Depth=2
	v_and_b32_e32 v99, 0xffff, v44
	v_or_b32_e32 v45, 0x10000, v44
	s_delay_alu instid0(VALU_DEP_2) | instskip(NEXT) | instid1(VALU_DEP_2)
	v_cmp_eq_u32_e32 vcc_lo, 0, v99
	v_cndmask_b32_e32 v99, v45, v44, vcc_lo
; %bb.975:                              ;   in Loop: Header=BB4_852 Depth=2
	s_or_b32 exec_lo, exec_lo, s10
	v_and_b32_e32 v12, 0xffff0000, v12
	v_and_b32_e32 v41, 0xffff0000, v41
	s_delay_alu instid0(VALU_DEP_1) | instskip(NEXT) | instid1(VALU_DEP_1)
	v_add_f32_e32 v41, v41, v12
	v_and_b32_e32 v12, 0x7f800000, v41
	s_delay_alu instid0(VALU_DEP_1) | instskip(SKIP_1) | instid1(SALU_CYCLE_1)
	v_cmp_ne_u32_e32 vcc_lo, 0x7f800000, v12
                                        ; implicit-def: $vgpr12
	s_and_saveexec_b32 s10, vcc_lo
	s_xor_b32 s10, exec_lo, s10
; %bb.976:                              ;   in Loop: Header=BB4_852 Depth=2
	v_bfe_u32 v12, v41, 16, 1
	s_delay_alu instid0(VALU_DEP_1)
	v_add3_u32 v12, v41, v12, 0x7fff
                                        ; implicit-def: $vgpr41
; %bb.977:                              ;   in Loop: Header=BB4_852 Depth=2
	s_and_not1_saveexec_b32 s10, s10
; %bb.978:                              ;   in Loop: Header=BB4_852 Depth=2
	v_and_b32_e32 v12, 0xffff, v41
	v_or_b32_e32 v44, 0x10000, v41
	s_delay_alu instid0(VALU_DEP_2) | instskip(NEXT) | instid1(VALU_DEP_2)
	v_cmp_eq_u32_e32 vcc_lo, 0, v12
	v_cndmask_b32_e32 v12, v44, v41, vcc_lo
; %bb.979:                              ;   in Loop: Header=BB4_852 Depth=2
	s_or_b32 exec_lo, exec_lo, s10
	v_and_b32_e32 v41, 0xffff0000, v43
	v_lshlrev_b32_e32 v43, 16, v13
	s_delay_alu instid0(VALU_DEP_1) | instskip(NEXT) | instid1(VALU_DEP_1)
	v_add_f32_e32 v43, v41, v43
	v_and_b32_e32 v41, 0x7f800000, v43
	s_delay_alu instid0(VALU_DEP_1) | instskip(SKIP_1) | instid1(SALU_CYCLE_1)
	v_cmp_ne_u32_e32 vcc_lo, 0x7f800000, v41
                                        ; implicit-def: $vgpr41
	s_and_saveexec_b32 s10, vcc_lo
	s_xor_b32 s10, exec_lo, s10
; %bb.980:                              ;   in Loop: Header=BB4_852 Depth=2
	v_bfe_u32 v41, v43, 16, 1
	s_delay_alu instid0(VALU_DEP_1)
	v_add3_u32 v41, v43, v41, 0x7fff
                                        ; implicit-def: $vgpr43
; %bb.981:                              ;   in Loop: Header=BB4_852 Depth=2
	s_and_not1_saveexec_b32 s10, s10
; %bb.982:                              ;   in Loop: Header=BB4_852 Depth=2
	v_and_b32_e32 v41, 0xffff, v43
	v_or_b32_e32 v44, 0x10000, v43
	s_delay_alu instid0(VALU_DEP_2) | instskip(NEXT) | instid1(VALU_DEP_2)
	v_cmp_eq_u32_e32 vcc_lo, 0, v41
	v_cndmask_b32_e32 v41, v44, v43, vcc_lo
; %bb.983:                              ;   in Loop: Header=BB4_852 Depth=2
	s_or_b32 exec_lo, exec_lo, s10
	v_and_b32_e32 v13, 0xffff0000, v13
	v_and_b32_e32 v40, 0xffff0000, v40
	s_delay_alu instid0(VALU_DEP_1) | instskip(NEXT) | instid1(VALU_DEP_1)
	v_add_f32_e32 v40, v40, v13
	v_and_b32_e32 v13, 0x7f800000, v40
	s_delay_alu instid0(VALU_DEP_1) | instskip(SKIP_1) | instid1(SALU_CYCLE_1)
	v_cmp_ne_u32_e32 vcc_lo, 0x7f800000, v13
                                        ; implicit-def: $vgpr13
	s_and_saveexec_b32 s10, vcc_lo
	s_xor_b32 s10, exec_lo, s10
; %bb.984:                              ;   in Loop: Header=BB4_852 Depth=2
	v_bfe_u32 v13, v40, 16, 1
	s_delay_alu instid0(VALU_DEP_1)
	v_add3_u32 v13, v40, v13, 0x7fff
                                        ; implicit-def: $vgpr40
; %bb.985:                              ;   in Loop: Header=BB4_852 Depth=2
	s_and_not1_saveexec_b32 s10, s10
; %bb.986:                              ;   in Loop: Header=BB4_852 Depth=2
	v_and_b32_e32 v13, 0xffff, v40
	v_or_b32_e32 v43, 0x10000, v40
	s_delay_alu instid0(VALU_DEP_2) | instskip(NEXT) | instid1(VALU_DEP_2)
	v_cmp_eq_u32_e32 vcc_lo, 0, v13
	v_cndmask_b32_e32 v13, v43, v40, vcc_lo
; %bb.987:                              ;   in Loop: Header=BB4_852 Depth=2
	s_or_b32 exec_lo, exec_lo, s10
	v_dual_lshrrev_b32 v98, 16, v98 :: v_dual_lshrrev_b32 v119, 16, v119
	v_dual_lshrrev_b32 v99, 16, v99 :: v_dual_lshrrev_b32 v40, 16, v41
	v_sub_nc_u32_e32 v116, v116, v14
	s_delay_alu instid0(VALU_DEP_3) | instskip(NEXT) | instid1(VALU_DEP_4)
	v_and_or_b32 v11, 0xffff0000, v11, v98
	v_and_or_b32 v10, 0xffff0000, v10, v119
	s_delay_alu instid0(VALU_DEP_4)
	v_and_or_b32 v12, 0xffff0000, v12, v99
	v_and_or_b32 v13, 0xffff0000, v13, v40
	global_store_b128 v[84:85], v[10:13], off th:TH_STORE_NT
	s_wait_xcnt 0x0
	v_add_nc_u64_e32 v[84:85], 0x200, v[84:85]
	scratch_store_b128 off, v[10:13], s33 offset:96
	s_wait_xcnt 0x0
	s_and_saveexec_b32 s10, s42
	s_cbranch_execz .LBB4_851
; %bb.988:                              ;   in Loop: Header=BB4_852 Depth=2
	v_add_nc_u64_e32 v[86:87], v[86:87], v[18:19]
	v_add_nc_u64_e32 v[96:97], v[96:97], v[18:19]
	;; [unrolled: 1-line block ×3, first 2 shown]
	v_dual_sub_nc_u32 v117, v117, v101 :: v_dual_sub_nc_u32 v116, v116, v14
	s_branch .LBB4_851
.LBB4_989:                              ;   in Loop: Header=BB4_775 Depth=1
	v_dual_mov_b32 v10, v0 :: v_dual_mov_b32 v97, v100
	s_and_saveexec_b32 s11, s28
	s_cbranch_execnz .LBB4_1269
	s_branch .LBB4_1412
.LBB4_990:                              ;   in Loop: Header=BB4_775 Depth=1
	s_or_b32 exec_lo, exec_lo, s40
	s_delay_alu instid0(SALU_CYCLE_1)
	s_and_b32 s11, s41, exec_lo
.LBB4_991:                              ;   in Loop: Header=BB4_775 Depth=1
	s_or_b32 exec_lo, exec_lo, s29
	s_and_saveexec_b32 s10, s11
	s_cbranch_execz .LBB4_1057
; %bb.992:                              ;   in Loop: Header=BB4_775 Depth=1
	s_trap 2
	scratch_load_b128 v[10:13], off, s33 offset:128
	ds_load_b32 v86, v0
	s_wait_dscnt 0x0
	v_lshlrev_b32_e32 v96, 16, v86
	s_wait_loadcnt 0x0
	v_lshlrev_b32_e32 v86, 16, v10
	s_delay_alu instid0(VALU_DEP_1) | instskip(NEXT) | instid1(VALU_DEP_1)
	v_mul_f32_e32 v86, v96, v86
	v_and_b32_e32 v87, 0x7f800000, v86
	s_delay_alu instid0(VALU_DEP_1) | instskip(SKIP_2) | instid1(SALU_CYCLE_1)
	v_cmp_ne_u32_e32 vcc_lo, 0x7f800000, v87
                                        ; implicit-def: $vgpr87
	s_wait_xcnt 0x0
	s_and_saveexec_b32 s11, vcc_lo
	s_xor_b32 s11, exec_lo, s11
; %bb.993:                              ;   in Loop: Header=BB4_775 Depth=1
	v_bfe_u32 v87, v86, 16, 1
	s_delay_alu instid0(VALU_DEP_1)
	v_add3_u32 v87, v86, v87, 0x7fff
                                        ; implicit-def: $vgpr86
; %bb.994:                              ;   in Loop: Header=BB4_775 Depth=1
	s_and_not1_saveexec_b32 s11, s11
; %bb.995:                              ;   in Loop: Header=BB4_775 Depth=1
	v_and_b32_e32 v87, 0xffff, v86
	v_or_b32_e32 v97, 0x10000, v86
	s_delay_alu instid0(VALU_DEP_2) | instskip(NEXT) | instid1(VALU_DEP_2)
	v_cmp_eq_u32_e32 vcc_lo, 0, v87
	v_cndmask_b32_e32 v87, v97, v86, vcc_lo
; %bb.996:                              ;   in Loop: Header=BB4_775 Depth=1
	s_or_b32 exec_lo, exec_lo, s11
	v_and_b32_e32 v10, 0xffff0000, v10
	s_delay_alu instid0(VALU_DEP_1) | instskip(NEXT) | instid1(VALU_DEP_1)
	v_mul_f32_e32 v10, v96, v10
	v_and_b32_e32 v86, 0x7f800000, v10
	s_delay_alu instid0(VALU_DEP_1) | instskip(SKIP_1) | instid1(SALU_CYCLE_1)
	v_cmp_ne_u32_e32 vcc_lo, 0x7f800000, v86
                                        ; implicit-def: $vgpr86
	s_and_saveexec_b32 s11, vcc_lo
	s_xor_b32 s11, exec_lo, s11
; %bb.997:                              ;   in Loop: Header=BB4_775 Depth=1
	v_bfe_u32 v86, v10, 16, 1
	s_delay_alu instid0(VALU_DEP_1)
	v_add3_u32 v86, v10, v86, 0x7fff
                                        ; implicit-def: $vgpr10
; %bb.998:                              ;   in Loop: Header=BB4_775 Depth=1
	s_and_not1_saveexec_b32 s11, s11
; %bb.999:                              ;   in Loop: Header=BB4_775 Depth=1
	v_and_b32_e32 v86, 0xffff, v10
	v_or_b32_e32 v97, 0x10000, v10
	s_delay_alu instid0(VALU_DEP_2) | instskip(NEXT) | instid1(VALU_DEP_2)
	v_cmp_eq_u32_e32 vcc_lo, 0, v86
	v_cndmask_b32_e32 v86, v97, v10, vcc_lo
; %bb.1000:                             ;   in Loop: Header=BB4_775 Depth=1
	s_or_b32 exec_lo, exec_lo, s11
	v_lshlrev_b32_e32 v10, 16, v11
	s_mov_b32 s11, exec_lo
                                        ; implicit-def: $vgpr119
	s_delay_alu instid0(VALU_DEP_1) | instskip(NEXT) | instid1(VALU_DEP_1)
	v_mul_f32_e32 v10, v96, v10
	v_and_b32_e32 v97, 0x7f800000, v10
	s_delay_alu instid0(VALU_DEP_1)
	v_cmpx_ne_u32_e32 0x7f800000, v97
	s_xor_b32 s11, exec_lo, s11
; %bb.1001:                             ;   in Loop: Header=BB4_775 Depth=1
	v_bfe_u32 v97, v10, 16, 1
	s_delay_alu instid0(VALU_DEP_1)
	v_add3_u32 v119, v10, v97, 0x7fff
                                        ; implicit-def: $vgpr10
; %bb.1002:                             ;   in Loop: Header=BB4_775 Depth=1
	s_and_not1_saveexec_b32 s11, s11
; %bb.1003:                             ;   in Loop: Header=BB4_775 Depth=1
	v_and_b32_e32 v97, 0xffff, v10
	v_or_b32_e32 v98, 0x10000, v10
	s_delay_alu instid0(VALU_DEP_2) | instskip(NEXT) | instid1(VALU_DEP_2)
	v_cmp_eq_u32_e32 vcc_lo, 0, v97
	v_cndmask_b32_e32 v119, v98, v10, vcc_lo
; %bb.1004:                             ;   in Loop: Header=BB4_775 Depth=1
	s_or_b32 exec_lo, exec_lo, s11
	v_and_b32_e32 v10, 0xffff0000, v11
	s_mov_b32 s11, exec_lo
                                        ; implicit-def: $vgpr117
	s_delay_alu instid0(VALU_DEP_1) | instskip(NEXT) | instid1(VALU_DEP_1)
	v_mul_f32_e32 v10, v96, v10
	v_and_b32_e32 v11, 0x7f800000, v10
	s_delay_alu instid0(VALU_DEP_1)
	v_cmpx_ne_u32_e32 0x7f800000, v11
	s_xor_b32 s11, exec_lo, s11
; %bb.1005:                             ;   in Loop: Header=BB4_775 Depth=1
	v_bfe_u32 v11, v10, 16, 1
	s_delay_alu instid0(VALU_DEP_1)
	v_add3_u32 v117, v10, v11, 0x7fff
                                        ; implicit-def: $vgpr10
; %bb.1006:                             ;   in Loop: Header=BB4_775 Depth=1
	s_and_not1_saveexec_b32 s11, s11
; %bb.1007:                             ;   in Loop: Header=BB4_775 Depth=1
	v_and_b32_e32 v11, 0xffff, v10
	v_or_b32_e32 v97, 0x10000, v10
	s_delay_alu instid0(VALU_DEP_2) | instskip(NEXT) | instid1(VALU_DEP_2)
	v_cmp_eq_u32_e32 vcc_lo, 0, v11
	v_cndmask_b32_e32 v117, v97, v10, vcc_lo
; %bb.1008:                             ;   in Loop: Header=BB4_775 Depth=1
	s_or_b32 exec_lo, exec_lo, s11
	v_lshlrev_b32_e32 v10, 16, v12
	s_mov_b32 s11, exec_lo
                                        ; implicit-def: $vgpr118
	s_delay_alu instid0(VALU_DEP_1) | instskip(NEXT) | instid1(VALU_DEP_1)
	v_mul_f32_e32 v10, v96, v10
	v_and_b32_e32 v11, 0x7f800000, v10
	s_delay_alu instid0(VALU_DEP_1)
	v_cmpx_ne_u32_e32 0x7f800000, v11
	s_xor_b32 s11, exec_lo, s11
; %bb.1009:                             ;   in Loop: Header=BB4_775 Depth=1
	v_bfe_u32 v11, v10, 16, 1
	s_delay_alu instid0(VALU_DEP_1)
	v_add3_u32 v118, v10, v11, 0x7fff
                                        ; implicit-def: $vgpr10
; %bb.1010:                             ;   in Loop: Header=BB4_775 Depth=1
	s_and_not1_saveexec_b32 s11, s11
; %bb.1011:                             ;   in Loop: Header=BB4_775 Depth=1
	v_and_b32_e32 v11, 0xffff, v10
	v_or_b32_e32 v97, 0x10000, v10
	s_delay_alu instid0(VALU_DEP_2) | instskip(NEXT) | instid1(VALU_DEP_2)
	v_cmp_eq_u32_e32 vcc_lo, 0, v11
	v_cndmask_b32_e32 v118, v97, v10, vcc_lo
; %bb.1012:                             ;   in Loop: Header=BB4_775 Depth=1
	s_or_b32 exec_lo, exec_lo, s11
	v_and_b32_e32 v10, 0xffff0000, v12
	s_mov_b32 s11, exec_lo
                                        ; implicit-def: $vgpr98
	s_delay_alu instid0(VALU_DEP_1) | instskip(NEXT) | instid1(VALU_DEP_1)
	v_mul_f32_e32 v10, v96, v10
	v_and_b32_e32 v11, 0x7f800000, v10
	s_delay_alu instid0(VALU_DEP_1)
	v_cmpx_ne_u32_e32 0x7f800000, v11
	s_xor_b32 s11, exec_lo, s11
; %bb.1013:                             ;   in Loop: Header=BB4_775 Depth=1
	v_bfe_u32 v11, v10, 16, 1
	s_delay_alu instid0(VALU_DEP_1)
	v_add3_u32 v98, v10, v11, 0x7fff
                                        ; implicit-def: $vgpr10
; %bb.1014:                             ;   in Loop: Header=BB4_775 Depth=1
	s_and_not1_saveexec_b32 s11, s11
; %bb.1015:                             ;   in Loop: Header=BB4_775 Depth=1
	v_and_b32_e32 v11, 0xffff, v10
	v_or_b32_e32 v12, 0x10000, v10
	s_delay_alu instid0(VALU_DEP_2) | instskip(NEXT) | instid1(VALU_DEP_2)
	v_cmp_eq_u32_e32 vcc_lo, 0, v11
	v_cndmask_b32_e32 v98, v12, v10, vcc_lo
; %bb.1016:                             ;   in Loop: Header=BB4_775 Depth=1
	s_or_b32 exec_lo, exec_lo, s11
	v_lshlrev_b32_e32 v10, 16, v13
	s_mov_b32 s11, exec_lo
                                        ; implicit-def: $vgpr99
	s_delay_alu instid0(VALU_DEP_1) | instskip(NEXT) | instid1(VALU_DEP_1)
	v_mul_f32_e32 v10, v96, v10
	v_and_b32_e32 v11, 0x7f800000, v10
	s_delay_alu instid0(VALU_DEP_1)
	v_cmpx_ne_u32_e32 0x7f800000, v11
	s_xor_b32 s11, exec_lo, s11
; %bb.1017:                             ;   in Loop: Header=BB4_775 Depth=1
	v_bfe_u32 v11, v10, 16, 1
	s_delay_alu instid0(VALU_DEP_1)
	v_add3_u32 v99, v10, v11, 0x7fff
                                        ; implicit-def: $vgpr10
; %bb.1018:                             ;   in Loop: Header=BB4_775 Depth=1
	s_and_not1_saveexec_b32 s11, s11
; %bb.1019:                             ;   in Loop: Header=BB4_775 Depth=1
	v_and_b32_e32 v11, 0xffff, v10
	v_or_b32_e32 v12, 0x10000, v10
	s_delay_alu instid0(VALU_DEP_2) | instskip(NEXT) | instid1(VALU_DEP_2)
	v_cmp_eq_u32_e32 vcc_lo, 0, v11
	v_cndmask_b32_e32 v99, v12, v10, vcc_lo
; %bb.1020:                             ;   in Loop: Header=BB4_775 Depth=1
	s_or_b32 exec_lo, exec_lo, s11
	v_and_b32_e32 v10, 0xffff0000, v13
	s_mov_b32 s11, exec_lo
	s_delay_alu instid0(VALU_DEP_1) | instskip(NEXT) | instid1(VALU_DEP_1)
	v_mul_f32_e32 v10, v96, v10
                                        ; implicit-def: $vgpr96
	v_and_b32_e32 v11, 0x7f800000, v10
	s_delay_alu instid0(VALU_DEP_1)
	v_cmpx_ne_u32_e32 0x7f800000, v11
	s_xor_b32 s11, exec_lo, s11
; %bb.1021:                             ;   in Loop: Header=BB4_775 Depth=1
	v_bfe_u32 v11, v10, 16, 1
	s_delay_alu instid0(VALU_DEP_1)
	v_add3_u32 v96, v10, v11, 0x7fff
                                        ; implicit-def: $vgpr10
; %bb.1022:                             ;   in Loop: Header=BB4_775 Depth=1
	s_and_not1_saveexec_b32 s11, s11
; %bb.1023:                             ;   in Loop: Header=BB4_775 Depth=1
	v_and_b32_e32 v11, 0xffff, v10
	v_or_b32_e32 v12, 0x10000, v10
	s_delay_alu instid0(VALU_DEP_2) | instskip(NEXT) | instid1(VALU_DEP_2)
	v_cmp_eq_u32_e32 vcc_lo, 0, v11
	v_cndmask_b32_e32 v96, v12, v10, vcc_lo
; %bb.1024:                             ;   in Loop: Header=BB4_775 Depth=1
	s_or_b32 exec_lo, exec_lo, s11
	scratch_load_b128 v[10:13], off, s33 offset:144
	v_and_b32_e32 v87, 0xffff0000, v87
	s_wait_loadcnt 0x0
	v_lshlrev_b32_e32 v97, 16, v10
	s_delay_alu instid0(VALU_DEP_1) | instskip(NEXT) | instid1(VALU_DEP_1)
	v_add_f32_e32 v87, v87, v97
	v_and_b32_e32 v97, 0x7f800000, v87
	s_delay_alu instid0(VALU_DEP_1) | instskip(SKIP_2) | instid1(SALU_CYCLE_1)
	v_cmp_ne_u32_e32 vcc_lo, 0x7f800000, v97
                                        ; implicit-def: $vgpr97
	s_wait_xcnt 0x0
	s_and_saveexec_b32 s11, vcc_lo
	s_xor_b32 s11, exec_lo, s11
; %bb.1025:                             ;   in Loop: Header=BB4_775 Depth=1
	v_bfe_u32 v97, v87, 16, 1
	s_delay_alu instid0(VALU_DEP_1)
	v_add3_u32 v97, v87, v97, 0x7fff
                                        ; implicit-def: $vgpr87
; %bb.1026:                             ;   in Loop: Header=BB4_775 Depth=1
	s_and_not1_saveexec_b32 s11, s11
; %bb.1027:                             ;   in Loop: Header=BB4_775 Depth=1
	v_and_b32_e32 v97, 0xffff, v87
	v_or_b32_e32 v40, 0x10000, v87
	s_delay_alu instid0(VALU_DEP_2) | instskip(NEXT) | instid1(VALU_DEP_2)
	v_cmp_eq_u32_e32 vcc_lo, 0, v97
	v_cndmask_b32_e32 v97, v40, v87, vcc_lo
; %bb.1028:                             ;   in Loop: Header=BB4_775 Depth=1
	s_or_b32 exec_lo, exec_lo, s11
	v_and_b32_e32 v87, 0xffff0000, v10
	v_and_b32_e32 v86, 0xffff0000, v86
	s_delay_alu instid0(VALU_DEP_2) | instskip(NEXT) | instid1(VALU_DEP_1)
	v_mov_b32_e32 v10, v87
	v_pk_add_f32 v[86:87], v[10:11], v[86:87]
	s_delay_alu instid0(VALU_DEP_1) | instskip(NEXT) | instid1(VALU_DEP_1)
	v_and_b32_e32 v10, 0x7f800000, v86
	v_cmp_ne_u32_e32 vcc_lo, 0x7f800000, v10
                                        ; implicit-def: $vgpr10
	s_and_saveexec_b32 s11, vcc_lo
	s_delay_alu instid0(SALU_CYCLE_1)
	s_xor_b32 s11, exec_lo, s11
; %bb.1029:                             ;   in Loop: Header=BB4_775 Depth=1
	v_bfe_u32 v10, v86, 16, 1
	s_delay_alu instid0(VALU_DEP_1)
	v_add3_u32 v10, v86, v10, 0x7fff
                                        ; implicit-def: $vgpr86_vgpr87
; %bb.1030:                             ;   in Loop: Header=BB4_775 Depth=1
	s_and_not1_saveexec_b32 s11, s11
; %bb.1031:                             ;   in Loop: Header=BB4_775 Depth=1
	v_and_b32_e32 v10, 0xffff, v86
	v_or_b32_e32 v87, 0x10000, v86
	s_delay_alu instid0(VALU_DEP_2) | instskip(NEXT) | instid1(VALU_DEP_2)
	v_cmp_eq_u32_e32 vcc_lo, 0, v10
	v_cndmask_b32_e32 v10, v87, v86, vcc_lo
; %bb.1032:                             ;   in Loop: Header=BB4_775 Depth=1
	s_or_b32 exec_lo, exec_lo, s11
	v_and_b32_e32 v86, 0xffff0000, v119
	v_lshlrev_b32_e32 v87, 16, v11
	s_delay_alu instid0(VALU_DEP_1) | instskip(NEXT) | instid1(VALU_DEP_1)
	v_add_f32_e32 v87, v86, v87
	v_and_b32_e32 v86, 0x7f800000, v87
	s_delay_alu instid0(VALU_DEP_1) | instskip(SKIP_1) | instid1(SALU_CYCLE_1)
	v_cmp_ne_u32_e32 vcc_lo, 0x7f800000, v86
                                        ; implicit-def: $vgpr86
	s_and_saveexec_b32 s11, vcc_lo
	s_xor_b32 s11, exec_lo, s11
; %bb.1033:                             ;   in Loop: Header=BB4_775 Depth=1
	v_bfe_u32 v86, v87, 16, 1
	s_delay_alu instid0(VALU_DEP_1)
	v_add3_u32 v86, v87, v86, 0x7fff
                                        ; implicit-def: $vgpr87
; %bb.1034:                             ;   in Loop: Header=BB4_775 Depth=1
	s_and_not1_saveexec_b32 s11, s11
; %bb.1035:                             ;   in Loop: Header=BB4_775 Depth=1
	v_and_b32_e32 v86, 0xffff, v87
	v_or_b32_e32 v119, 0x10000, v87
	s_delay_alu instid0(VALU_DEP_2) | instskip(NEXT) | instid1(VALU_DEP_2)
	v_cmp_eq_u32_e32 vcc_lo, 0, v86
	v_cndmask_b32_e32 v86, v119, v87, vcc_lo
; %bb.1036:                             ;   in Loop: Header=BB4_775 Depth=1
	s_or_b32 exec_lo, exec_lo, s11
	v_and_b32_e32 v11, 0xffff0000, v11
	v_and_b32_e32 v87, 0xffff0000, v117
	s_delay_alu instid0(VALU_DEP_1) | instskip(NEXT) | instid1(VALU_DEP_1)
	v_add_f32_e32 v87, v87, v11
	v_and_b32_e32 v11, 0x7f800000, v87
	s_delay_alu instid0(VALU_DEP_1) | instskip(SKIP_1) | instid1(SALU_CYCLE_1)
	v_cmp_ne_u32_e32 vcc_lo, 0x7f800000, v11
                                        ; implicit-def: $vgpr11
	s_and_saveexec_b32 s11, vcc_lo
	s_xor_b32 s11, exec_lo, s11
; %bb.1037:                             ;   in Loop: Header=BB4_775 Depth=1
	v_bfe_u32 v11, v87, 16, 1
	s_delay_alu instid0(VALU_DEP_1)
	v_add3_u32 v11, v87, v11, 0x7fff
                                        ; implicit-def: $vgpr87
; %bb.1038:                             ;   in Loop: Header=BB4_775 Depth=1
	s_and_not1_saveexec_b32 s11, s11
; %bb.1039:                             ;   in Loop: Header=BB4_775 Depth=1
	v_and_b32_e32 v11, 0xffff, v87
	v_or_b32_e32 v117, 0x10000, v87
	s_delay_alu instid0(VALU_DEP_2) | instskip(NEXT) | instid1(VALU_DEP_2)
	v_cmp_eq_u32_e32 vcc_lo, 0, v11
	v_cndmask_b32_e32 v11, v117, v87, vcc_lo
; %bb.1040:                             ;   in Loop: Header=BB4_775 Depth=1
	s_or_b32 exec_lo, exec_lo, s11
	v_and_b32_e32 v87, 0xffff0000, v118
	v_lshlrev_b32_e32 v117, 16, v12
	s_delay_alu instid0(VALU_DEP_1) | instskip(NEXT) | instid1(VALU_DEP_1)
	v_add_f32_e32 v117, v87, v117
	v_and_b32_e32 v87, 0x7f800000, v117
	s_delay_alu instid0(VALU_DEP_1) | instskip(SKIP_1) | instid1(SALU_CYCLE_1)
	v_cmp_ne_u32_e32 vcc_lo, 0x7f800000, v87
                                        ; implicit-def: $vgpr87
	s_and_saveexec_b32 s11, vcc_lo
	s_xor_b32 s11, exec_lo, s11
; %bb.1041:                             ;   in Loop: Header=BB4_775 Depth=1
	v_bfe_u32 v87, v117, 16, 1
	s_delay_alu instid0(VALU_DEP_1)
	v_add3_u32 v87, v117, v87, 0x7fff
                                        ; implicit-def: $vgpr117
; %bb.1042:                             ;   in Loop: Header=BB4_775 Depth=1
	s_and_not1_saveexec_b32 s11, s11
; %bb.1043:                             ;   in Loop: Header=BB4_775 Depth=1
	v_and_b32_e32 v87, 0xffff, v117
	v_or_b32_e32 v118, 0x10000, v117
	s_delay_alu instid0(VALU_DEP_2) | instskip(NEXT) | instid1(VALU_DEP_2)
	v_cmp_eq_u32_e32 vcc_lo, 0, v87
	v_cndmask_b32_e32 v87, v118, v117, vcc_lo
; %bb.1044:                             ;   in Loop: Header=BB4_775 Depth=1
	s_or_b32 exec_lo, exec_lo, s11
	v_and_b32_e32 v12, 0xffff0000, v12
	v_and_b32_e32 v98, 0xffff0000, v98
	s_delay_alu instid0(VALU_DEP_1) | instskip(NEXT) | instid1(VALU_DEP_1)
	v_add_f32_e32 v98, v98, v12
	v_and_b32_e32 v12, 0x7f800000, v98
	s_delay_alu instid0(VALU_DEP_1) | instskip(SKIP_1) | instid1(SALU_CYCLE_1)
	v_cmp_ne_u32_e32 vcc_lo, 0x7f800000, v12
                                        ; implicit-def: $vgpr12
	s_and_saveexec_b32 s11, vcc_lo
	s_xor_b32 s11, exec_lo, s11
; %bb.1045:                             ;   in Loop: Header=BB4_775 Depth=1
	v_bfe_u32 v12, v98, 16, 1
	s_delay_alu instid0(VALU_DEP_1)
	v_add3_u32 v12, v98, v12, 0x7fff
                                        ; implicit-def: $vgpr98
; %bb.1046:                             ;   in Loop: Header=BB4_775 Depth=1
	s_and_not1_saveexec_b32 s11, s11
; %bb.1047:                             ;   in Loop: Header=BB4_775 Depth=1
	v_and_b32_e32 v12, 0xffff, v98
	v_or_b32_e32 v117, 0x10000, v98
	s_delay_alu instid0(VALU_DEP_2) | instskip(NEXT) | instid1(VALU_DEP_2)
	v_cmp_eq_u32_e32 vcc_lo, 0, v12
	v_cndmask_b32_e32 v12, v117, v98, vcc_lo
; %bb.1048:                             ;   in Loop: Header=BB4_775 Depth=1
	s_or_b32 exec_lo, exec_lo, s11
	v_and_b32_e32 v98, 0xffff0000, v99
	v_lshlrev_b32_e32 v99, 16, v13
	s_delay_alu instid0(VALU_DEP_1) | instskip(NEXT) | instid1(VALU_DEP_1)
	v_add_f32_e32 v99, v98, v99
	v_and_b32_e32 v98, 0x7f800000, v99
	s_delay_alu instid0(VALU_DEP_1) | instskip(SKIP_1) | instid1(SALU_CYCLE_1)
	v_cmp_ne_u32_e32 vcc_lo, 0x7f800000, v98
                                        ; implicit-def: $vgpr98
	s_and_saveexec_b32 s11, vcc_lo
	s_xor_b32 s11, exec_lo, s11
; %bb.1049:                             ;   in Loop: Header=BB4_775 Depth=1
	v_bfe_u32 v98, v99, 16, 1
	s_delay_alu instid0(VALU_DEP_1)
	v_add3_u32 v98, v99, v98, 0x7fff
                                        ; implicit-def: $vgpr99
; %bb.1050:                             ;   in Loop: Header=BB4_775 Depth=1
	s_and_not1_saveexec_b32 s11, s11
; %bb.1051:                             ;   in Loop: Header=BB4_775 Depth=1
	v_and_b32_e32 v98, 0xffff, v99
	v_or_b32_e32 v117, 0x10000, v99
	s_delay_alu instid0(VALU_DEP_2) | instskip(NEXT) | instid1(VALU_DEP_2)
	v_cmp_eq_u32_e32 vcc_lo, 0, v98
	v_cndmask_b32_e32 v98, v117, v99, vcc_lo
; %bb.1052:                             ;   in Loop: Header=BB4_775 Depth=1
	s_or_b32 exec_lo, exec_lo, s11
	v_and_b32_e32 v13, 0xffff0000, v13
	v_and_b32_e32 v96, 0xffff0000, v96
	s_delay_alu instid0(VALU_DEP_1) | instskip(NEXT) | instid1(VALU_DEP_1)
	v_add_f32_e32 v96, v96, v13
	v_and_b32_e32 v13, 0x7f800000, v96
	s_delay_alu instid0(VALU_DEP_1) | instskip(SKIP_1) | instid1(SALU_CYCLE_1)
	v_cmp_ne_u32_e32 vcc_lo, 0x7f800000, v13
                                        ; implicit-def: $vgpr13
	s_and_saveexec_b32 s11, vcc_lo
	s_xor_b32 s11, exec_lo, s11
; %bb.1053:                             ;   in Loop: Header=BB4_775 Depth=1
	v_bfe_u32 v13, v96, 16, 1
	s_delay_alu instid0(VALU_DEP_1)
	v_add3_u32 v13, v96, v13, 0x7fff
                                        ; implicit-def: $vgpr96
; %bb.1054:                             ;   in Loop: Header=BB4_775 Depth=1
	s_and_not1_saveexec_b32 s11, s11
; %bb.1055:                             ;   in Loop: Header=BB4_775 Depth=1
	v_and_b32_e32 v13, 0xffff, v96
	v_or_b32_e32 v99, 0x10000, v96
	s_delay_alu instid0(VALU_DEP_2) | instskip(NEXT) | instid1(VALU_DEP_2)
	v_cmp_eq_u32_e32 vcc_lo, 0, v13
	v_cndmask_b32_e32 v13, v99, v96, vcc_lo
; %bb.1056:                             ;   in Loop: Header=BB4_775 Depth=1
	s_or_b32 exec_lo, exec_lo, s11
	v_dual_lshrrev_b32 v86, 16, v86 :: v_dual_lshrrev_b32 v96, 16, v97
	v_dual_lshrrev_b32 v87, 16, v87 :: v_dual_lshrrev_b32 v97, 16, v98
	s_delay_alu instid0(VALU_DEP_2) | instskip(NEXT) | instid1(VALU_DEP_3)
	v_and_or_b32 v11, 0xffff0000, v11, v86
	v_and_or_b32 v10, 0xffff0000, v10, v96
	s_delay_alu instid0(VALU_DEP_3) | instskip(NEXT) | instid1(VALU_DEP_4)
	v_and_or_b32 v12, 0xffff0000, v12, v87
	v_and_or_b32 v13, 0xffff0000, v13, v97
	global_store_b128 v[84:85], v[10:13], off th:TH_STORE_NT
.LBB4_1057:                             ;   in Loop: Header=BB4_775 Depth=1
	s_wait_xcnt 0x0
	s_or_b32 exec_lo, exec_lo, s10
	v_and_b32_e32 v11, 14, v113
	s_mov_b32 s29, exec_lo
                                        ; implicit-def: $vgpr113
                                        ; implicit-def: $vgpr96
                                        ; implicit-def: $vgpr10
                                        ; implicit-def: $vgpr97
	s_delay_alu instid0(VALU_DEP_1) | instskip(NEXT) | instid1(VALU_DEP_1)
	v_cndmask_b32_e64 v98, v115, v11, s7
	v_cmpx_ne_u32_e32 0, v98
	s_cbranch_execz .LBB4_1268
; %bb.1058:                             ;   in Loop: Header=BB4_775 Depth=1
	v_cmp_lt_i32_e32 vcc_lo, 0, v116
	s_mov_b32 s11, 0
	s_mov_b32 s40, exec_lo
	v_dual_ashrrev_i32 v84, 31, v98 :: v_dual_sub_nc_u32 v11, v115, v11
	s_delay_alu instid0(VALU_DEP_1) | instskip(NEXT) | instid1(VALU_DEP_1)
	v_dual_cndmask_b32 v10, 0, v14, vcc_lo :: v_dual_cndmask_b32 v11, 0, v11, s7
	v_dual_sub_nc_u32 v10, v10, v116 :: v_dual_add_nc_u32 v99, v11, v114
	s_delay_alu instid0(VALU_DEP_1) | instskip(NEXT) | instid1(VALU_DEP_1)
	v_lshl_or_b32 v10, v10, 5, v100
	v_ashrrev_i32_e32 v12, 31, v10
	s_delay_alu instid0(VALU_DEP_1) | instskip(NEXT) | instid1(VALU_DEP_1)
	v_lshrrev_b32_e32 v12, 27, v12
	v_add_nc_u32_e32 v12, v10, v12
	s_delay_alu instid0(VALU_DEP_1) | instskip(NEXT) | instid1(VALU_DEP_1)
	v_and_b32_e32 v13, 0xffffffe0, v12
	v_dual_sub_nc_u32 v115, v10, v13 :: v_dual_lshrrev_b32 v10, 23, v84
	s_delay_alu instid0(VALU_DEP_1) | instskip(NEXT) | instid1(VALU_DEP_1)
	v_dual_ashrrev_i32 v12, 5, v12 :: v_dual_lshlrev_b32 v13, 4, v115
	v_lshl_add_u32 v13, v12, 9, v13
	s_delay_alu instid0(VALU_DEP_1) | instskip(NEXT) | instid1(VALU_DEP_1)
	v_dual_add_nc_u32 v84, v98, v10 :: v_dual_add_nc_u32 v10, v13, v99
	v_and_b32_e32 v114, 0xfffffe00, v84
	v_dual_ashrrev_i32 v84, 9, v84 :: v_dual_sub_nc_u32 v113, v98, v13
	s_delay_alu instid0(VALU_DEP_3) | instskip(NEXT) | instid1(VALU_DEP_3)
	v_ashrrev_i32_e32 v11, 31, v10
	v_sub_nc_u32_e32 v116, v98, v114
	s_delay_alu instid0(VALU_DEP_1) | instskip(NEXT) | instid1(VALU_DEP_1)
	v_cmp_lt_i32_e64 s7, 15, v116
	v_add_co_ci_u32_e64 v86, null, 0, v84, s7
	s_delay_alu instid0(VALU_DEP_4) | instskip(NEXT) | instid1(VALU_DEP_2)
	v_add_nc_u64_e32 v[84:85], v[10:11], v[80:81]
	v_sub_nc_u32_e32 v117, v86, v12
	v_cmpx_lt_i32_e32 15, v113
	s_cbranch_execz .LBB4_1199
; %bb.1059:                             ;   in Loop: Header=BB4_775 Depth=1
	s_trap 2
	ds_load_b32 v12, v0
	v_add_nc_u64_e32 v[86:87], v[10:11], v[70:71]
	s_wait_dscnt 0x1
	v_add_nc_u64_e32 v[82:83], v[10:11], v[82:83]
	s_mov_b32 s43, 0
	s_mov_b32 s41, 0
                                        ; implicit-def: $sgpr42
	s_wait_dscnt 0x0
	v_lshlrev_b32_e32 v118, 16, v12
	s_branch .LBB4_1061
.LBB4_1060:                             ;   in Loop: Header=BB4_1061 Depth=2
	s_or_b32 exec_lo, exec_lo, s10
	s_delay_alu instid0(VALU_DEP_2) | instskip(SKIP_3) | instid1(SALU_CYCLE_1)
	v_cmp_gt_i32_e32 vcc_lo, 16, v113
	s_or_b32 s41, vcc_lo, s41
	s_and_not1_b32 s10, s42, exec_lo
	s_and_b32 s11, s43, exec_lo
	s_or_b32 s42, s10, s11
	s_and_not1_b32 exec_lo, exec_lo, s41
	s_cbranch_execz .LBB4_1198
.LBB4_1061:                             ;   Parent Loop BB4_775 Depth=1
                                        ; =>  This Loop Header: Depth=2
                                        ;       Child Loop BB4_1062 Depth 3
                                        ;       Child Loop BB4_1131 Depth 3
	s_add_co_i32 s10, s33, 0x60
	s_mov_b64 s[12:13], 0
	s_mov_b32 s44, s10
	s_mov_b32 s45, -1
.LBB4_1062:                             ;   Parent Loop BB4_775 Depth=1
                                        ;     Parent Loop BB4_1061 Depth=2
                                        ; =>    This Inner Loop Header: Depth=3
	s_cmp_eq_u32 s12, 1
	s_cselect_b32 vcc_lo, -1, 0
	s_cmp_eq_u32 s12, 0
	v_dual_cndmask_b32 v97, v87, v83 :: v_dual_cndmask_b32 v96, v86, v82
	s_cselect_b32 s10, -1, 0
	s_and_b32 s11, exec_lo, s45
	s_mov_b64 s[12:13], 1
	s_mov_b32 s45, 0
	global_load_b128 v[10:13], v[96:97], off th:TH_LOAD_NT
	s_wait_xcnt 0x0
	v_add_nc_u64_e32 v[96:97], 0x200, v[96:97]
	s_delay_alu instid0(VALU_DEP_1)
	v_dual_cndmask_b32 v87, v87, v97, s10 :: v_dual_cndmask_b32 v86, v86, v96, s10
	v_dual_cndmask_b32 v83, v83, v97 :: v_dual_cndmask_b32 v82, v82, v96
	s_mov_b32 vcc_lo, s11
	s_wait_loadcnt 0x0
	scratch_store_b128 off, v[10:13], s44
	s_wait_xcnt 0x0
	s_mov_b32 s44, s24
	s_cbranch_vccnz .LBB4_1062
; %bb.1063:                             ;   in Loop: Header=BB4_1061 Depth=2
	s_and_saveexec_b32 s10, s43
	s_cbranch_execz .LBB4_1129
; %bb.1064:                             ;   in Loop: Header=BB4_1061 Depth=2
	scratch_load_b128 v[10:13], off, s33 offset:128
	s_wait_loadcnt 0x0
	v_lshlrev_b32_e32 v96, 16, v10
	s_delay_alu instid0(VALU_DEP_1) | instskip(NEXT) | instid1(VALU_DEP_1)
	v_mul_f32_e32 v96, v118, v96
	v_and_b32_e32 v97, 0x7f800000, v96
	s_delay_alu instid0(VALU_DEP_1) | instskip(SKIP_2) | instid1(SALU_CYCLE_1)
	v_cmp_ne_u32_e32 vcc_lo, 0x7f800000, v97
                                        ; implicit-def: $vgpr97
	s_wait_xcnt 0x0
	s_and_saveexec_b32 s11, vcc_lo
	s_xor_b32 s11, exec_lo, s11
; %bb.1065:                             ;   in Loop: Header=BB4_1061 Depth=2
	v_bfe_u32 v97, v96, 16, 1
	s_delay_alu instid0(VALU_DEP_1)
	v_add3_u32 v97, v96, v97, 0x7fff
                                        ; implicit-def: $vgpr96
; %bb.1066:                             ;   in Loop: Header=BB4_1061 Depth=2
	s_and_not1_saveexec_b32 s11, s11
; %bb.1067:                             ;   in Loop: Header=BB4_1061 Depth=2
	v_and_b32_e32 v97, 0xffff, v96
	v_or_b32_e32 v119, 0x10000, v96
	s_delay_alu instid0(VALU_DEP_2) | instskip(NEXT) | instid1(VALU_DEP_2)
	v_cmp_eq_u32_e32 vcc_lo, 0, v97
	v_cndmask_b32_e32 v97, v119, v96, vcc_lo
; %bb.1068:                             ;   in Loop: Header=BB4_1061 Depth=2
	s_or_b32 exec_lo, exec_lo, s11
	v_and_b32_e32 v10, 0xffff0000, v10
	s_delay_alu instid0(VALU_DEP_1) | instskip(NEXT) | instid1(VALU_DEP_1)
	v_mul_f32_e32 v10, v118, v10
	v_and_b32_e32 v96, 0x7f800000, v10
	s_delay_alu instid0(VALU_DEP_1) | instskip(SKIP_1) | instid1(SALU_CYCLE_1)
	v_cmp_ne_u32_e32 vcc_lo, 0x7f800000, v96
                                        ; implicit-def: $vgpr96
	s_and_saveexec_b32 s11, vcc_lo
	s_xor_b32 s11, exec_lo, s11
; %bb.1069:                             ;   in Loop: Header=BB4_1061 Depth=2
	v_bfe_u32 v96, v10, 16, 1
	s_delay_alu instid0(VALU_DEP_1)
	v_add3_u32 v96, v10, v96, 0x7fff
                                        ; implicit-def: $vgpr10
; %bb.1070:                             ;   in Loop: Header=BB4_1061 Depth=2
	s_and_not1_saveexec_b32 s11, s11
; %bb.1071:                             ;   in Loop: Header=BB4_1061 Depth=2
	v_and_b32_e32 v96, 0xffff, v10
	v_or_b32_e32 v119, 0x10000, v10
	s_delay_alu instid0(VALU_DEP_2) | instskip(NEXT) | instid1(VALU_DEP_2)
	v_cmp_eq_u32_e32 vcc_lo, 0, v96
	v_cndmask_b32_e32 v96, v119, v10, vcc_lo
; %bb.1072:                             ;   in Loop: Header=BB4_1061 Depth=2
	s_or_b32 exec_lo, exec_lo, s11
	v_lshlrev_b32_e32 v10, 16, v11
	s_mov_b32 s11, exec_lo
                                        ; implicit-def: $vgpr46
	s_delay_alu instid0(VALU_DEP_1) | instskip(NEXT) | instid1(VALU_DEP_1)
	v_mul_f32_e32 v10, v118, v10
	v_and_b32_e32 v119, 0x7f800000, v10
	s_delay_alu instid0(VALU_DEP_1)
	v_cmpx_ne_u32_e32 0x7f800000, v119
	s_xor_b32 s11, exec_lo, s11
; %bb.1073:                             ;   in Loop: Header=BB4_1061 Depth=2
	v_bfe_u32 v119, v10, 16, 1
	s_delay_alu instid0(VALU_DEP_1)
	v_add3_u32 v46, v10, v119, 0x7fff
                                        ; implicit-def: $vgpr10
; %bb.1074:                             ;   in Loop: Header=BB4_1061 Depth=2
	s_and_not1_saveexec_b32 s11, s11
; %bb.1075:                             ;   in Loop: Header=BB4_1061 Depth=2
	v_and_b32_e32 v119, 0xffff, v10
	v_or_b32_e32 v40, 0x10000, v10
	s_delay_alu instid0(VALU_DEP_2) | instskip(NEXT) | instid1(VALU_DEP_2)
	v_cmp_eq_u32_e32 vcc_lo, 0, v119
	v_cndmask_b32_e32 v46, v40, v10, vcc_lo
; %bb.1076:                             ;   in Loop: Header=BB4_1061 Depth=2
	s_or_b32 exec_lo, exec_lo, s11
	v_and_b32_e32 v10, 0xffff0000, v11
	s_mov_b32 s11, exec_lo
                                        ; implicit-def: $vgpr44
	s_delay_alu instid0(VALU_DEP_1) | instskip(NEXT) | instid1(VALU_DEP_1)
	v_mul_f32_e32 v10, v118, v10
	v_and_b32_e32 v11, 0x7f800000, v10
	s_delay_alu instid0(VALU_DEP_1)
	v_cmpx_ne_u32_e32 0x7f800000, v11
	s_xor_b32 s11, exec_lo, s11
; %bb.1077:                             ;   in Loop: Header=BB4_1061 Depth=2
	v_bfe_u32 v11, v10, 16, 1
	s_delay_alu instid0(VALU_DEP_1)
	v_add3_u32 v44, v10, v11, 0x7fff
                                        ; implicit-def: $vgpr10
; %bb.1078:                             ;   in Loop: Header=BB4_1061 Depth=2
	s_and_not1_saveexec_b32 s11, s11
; %bb.1079:                             ;   in Loop: Header=BB4_1061 Depth=2
	v_and_b32_e32 v11, 0xffff, v10
	v_or_b32_e32 v119, 0x10000, v10
	s_delay_alu instid0(VALU_DEP_2) | instskip(NEXT) | instid1(VALU_DEP_2)
	v_cmp_eq_u32_e32 vcc_lo, 0, v11
	v_cndmask_b32_e32 v44, v119, v10, vcc_lo
; %bb.1080:                             ;   in Loop: Header=BB4_1061 Depth=2
	s_or_b32 exec_lo, exec_lo, s11
	v_lshlrev_b32_e32 v10, 16, v12
	s_mov_b32 s11, exec_lo
                                        ; implicit-def: $vgpr45
	s_delay_alu instid0(VALU_DEP_1) | instskip(NEXT) | instid1(VALU_DEP_1)
	v_mul_f32_e32 v10, v118, v10
	v_and_b32_e32 v11, 0x7f800000, v10
	s_delay_alu instid0(VALU_DEP_1)
	v_cmpx_ne_u32_e32 0x7f800000, v11
	s_xor_b32 s11, exec_lo, s11
; %bb.1081:                             ;   in Loop: Header=BB4_1061 Depth=2
	v_bfe_u32 v11, v10, 16, 1
	s_delay_alu instid0(VALU_DEP_1)
	v_add3_u32 v45, v10, v11, 0x7fff
                                        ; implicit-def: $vgpr10
; %bb.1082:                             ;   in Loop: Header=BB4_1061 Depth=2
	s_and_not1_saveexec_b32 s11, s11
; %bb.1083:                             ;   in Loop: Header=BB4_1061 Depth=2
	v_and_b32_e32 v11, 0xffff, v10
	v_or_b32_e32 v119, 0x10000, v10
	s_delay_alu instid0(VALU_DEP_2) | instskip(NEXT) | instid1(VALU_DEP_2)
	v_cmp_eq_u32_e32 vcc_lo, 0, v11
	v_cndmask_b32_e32 v45, v119, v10, vcc_lo
; %bb.1084:                             ;   in Loop: Header=BB4_1061 Depth=2
	s_or_b32 exec_lo, exec_lo, s11
	v_and_b32_e32 v10, 0xffff0000, v12
	s_mov_b32 s11, exec_lo
                                        ; implicit-def: $vgpr41
	s_delay_alu instid0(VALU_DEP_1) | instskip(NEXT) | instid1(VALU_DEP_1)
	v_mul_f32_e32 v10, v118, v10
	v_and_b32_e32 v11, 0x7f800000, v10
	s_delay_alu instid0(VALU_DEP_1)
	v_cmpx_ne_u32_e32 0x7f800000, v11
	s_xor_b32 s11, exec_lo, s11
; %bb.1085:                             ;   in Loop: Header=BB4_1061 Depth=2
	v_bfe_u32 v11, v10, 16, 1
	s_delay_alu instid0(VALU_DEP_1)
	v_add3_u32 v41, v10, v11, 0x7fff
                                        ; implicit-def: $vgpr10
; %bb.1086:                             ;   in Loop: Header=BB4_1061 Depth=2
	s_and_not1_saveexec_b32 s11, s11
; %bb.1087:                             ;   in Loop: Header=BB4_1061 Depth=2
	v_and_b32_e32 v11, 0xffff, v10
	v_or_b32_e32 v12, 0x10000, v10
	s_delay_alu instid0(VALU_DEP_2) | instskip(NEXT) | instid1(VALU_DEP_2)
	v_cmp_eq_u32_e32 vcc_lo, 0, v11
	v_cndmask_b32_e32 v41, v12, v10, vcc_lo
; %bb.1088:                             ;   in Loop: Header=BB4_1061 Depth=2
	s_or_b32 exec_lo, exec_lo, s11
	v_lshlrev_b32_e32 v10, 16, v13
	s_mov_b32 s11, exec_lo
                                        ; implicit-def: $vgpr43
	s_delay_alu instid0(VALU_DEP_1) | instskip(NEXT) | instid1(VALU_DEP_1)
	v_mul_f32_e32 v10, v118, v10
	v_and_b32_e32 v11, 0x7f800000, v10
	s_delay_alu instid0(VALU_DEP_1)
	v_cmpx_ne_u32_e32 0x7f800000, v11
	s_xor_b32 s11, exec_lo, s11
; %bb.1089:                             ;   in Loop: Header=BB4_1061 Depth=2
	v_bfe_u32 v11, v10, 16, 1
	s_delay_alu instid0(VALU_DEP_1)
	v_add3_u32 v43, v10, v11, 0x7fff
                                        ; implicit-def: $vgpr10
; %bb.1090:                             ;   in Loop: Header=BB4_1061 Depth=2
	s_and_not1_saveexec_b32 s11, s11
; %bb.1091:                             ;   in Loop: Header=BB4_1061 Depth=2
	v_and_b32_e32 v11, 0xffff, v10
	v_or_b32_e32 v12, 0x10000, v10
	s_delay_alu instid0(VALU_DEP_2) | instskip(NEXT) | instid1(VALU_DEP_2)
	v_cmp_eq_u32_e32 vcc_lo, 0, v11
	v_cndmask_b32_e32 v43, v12, v10, vcc_lo
; %bb.1092:                             ;   in Loop: Header=BB4_1061 Depth=2
	s_or_b32 exec_lo, exec_lo, s11
	v_and_b32_e32 v10, 0xffff0000, v13
	s_mov_b32 s11, exec_lo
                                        ; implicit-def: $vgpr119
	s_delay_alu instid0(VALU_DEP_1) | instskip(NEXT) | instid1(VALU_DEP_1)
	v_mul_f32_e32 v10, v118, v10
	v_and_b32_e32 v11, 0x7f800000, v10
	s_delay_alu instid0(VALU_DEP_1)
	v_cmpx_ne_u32_e32 0x7f800000, v11
	s_xor_b32 s11, exec_lo, s11
; %bb.1093:                             ;   in Loop: Header=BB4_1061 Depth=2
	v_bfe_u32 v11, v10, 16, 1
	s_delay_alu instid0(VALU_DEP_1)
	v_add3_u32 v119, v10, v11, 0x7fff
                                        ; implicit-def: $vgpr10
; %bb.1094:                             ;   in Loop: Header=BB4_1061 Depth=2
	s_and_not1_saveexec_b32 s11, s11
; %bb.1095:                             ;   in Loop: Header=BB4_1061 Depth=2
	v_and_b32_e32 v11, 0xffff, v10
	v_or_b32_e32 v12, 0x10000, v10
	s_delay_alu instid0(VALU_DEP_2) | instskip(NEXT) | instid1(VALU_DEP_2)
	v_cmp_eq_u32_e32 vcc_lo, 0, v11
	v_cndmask_b32_e32 v119, v12, v10, vcc_lo
; %bb.1096:                             ;   in Loop: Header=BB4_1061 Depth=2
	s_or_b32 exec_lo, exec_lo, s11
	scratch_load_b128 v[10:13], off, s33 offset:144
	v_and_b32_e32 v97, 0xffff0000, v97
	s_wait_loadcnt 0x0
	v_lshlrev_b32_e32 v40, 16, v10
	s_delay_alu instid0(VALU_DEP_1) | instskip(NEXT) | instid1(VALU_DEP_1)
	v_add_f32_e32 v97, v97, v40
	v_and_b32_e32 v40, 0x7f800000, v97
	s_delay_alu instid0(VALU_DEP_1) | instskip(SKIP_2) | instid1(SALU_CYCLE_1)
	v_cmp_ne_u32_e32 vcc_lo, 0x7f800000, v40
                                        ; implicit-def: $vgpr40
	s_wait_xcnt 0x0
	s_and_saveexec_b32 s11, vcc_lo
	s_xor_b32 s11, exec_lo, s11
; %bb.1097:                             ;   in Loop: Header=BB4_1061 Depth=2
	v_bfe_u32 v40, v97, 16, 1
	s_delay_alu instid0(VALU_DEP_1)
	v_add3_u32 v40, v97, v40, 0x7fff
                                        ; implicit-def: $vgpr97
; %bb.1098:                             ;   in Loop: Header=BB4_1061 Depth=2
	s_and_not1_saveexec_b32 s11, s11
; %bb.1099:                             ;   in Loop: Header=BB4_1061 Depth=2
	v_and_b32_e32 v40, 0xffff, v97
	v_or_b32_e32 v47, 0x10000, v97
	s_delay_alu instid0(VALU_DEP_2) | instskip(NEXT) | instid1(VALU_DEP_2)
	v_cmp_eq_u32_e32 vcc_lo, 0, v40
	v_cndmask_b32_e32 v40, v47, v97, vcc_lo
; %bb.1100:                             ;   in Loop: Header=BB4_1061 Depth=2
	s_or_b32 exec_lo, exec_lo, s11
	v_and_b32_e32 v97, 0xffff0000, v10
	v_and_b32_e32 v96, 0xffff0000, v96
	s_delay_alu instid0(VALU_DEP_2) | instskip(NEXT) | instid1(VALU_DEP_1)
	v_mov_b32_e32 v10, v97
	v_pk_add_f32 v[96:97], v[10:11], v[96:97]
	s_delay_alu instid0(VALU_DEP_1) | instskip(NEXT) | instid1(VALU_DEP_1)
	v_and_b32_e32 v10, 0x7f800000, v96
	v_cmp_ne_u32_e32 vcc_lo, 0x7f800000, v10
                                        ; implicit-def: $vgpr10
	s_and_saveexec_b32 s11, vcc_lo
	s_delay_alu instid0(SALU_CYCLE_1)
	s_xor_b32 s11, exec_lo, s11
; %bb.1101:                             ;   in Loop: Header=BB4_1061 Depth=2
	v_bfe_u32 v10, v96, 16, 1
	s_delay_alu instid0(VALU_DEP_1)
	v_add3_u32 v10, v96, v10, 0x7fff
                                        ; implicit-def: $vgpr96_vgpr97
; %bb.1102:                             ;   in Loop: Header=BB4_1061 Depth=2
	s_and_not1_saveexec_b32 s11, s11
; %bb.1103:                             ;   in Loop: Header=BB4_1061 Depth=2
	v_and_b32_e32 v10, 0xffff, v96
	v_or_b32_e32 v97, 0x10000, v96
	s_delay_alu instid0(VALU_DEP_2) | instskip(NEXT) | instid1(VALU_DEP_2)
	v_cmp_eq_u32_e32 vcc_lo, 0, v10
	v_cndmask_b32_e32 v10, v97, v96, vcc_lo
; %bb.1104:                             ;   in Loop: Header=BB4_1061 Depth=2
	s_or_b32 exec_lo, exec_lo, s11
	v_and_b32_e32 v96, 0xffff0000, v46
	v_lshlrev_b32_e32 v97, 16, v11
	s_delay_alu instid0(VALU_DEP_1) | instskip(NEXT) | instid1(VALU_DEP_1)
	v_add_f32_e32 v97, v96, v97
	v_and_b32_e32 v96, 0x7f800000, v97
	s_delay_alu instid0(VALU_DEP_1) | instskip(SKIP_1) | instid1(SALU_CYCLE_1)
	v_cmp_ne_u32_e32 vcc_lo, 0x7f800000, v96
                                        ; implicit-def: $vgpr96
	s_and_saveexec_b32 s11, vcc_lo
	s_xor_b32 s11, exec_lo, s11
; %bb.1105:                             ;   in Loop: Header=BB4_1061 Depth=2
	v_bfe_u32 v96, v97, 16, 1
	s_delay_alu instid0(VALU_DEP_1)
	v_add3_u32 v96, v97, v96, 0x7fff
                                        ; implicit-def: $vgpr97
; %bb.1106:                             ;   in Loop: Header=BB4_1061 Depth=2
	s_and_not1_saveexec_b32 s11, s11
; %bb.1107:                             ;   in Loop: Header=BB4_1061 Depth=2
	v_and_b32_e32 v96, 0xffff, v97
	v_or_b32_e32 v46, 0x10000, v97
	s_delay_alu instid0(VALU_DEP_2) | instskip(NEXT) | instid1(VALU_DEP_2)
	v_cmp_eq_u32_e32 vcc_lo, 0, v96
	v_cndmask_b32_e32 v96, v46, v97, vcc_lo
; %bb.1108:                             ;   in Loop: Header=BB4_1061 Depth=2
	s_or_b32 exec_lo, exec_lo, s11
	v_and_b32_e32 v11, 0xffff0000, v11
	v_and_b32_e32 v97, 0xffff0000, v44
	s_delay_alu instid0(VALU_DEP_1) | instskip(NEXT) | instid1(VALU_DEP_1)
	v_add_f32_e32 v97, v97, v11
	v_and_b32_e32 v11, 0x7f800000, v97
	s_delay_alu instid0(VALU_DEP_1) | instskip(SKIP_1) | instid1(SALU_CYCLE_1)
	v_cmp_ne_u32_e32 vcc_lo, 0x7f800000, v11
                                        ; implicit-def: $vgpr11
	s_and_saveexec_b32 s11, vcc_lo
	s_xor_b32 s11, exec_lo, s11
; %bb.1109:                             ;   in Loop: Header=BB4_1061 Depth=2
	v_bfe_u32 v11, v97, 16, 1
	s_delay_alu instid0(VALU_DEP_1)
	v_add3_u32 v11, v97, v11, 0x7fff
                                        ; implicit-def: $vgpr97
; %bb.1110:                             ;   in Loop: Header=BB4_1061 Depth=2
	s_and_not1_saveexec_b32 s11, s11
; %bb.1111:                             ;   in Loop: Header=BB4_1061 Depth=2
	v_and_b32_e32 v11, 0xffff, v97
	v_or_b32_e32 v44, 0x10000, v97
	s_delay_alu instid0(VALU_DEP_2) | instskip(NEXT) | instid1(VALU_DEP_2)
	v_cmp_eq_u32_e32 vcc_lo, 0, v11
	v_cndmask_b32_e32 v11, v44, v97, vcc_lo
; %bb.1112:                             ;   in Loop: Header=BB4_1061 Depth=2
	s_or_b32 exec_lo, exec_lo, s11
	v_and_b32_e32 v97, 0xffff0000, v45
	v_lshlrev_b32_e32 v44, 16, v12
	s_delay_alu instid0(VALU_DEP_1) | instskip(NEXT) | instid1(VALU_DEP_1)
	v_add_f32_e32 v44, v97, v44
	v_and_b32_e32 v97, 0x7f800000, v44
	s_delay_alu instid0(VALU_DEP_1) | instskip(SKIP_1) | instid1(SALU_CYCLE_1)
	v_cmp_ne_u32_e32 vcc_lo, 0x7f800000, v97
                                        ; implicit-def: $vgpr97
	s_and_saveexec_b32 s11, vcc_lo
	s_xor_b32 s11, exec_lo, s11
; %bb.1113:                             ;   in Loop: Header=BB4_1061 Depth=2
	v_bfe_u32 v97, v44, 16, 1
	s_delay_alu instid0(VALU_DEP_1)
	v_add3_u32 v97, v44, v97, 0x7fff
                                        ; implicit-def: $vgpr44
; %bb.1114:                             ;   in Loop: Header=BB4_1061 Depth=2
	s_and_not1_saveexec_b32 s11, s11
; %bb.1115:                             ;   in Loop: Header=BB4_1061 Depth=2
	v_and_b32_e32 v97, 0xffff, v44
	v_or_b32_e32 v45, 0x10000, v44
	s_delay_alu instid0(VALU_DEP_2) | instskip(NEXT) | instid1(VALU_DEP_2)
	v_cmp_eq_u32_e32 vcc_lo, 0, v97
	v_cndmask_b32_e32 v97, v45, v44, vcc_lo
; %bb.1116:                             ;   in Loop: Header=BB4_1061 Depth=2
	s_or_b32 exec_lo, exec_lo, s11
	v_and_b32_e32 v12, 0xffff0000, v12
	v_and_b32_e32 v41, 0xffff0000, v41
	s_delay_alu instid0(VALU_DEP_1) | instskip(NEXT) | instid1(VALU_DEP_1)
	v_add_f32_e32 v41, v41, v12
	v_and_b32_e32 v12, 0x7f800000, v41
	s_delay_alu instid0(VALU_DEP_1) | instskip(SKIP_1) | instid1(SALU_CYCLE_1)
	v_cmp_ne_u32_e32 vcc_lo, 0x7f800000, v12
                                        ; implicit-def: $vgpr12
	s_and_saveexec_b32 s11, vcc_lo
	s_xor_b32 s11, exec_lo, s11
; %bb.1117:                             ;   in Loop: Header=BB4_1061 Depth=2
	v_bfe_u32 v12, v41, 16, 1
	s_delay_alu instid0(VALU_DEP_1)
	v_add3_u32 v12, v41, v12, 0x7fff
                                        ; implicit-def: $vgpr41
; %bb.1118:                             ;   in Loop: Header=BB4_1061 Depth=2
	s_and_not1_saveexec_b32 s11, s11
; %bb.1119:                             ;   in Loop: Header=BB4_1061 Depth=2
	v_and_b32_e32 v12, 0xffff, v41
	v_or_b32_e32 v44, 0x10000, v41
	s_delay_alu instid0(VALU_DEP_2) | instskip(NEXT) | instid1(VALU_DEP_2)
	v_cmp_eq_u32_e32 vcc_lo, 0, v12
	v_cndmask_b32_e32 v12, v44, v41, vcc_lo
; %bb.1120:                             ;   in Loop: Header=BB4_1061 Depth=2
	s_or_b32 exec_lo, exec_lo, s11
	v_and_b32_e32 v41, 0xffff0000, v43
	v_lshlrev_b32_e32 v43, 16, v13
	s_delay_alu instid0(VALU_DEP_1) | instskip(NEXT) | instid1(VALU_DEP_1)
	v_add_f32_e32 v43, v41, v43
	v_and_b32_e32 v41, 0x7f800000, v43
	s_delay_alu instid0(VALU_DEP_1) | instskip(SKIP_1) | instid1(SALU_CYCLE_1)
	v_cmp_ne_u32_e32 vcc_lo, 0x7f800000, v41
                                        ; implicit-def: $vgpr41
	s_and_saveexec_b32 s11, vcc_lo
	s_xor_b32 s11, exec_lo, s11
; %bb.1121:                             ;   in Loop: Header=BB4_1061 Depth=2
	v_bfe_u32 v41, v43, 16, 1
	s_delay_alu instid0(VALU_DEP_1)
	v_add3_u32 v41, v43, v41, 0x7fff
                                        ; implicit-def: $vgpr43
; %bb.1122:                             ;   in Loop: Header=BB4_1061 Depth=2
	s_and_not1_saveexec_b32 s11, s11
; %bb.1123:                             ;   in Loop: Header=BB4_1061 Depth=2
	v_and_b32_e32 v41, 0xffff, v43
	v_or_b32_e32 v44, 0x10000, v43
	s_delay_alu instid0(VALU_DEP_2) | instskip(NEXT) | instid1(VALU_DEP_2)
	v_cmp_eq_u32_e32 vcc_lo, 0, v41
	v_cndmask_b32_e32 v41, v44, v43, vcc_lo
; %bb.1124:                             ;   in Loop: Header=BB4_1061 Depth=2
	s_or_b32 exec_lo, exec_lo, s11
	v_and_b32_e32 v13, 0xffff0000, v13
	v_and_b32_e32 v119, 0xffff0000, v119
	s_delay_alu instid0(VALU_DEP_1) | instskip(NEXT) | instid1(VALU_DEP_1)
	v_add_f32_e32 v119, v119, v13
	v_and_b32_e32 v13, 0x7f800000, v119
	s_delay_alu instid0(VALU_DEP_1) | instskip(SKIP_1) | instid1(SALU_CYCLE_1)
	v_cmp_ne_u32_e32 vcc_lo, 0x7f800000, v13
                                        ; implicit-def: $vgpr13
	s_and_saveexec_b32 s11, vcc_lo
	s_xor_b32 s11, exec_lo, s11
; %bb.1125:                             ;   in Loop: Header=BB4_1061 Depth=2
	v_bfe_u32 v13, v119, 16, 1
	s_delay_alu instid0(VALU_DEP_1)
	v_add3_u32 v13, v119, v13, 0x7fff
                                        ; implicit-def: $vgpr119
; %bb.1126:                             ;   in Loop: Header=BB4_1061 Depth=2
	s_and_not1_saveexec_b32 s11, s11
; %bb.1127:                             ;   in Loop: Header=BB4_1061 Depth=2
	v_and_b32_e32 v13, 0xffff, v119
	v_or_b32_e32 v43, 0x10000, v119
	s_delay_alu instid0(VALU_DEP_2) | instskip(NEXT) | instid1(VALU_DEP_2)
	v_cmp_eq_u32_e32 vcc_lo, 0, v13
	v_cndmask_b32_e32 v13, v43, v119, vcc_lo
; %bb.1128:                             ;   in Loop: Header=BB4_1061 Depth=2
	s_or_b32 exec_lo, exec_lo, s11
	v_dual_lshrrev_b32 v96, 16, v96 :: v_dual_lshrrev_b32 v97, 16, v97
	v_dual_lshrrev_b32 v119, 16, v40 :: v_dual_lshrrev_b32 v40, 16, v41
	s_delay_alu instid0(VALU_DEP_2) | instskip(NEXT) | instid1(VALU_DEP_3)
	v_and_or_b32 v11, 0xffff0000, v11, v96
	v_and_or_b32 v12, 0xffff0000, v12, v97
	s_delay_alu instid0(VALU_DEP_3) | instskip(NEXT) | instid1(VALU_DEP_4)
	v_and_or_b32 v10, 0xffff0000, v10, v119
	v_and_or_b32 v13, 0xffff0000, v13, v40
	global_store_b128 v[84:85], v[10:13], off th:TH_STORE_NT
	s_wait_xcnt 0x0
	v_add_nc_u64_e32 v[84:85], v[52:53], v[84:85]
	scratch_store_b128 off, v[10:13], s33 offset:128
.LBB4_1129:                             ;   in Loop: Header=BB4_1061 Depth=2
	s_wait_xcnt 0x0
	s_or_b32 exec_lo, exec_lo, s10
	v_sub_nc_u32_e32 v113, v113, v101
	v_add_nc_u64_e32 v[86:87], v[86:87], v[18:19]
	v_add_nc_u64_e32 v[82:83], v[82:83], v[18:19]
	s_delay_alu instid0(VALU_DEP_3)
	v_cmp_lt_i32_e64 s43, 15, v113
	s_and_saveexec_b32 s44, s43
	s_cbranch_execz .LBB4_1132
; %bb.1130:                             ;   in Loop: Header=BB4_1061 Depth=2
	s_add_co_i32 s10, s33, 0x80
	s_mov_b64 s[12:13], 0
	s_mov_b32 s45, s10
	s_mov_b32 s46, -1
.LBB4_1131:                             ;   Parent Loop BB4_775 Depth=1
                                        ;     Parent Loop BB4_1061 Depth=2
                                        ; =>    This Inner Loop Header: Depth=3
	s_cmp_eq_u32 s12, 1
	s_cselect_b32 vcc_lo, -1, 0
	s_cmp_eq_u32 s12, 0
	v_dual_cndmask_b32 v97, v87, v83 :: v_dual_cndmask_b32 v96, v86, v82
	s_cselect_b32 s10, -1, 0
	s_and_b32 s11, exec_lo, s46
	s_mov_b64 s[12:13], 1
	s_mov_b32 s46, 0
	global_load_b128 v[10:13], v[96:97], off th:TH_LOAD_NT
	s_wait_xcnt 0x0
	v_add_nc_u64_e32 v[96:97], 0x200, v[96:97]
	s_delay_alu instid0(VALU_DEP_1)
	v_dual_cndmask_b32 v87, v87, v97, s10 :: v_dual_cndmask_b32 v86, v86, v96, s10
	v_dual_cndmask_b32 v83, v83, v97 :: v_dual_cndmask_b32 v82, v82, v96
	s_mov_b32 vcc_lo, s11
	s_wait_loadcnt 0x0
	scratch_store_b128 off, v[10:13], s45
	s_wait_xcnt 0x0
	s_mov_b32 s45, s23
	s_cbranch_vccnz .LBB4_1131
.LBB4_1132:                             ;   in Loop: Header=BB4_1061 Depth=2
	s_or_b32 exec_lo, exec_lo, s44
	scratch_load_b128 v[10:13], off, s33 offset:96
	s_wait_loadcnt 0x0
	v_lshlrev_b32_e32 v96, 16, v10
	s_delay_alu instid0(VALU_DEP_1) | instskip(NEXT) | instid1(VALU_DEP_1)
	v_mul_f32_e32 v96, v118, v96
	v_and_b32_e32 v97, 0x7f800000, v96
	s_delay_alu instid0(VALU_DEP_1) | instskip(SKIP_2) | instid1(SALU_CYCLE_1)
	v_cmp_ne_u32_e32 vcc_lo, 0x7f800000, v97
                                        ; implicit-def: $vgpr97
	s_wait_xcnt 0x0
	s_and_saveexec_b32 s10, vcc_lo
	s_xor_b32 s10, exec_lo, s10
; %bb.1133:                             ;   in Loop: Header=BB4_1061 Depth=2
	v_bfe_u32 v97, v96, 16, 1
	s_delay_alu instid0(VALU_DEP_1)
	v_add3_u32 v97, v96, v97, 0x7fff
                                        ; implicit-def: $vgpr96
; %bb.1134:                             ;   in Loop: Header=BB4_1061 Depth=2
	s_and_not1_saveexec_b32 s10, s10
; %bb.1135:                             ;   in Loop: Header=BB4_1061 Depth=2
	v_and_b32_e32 v97, 0xffff, v96
	v_or_b32_e32 v119, 0x10000, v96
	s_delay_alu instid0(VALU_DEP_2) | instskip(NEXT) | instid1(VALU_DEP_2)
	v_cmp_eq_u32_e32 vcc_lo, 0, v97
	v_cndmask_b32_e32 v97, v119, v96, vcc_lo
; %bb.1136:                             ;   in Loop: Header=BB4_1061 Depth=2
	s_or_b32 exec_lo, exec_lo, s10
	v_and_b32_e32 v10, 0xffff0000, v10
	s_delay_alu instid0(VALU_DEP_1) | instskip(NEXT) | instid1(VALU_DEP_1)
	v_mul_f32_e32 v10, v118, v10
	v_and_b32_e32 v96, 0x7f800000, v10
	s_delay_alu instid0(VALU_DEP_1) | instskip(SKIP_1) | instid1(SALU_CYCLE_1)
	v_cmp_ne_u32_e32 vcc_lo, 0x7f800000, v96
                                        ; implicit-def: $vgpr96
	s_and_saveexec_b32 s10, vcc_lo
	s_xor_b32 s10, exec_lo, s10
; %bb.1137:                             ;   in Loop: Header=BB4_1061 Depth=2
	v_bfe_u32 v96, v10, 16, 1
	s_delay_alu instid0(VALU_DEP_1)
	v_add3_u32 v96, v10, v96, 0x7fff
                                        ; implicit-def: $vgpr10
; %bb.1138:                             ;   in Loop: Header=BB4_1061 Depth=2
	s_and_not1_saveexec_b32 s10, s10
; %bb.1139:                             ;   in Loop: Header=BB4_1061 Depth=2
	v_and_b32_e32 v96, 0xffff, v10
	v_or_b32_e32 v119, 0x10000, v10
	s_delay_alu instid0(VALU_DEP_2) | instskip(NEXT) | instid1(VALU_DEP_2)
	v_cmp_eq_u32_e32 vcc_lo, 0, v96
	v_cndmask_b32_e32 v96, v119, v10, vcc_lo
; %bb.1140:                             ;   in Loop: Header=BB4_1061 Depth=2
	s_or_b32 exec_lo, exec_lo, s10
	v_lshlrev_b32_e32 v10, 16, v11
	s_mov_b32 s10, exec_lo
                                        ; implicit-def: $vgpr46
	s_delay_alu instid0(VALU_DEP_1) | instskip(NEXT) | instid1(VALU_DEP_1)
	v_mul_f32_e32 v10, v118, v10
	v_and_b32_e32 v119, 0x7f800000, v10
	s_delay_alu instid0(VALU_DEP_1)
	v_cmpx_ne_u32_e32 0x7f800000, v119
	s_xor_b32 s10, exec_lo, s10
; %bb.1141:                             ;   in Loop: Header=BB4_1061 Depth=2
	v_bfe_u32 v119, v10, 16, 1
	s_delay_alu instid0(VALU_DEP_1)
	v_add3_u32 v46, v10, v119, 0x7fff
                                        ; implicit-def: $vgpr10
; %bb.1142:                             ;   in Loop: Header=BB4_1061 Depth=2
	s_and_not1_saveexec_b32 s10, s10
; %bb.1143:                             ;   in Loop: Header=BB4_1061 Depth=2
	v_and_b32_e32 v119, 0xffff, v10
	v_or_b32_e32 v40, 0x10000, v10
	s_delay_alu instid0(VALU_DEP_2) | instskip(NEXT) | instid1(VALU_DEP_2)
	v_cmp_eq_u32_e32 vcc_lo, 0, v119
	v_cndmask_b32_e32 v46, v40, v10, vcc_lo
; %bb.1144:                             ;   in Loop: Header=BB4_1061 Depth=2
	s_or_b32 exec_lo, exec_lo, s10
	v_and_b32_e32 v10, 0xffff0000, v11
	s_mov_b32 s10, exec_lo
                                        ; implicit-def: $vgpr44
	s_delay_alu instid0(VALU_DEP_1) | instskip(NEXT) | instid1(VALU_DEP_1)
	v_mul_f32_e32 v10, v118, v10
	v_and_b32_e32 v11, 0x7f800000, v10
	s_delay_alu instid0(VALU_DEP_1)
	v_cmpx_ne_u32_e32 0x7f800000, v11
	s_xor_b32 s10, exec_lo, s10
; %bb.1145:                             ;   in Loop: Header=BB4_1061 Depth=2
	v_bfe_u32 v11, v10, 16, 1
	s_delay_alu instid0(VALU_DEP_1)
	v_add3_u32 v44, v10, v11, 0x7fff
                                        ; implicit-def: $vgpr10
; %bb.1146:                             ;   in Loop: Header=BB4_1061 Depth=2
	s_and_not1_saveexec_b32 s10, s10
; %bb.1147:                             ;   in Loop: Header=BB4_1061 Depth=2
	v_and_b32_e32 v11, 0xffff, v10
	v_or_b32_e32 v119, 0x10000, v10
	s_delay_alu instid0(VALU_DEP_2) | instskip(NEXT) | instid1(VALU_DEP_2)
	v_cmp_eq_u32_e32 vcc_lo, 0, v11
	v_cndmask_b32_e32 v44, v119, v10, vcc_lo
; %bb.1148:                             ;   in Loop: Header=BB4_1061 Depth=2
	s_or_b32 exec_lo, exec_lo, s10
	v_lshlrev_b32_e32 v10, 16, v12
	s_mov_b32 s10, exec_lo
                                        ; implicit-def: $vgpr45
	s_delay_alu instid0(VALU_DEP_1) | instskip(NEXT) | instid1(VALU_DEP_1)
	v_mul_f32_e32 v10, v118, v10
	v_and_b32_e32 v11, 0x7f800000, v10
	s_delay_alu instid0(VALU_DEP_1)
	v_cmpx_ne_u32_e32 0x7f800000, v11
	s_xor_b32 s10, exec_lo, s10
; %bb.1149:                             ;   in Loop: Header=BB4_1061 Depth=2
	v_bfe_u32 v11, v10, 16, 1
	s_delay_alu instid0(VALU_DEP_1)
	v_add3_u32 v45, v10, v11, 0x7fff
                                        ; implicit-def: $vgpr10
; %bb.1150:                             ;   in Loop: Header=BB4_1061 Depth=2
	s_and_not1_saveexec_b32 s10, s10
; %bb.1151:                             ;   in Loop: Header=BB4_1061 Depth=2
	v_and_b32_e32 v11, 0xffff, v10
	v_or_b32_e32 v119, 0x10000, v10
	s_delay_alu instid0(VALU_DEP_2) | instskip(NEXT) | instid1(VALU_DEP_2)
	v_cmp_eq_u32_e32 vcc_lo, 0, v11
	v_cndmask_b32_e32 v45, v119, v10, vcc_lo
; %bb.1152:                             ;   in Loop: Header=BB4_1061 Depth=2
	s_or_b32 exec_lo, exec_lo, s10
	v_and_b32_e32 v10, 0xffff0000, v12
	s_mov_b32 s10, exec_lo
                                        ; implicit-def: $vgpr41
	s_delay_alu instid0(VALU_DEP_1) | instskip(NEXT) | instid1(VALU_DEP_1)
	v_mul_f32_e32 v10, v118, v10
	v_and_b32_e32 v11, 0x7f800000, v10
	s_delay_alu instid0(VALU_DEP_1)
	v_cmpx_ne_u32_e32 0x7f800000, v11
	s_xor_b32 s10, exec_lo, s10
; %bb.1153:                             ;   in Loop: Header=BB4_1061 Depth=2
	v_bfe_u32 v11, v10, 16, 1
	s_delay_alu instid0(VALU_DEP_1)
	v_add3_u32 v41, v10, v11, 0x7fff
                                        ; implicit-def: $vgpr10
; %bb.1154:                             ;   in Loop: Header=BB4_1061 Depth=2
	s_and_not1_saveexec_b32 s10, s10
; %bb.1155:                             ;   in Loop: Header=BB4_1061 Depth=2
	v_and_b32_e32 v11, 0xffff, v10
	v_or_b32_e32 v12, 0x10000, v10
	s_delay_alu instid0(VALU_DEP_2) | instskip(NEXT) | instid1(VALU_DEP_2)
	v_cmp_eq_u32_e32 vcc_lo, 0, v11
	v_cndmask_b32_e32 v41, v12, v10, vcc_lo
; %bb.1156:                             ;   in Loop: Header=BB4_1061 Depth=2
	s_or_b32 exec_lo, exec_lo, s10
	v_lshlrev_b32_e32 v10, 16, v13
	s_mov_b32 s10, exec_lo
                                        ; implicit-def: $vgpr43
	s_delay_alu instid0(VALU_DEP_1) | instskip(NEXT) | instid1(VALU_DEP_1)
	v_mul_f32_e32 v10, v118, v10
	v_and_b32_e32 v11, 0x7f800000, v10
	s_delay_alu instid0(VALU_DEP_1)
	v_cmpx_ne_u32_e32 0x7f800000, v11
	s_xor_b32 s10, exec_lo, s10
; %bb.1157:                             ;   in Loop: Header=BB4_1061 Depth=2
	v_bfe_u32 v11, v10, 16, 1
	s_delay_alu instid0(VALU_DEP_1)
	v_add3_u32 v43, v10, v11, 0x7fff
                                        ; implicit-def: $vgpr10
; %bb.1158:                             ;   in Loop: Header=BB4_1061 Depth=2
	s_and_not1_saveexec_b32 s10, s10
; %bb.1159:                             ;   in Loop: Header=BB4_1061 Depth=2
	v_and_b32_e32 v11, 0xffff, v10
	v_or_b32_e32 v12, 0x10000, v10
	s_delay_alu instid0(VALU_DEP_2) | instskip(NEXT) | instid1(VALU_DEP_2)
	v_cmp_eq_u32_e32 vcc_lo, 0, v11
	v_cndmask_b32_e32 v43, v12, v10, vcc_lo
; %bb.1160:                             ;   in Loop: Header=BB4_1061 Depth=2
	s_or_b32 exec_lo, exec_lo, s10
	v_and_b32_e32 v10, 0xffff0000, v13
	s_mov_b32 s10, exec_lo
                                        ; implicit-def: $vgpr40
	s_delay_alu instid0(VALU_DEP_1) | instskip(NEXT) | instid1(VALU_DEP_1)
	v_mul_f32_e32 v10, v118, v10
	v_and_b32_e32 v11, 0x7f800000, v10
	s_delay_alu instid0(VALU_DEP_1)
	v_cmpx_ne_u32_e32 0x7f800000, v11
	s_xor_b32 s10, exec_lo, s10
; %bb.1161:                             ;   in Loop: Header=BB4_1061 Depth=2
	v_bfe_u32 v11, v10, 16, 1
	s_delay_alu instid0(VALU_DEP_1)
	v_add3_u32 v40, v10, v11, 0x7fff
                                        ; implicit-def: $vgpr10
; %bb.1162:                             ;   in Loop: Header=BB4_1061 Depth=2
	s_and_not1_saveexec_b32 s10, s10
; %bb.1163:                             ;   in Loop: Header=BB4_1061 Depth=2
	v_and_b32_e32 v11, 0xffff, v10
	v_or_b32_e32 v12, 0x10000, v10
	s_delay_alu instid0(VALU_DEP_2) | instskip(NEXT) | instid1(VALU_DEP_2)
	v_cmp_eq_u32_e32 vcc_lo, 0, v11
	v_cndmask_b32_e32 v40, v12, v10, vcc_lo
; %bb.1164:                             ;   in Loop: Header=BB4_1061 Depth=2
	s_or_b32 exec_lo, exec_lo, s10
	scratch_load_b128 v[10:13], off, s33 offset:112
	v_and_b32_e32 v97, 0xffff0000, v97
	s_wait_loadcnt 0x0
	v_lshlrev_b32_e32 v119, 16, v10
	s_delay_alu instid0(VALU_DEP_1) | instskip(NEXT) | instid1(VALU_DEP_1)
	v_add_f32_e32 v97, v97, v119
	v_and_b32_e32 v119, 0x7f800000, v97
	s_delay_alu instid0(VALU_DEP_1) | instskip(SKIP_2) | instid1(SALU_CYCLE_1)
	v_cmp_ne_u32_e32 vcc_lo, 0x7f800000, v119
                                        ; implicit-def: $vgpr119
	s_wait_xcnt 0x0
	s_and_saveexec_b32 s10, vcc_lo
	s_xor_b32 s10, exec_lo, s10
; %bb.1165:                             ;   in Loop: Header=BB4_1061 Depth=2
	v_bfe_u32 v119, v97, 16, 1
	s_delay_alu instid0(VALU_DEP_1)
	v_add3_u32 v119, v97, v119, 0x7fff
                                        ; implicit-def: $vgpr97
; %bb.1166:                             ;   in Loop: Header=BB4_1061 Depth=2
	s_and_not1_saveexec_b32 s10, s10
; %bb.1167:                             ;   in Loop: Header=BB4_1061 Depth=2
	v_and_b32_e32 v119, 0xffff, v97
	v_or_b32_e32 v47, 0x10000, v97
	s_delay_alu instid0(VALU_DEP_2) | instskip(NEXT) | instid1(VALU_DEP_2)
	v_cmp_eq_u32_e32 vcc_lo, 0, v119
	v_cndmask_b32_e32 v119, v47, v97, vcc_lo
; %bb.1168:                             ;   in Loop: Header=BB4_1061 Depth=2
	s_or_b32 exec_lo, exec_lo, s10
	v_and_b32_e32 v97, 0xffff0000, v10
	v_and_b32_e32 v96, 0xffff0000, v96
	s_delay_alu instid0(VALU_DEP_2) | instskip(NEXT) | instid1(VALU_DEP_1)
	v_mov_b32_e32 v10, v97
	v_pk_add_f32 v[96:97], v[10:11], v[96:97]
	s_delay_alu instid0(VALU_DEP_1) | instskip(NEXT) | instid1(VALU_DEP_1)
	v_and_b32_e32 v10, 0x7f800000, v96
	v_cmp_ne_u32_e32 vcc_lo, 0x7f800000, v10
                                        ; implicit-def: $vgpr10
	s_and_saveexec_b32 s10, vcc_lo
	s_delay_alu instid0(SALU_CYCLE_1)
	s_xor_b32 s10, exec_lo, s10
; %bb.1169:                             ;   in Loop: Header=BB4_1061 Depth=2
	v_bfe_u32 v10, v96, 16, 1
	s_delay_alu instid0(VALU_DEP_1)
	v_add3_u32 v10, v96, v10, 0x7fff
                                        ; implicit-def: $vgpr96_vgpr97
; %bb.1170:                             ;   in Loop: Header=BB4_1061 Depth=2
	s_and_not1_saveexec_b32 s10, s10
; %bb.1171:                             ;   in Loop: Header=BB4_1061 Depth=2
	v_and_b32_e32 v10, 0xffff, v96
	v_or_b32_e32 v97, 0x10000, v96
	s_delay_alu instid0(VALU_DEP_2) | instskip(NEXT) | instid1(VALU_DEP_2)
	v_cmp_eq_u32_e32 vcc_lo, 0, v10
	v_cndmask_b32_e32 v10, v97, v96, vcc_lo
; %bb.1172:                             ;   in Loop: Header=BB4_1061 Depth=2
	s_or_b32 exec_lo, exec_lo, s10
	v_and_b32_e32 v96, 0xffff0000, v46
	v_lshlrev_b32_e32 v97, 16, v11
	s_delay_alu instid0(VALU_DEP_1) | instskip(NEXT) | instid1(VALU_DEP_1)
	v_add_f32_e32 v97, v96, v97
	v_and_b32_e32 v96, 0x7f800000, v97
	s_delay_alu instid0(VALU_DEP_1) | instskip(SKIP_1) | instid1(SALU_CYCLE_1)
	v_cmp_ne_u32_e32 vcc_lo, 0x7f800000, v96
                                        ; implicit-def: $vgpr96
	s_and_saveexec_b32 s10, vcc_lo
	s_xor_b32 s10, exec_lo, s10
; %bb.1173:                             ;   in Loop: Header=BB4_1061 Depth=2
	v_bfe_u32 v96, v97, 16, 1
	s_delay_alu instid0(VALU_DEP_1)
	v_add3_u32 v96, v97, v96, 0x7fff
                                        ; implicit-def: $vgpr97
; %bb.1174:                             ;   in Loop: Header=BB4_1061 Depth=2
	s_and_not1_saveexec_b32 s10, s10
; %bb.1175:                             ;   in Loop: Header=BB4_1061 Depth=2
	v_and_b32_e32 v96, 0xffff, v97
	v_or_b32_e32 v46, 0x10000, v97
	s_delay_alu instid0(VALU_DEP_2) | instskip(NEXT) | instid1(VALU_DEP_2)
	v_cmp_eq_u32_e32 vcc_lo, 0, v96
	v_cndmask_b32_e32 v96, v46, v97, vcc_lo
; %bb.1176:                             ;   in Loop: Header=BB4_1061 Depth=2
	s_or_b32 exec_lo, exec_lo, s10
	v_and_b32_e32 v11, 0xffff0000, v11
	v_and_b32_e32 v97, 0xffff0000, v44
	s_delay_alu instid0(VALU_DEP_1) | instskip(NEXT) | instid1(VALU_DEP_1)
	v_add_f32_e32 v97, v97, v11
	v_and_b32_e32 v11, 0x7f800000, v97
	s_delay_alu instid0(VALU_DEP_1) | instskip(SKIP_1) | instid1(SALU_CYCLE_1)
	v_cmp_ne_u32_e32 vcc_lo, 0x7f800000, v11
                                        ; implicit-def: $vgpr11
	s_and_saveexec_b32 s10, vcc_lo
	s_xor_b32 s10, exec_lo, s10
; %bb.1177:                             ;   in Loop: Header=BB4_1061 Depth=2
	v_bfe_u32 v11, v97, 16, 1
	s_delay_alu instid0(VALU_DEP_1)
	v_add3_u32 v11, v97, v11, 0x7fff
                                        ; implicit-def: $vgpr97
; %bb.1178:                             ;   in Loop: Header=BB4_1061 Depth=2
	s_and_not1_saveexec_b32 s10, s10
; %bb.1179:                             ;   in Loop: Header=BB4_1061 Depth=2
	v_and_b32_e32 v11, 0xffff, v97
	v_or_b32_e32 v44, 0x10000, v97
	s_delay_alu instid0(VALU_DEP_2) | instskip(NEXT) | instid1(VALU_DEP_2)
	v_cmp_eq_u32_e32 vcc_lo, 0, v11
	v_cndmask_b32_e32 v11, v44, v97, vcc_lo
; %bb.1180:                             ;   in Loop: Header=BB4_1061 Depth=2
	s_or_b32 exec_lo, exec_lo, s10
	v_and_b32_e32 v97, 0xffff0000, v45
	v_lshlrev_b32_e32 v44, 16, v12
	s_delay_alu instid0(VALU_DEP_1) | instskip(NEXT) | instid1(VALU_DEP_1)
	v_add_f32_e32 v44, v97, v44
	v_and_b32_e32 v97, 0x7f800000, v44
	s_delay_alu instid0(VALU_DEP_1) | instskip(SKIP_1) | instid1(SALU_CYCLE_1)
	v_cmp_ne_u32_e32 vcc_lo, 0x7f800000, v97
                                        ; implicit-def: $vgpr97
	s_and_saveexec_b32 s10, vcc_lo
	s_xor_b32 s10, exec_lo, s10
; %bb.1181:                             ;   in Loop: Header=BB4_1061 Depth=2
	v_bfe_u32 v97, v44, 16, 1
	s_delay_alu instid0(VALU_DEP_1)
	v_add3_u32 v97, v44, v97, 0x7fff
                                        ; implicit-def: $vgpr44
; %bb.1182:                             ;   in Loop: Header=BB4_1061 Depth=2
	s_and_not1_saveexec_b32 s10, s10
; %bb.1183:                             ;   in Loop: Header=BB4_1061 Depth=2
	v_and_b32_e32 v97, 0xffff, v44
	v_or_b32_e32 v45, 0x10000, v44
	s_delay_alu instid0(VALU_DEP_2) | instskip(NEXT) | instid1(VALU_DEP_2)
	v_cmp_eq_u32_e32 vcc_lo, 0, v97
	v_cndmask_b32_e32 v97, v45, v44, vcc_lo
; %bb.1184:                             ;   in Loop: Header=BB4_1061 Depth=2
	s_or_b32 exec_lo, exec_lo, s10
	v_and_b32_e32 v12, 0xffff0000, v12
	v_and_b32_e32 v41, 0xffff0000, v41
	s_delay_alu instid0(VALU_DEP_1) | instskip(NEXT) | instid1(VALU_DEP_1)
	v_add_f32_e32 v41, v41, v12
	v_and_b32_e32 v12, 0x7f800000, v41
	s_delay_alu instid0(VALU_DEP_1) | instskip(SKIP_1) | instid1(SALU_CYCLE_1)
	v_cmp_ne_u32_e32 vcc_lo, 0x7f800000, v12
                                        ; implicit-def: $vgpr12
	s_and_saveexec_b32 s10, vcc_lo
	s_xor_b32 s10, exec_lo, s10
; %bb.1185:                             ;   in Loop: Header=BB4_1061 Depth=2
	v_bfe_u32 v12, v41, 16, 1
	s_delay_alu instid0(VALU_DEP_1)
	v_add3_u32 v12, v41, v12, 0x7fff
                                        ; implicit-def: $vgpr41
; %bb.1186:                             ;   in Loop: Header=BB4_1061 Depth=2
	s_and_not1_saveexec_b32 s10, s10
; %bb.1187:                             ;   in Loop: Header=BB4_1061 Depth=2
	v_and_b32_e32 v12, 0xffff, v41
	v_or_b32_e32 v44, 0x10000, v41
	s_delay_alu instid0(VALU_DEP_2) | instskip(NEXT) | instid1(VALU_DEP_2)
	v_cmp_eq_u32_e32 vcc_lo, 0, v12
	v_cndmask_b32_e32 v12, v44, v41, vcc_lo
; %bb.1188:                             ;   in Loop: Header=BB4_1061 Depth=2
	s_or_b32 exec_lo, exec_lo, s10
	v_and_b32_e32 v41, 0xffff0000, v43
	v_lshlrev_b32_e32 v43, 16, v13
	s_delay_alu instid0(VALU_DEP_1) | instskip(NEXT) | instid1(VALU_DEP_1)
	v_add_f32_e32 v43, v41, v43
	v_and_b32_e32 v41, 0x7f800000, v43
	s_delay_alu instid0(VALU_DEP_1) | instskip(SKIP_1) | instid1(SALU_CYCLE_1)
	v_cmp_ne_u32_e32 vcc_lo, 0x7f800000, v41
                                        ; implicit-def: $vgpr41
	s_and_saveexec_b32 s10, vcc_lo
	s_xor_b32 s10, exec_lo, s10
; %bb.1189:                             ;   in Loop: Header=BB4_1061 Depth=2
	v_bfe_u32 v41, v43, 16, 1
	s_delay_alu instid0(VALU_DEP_1)
	v_add3_u32 v41, v43, v41, 0x7fff
                                        ; implicit-def: $vgpr43
; %bb.1190:                             ;   in Loop: Header=BB4_1061 Depth=2
	s_and_not1_saveexec_b32 s10, s10
; %bb.1191:                             ;   in Loop: Header=BB4_1061 Depth=2
	v_and_b32_e32 v41, 0xffff, v43
	v_or_b32_e32 v44, 0x10000, v43
	s_delay_alu instid0(VALU_DEP_2) | instskip(NEXT) | instid1(VALU_DEP_2)
	v_cmp_eq_u32_e32 vcc_lo, 0, v41
	v_cndmask_b32_e32 v41, v44, v43, vcc_lo
; %bb.1192:                             ;   in Loop: Header=BB4_1061 Depth=2
	s_or_b32 exec_lo, exec_lo, s10
	v_and_b32_e32 v13, 0xffff0000, v13
	v_and_b32_e32 v40, 0xffff0000, v40
	s_delay_alu instid0(VALU_DEP_1) | instskip(NEXT) | instid1(VALU_DEP_1)
	v_add_f32_e32 v40, v40, v13
	v_and_b32_e32 v13, 0x7f800000, v40
	s_delay_alu instid0(VALU_DEP_1) | instskip(SKIP_1) | instid1(SALU_CYCLE_1)
	v_cmp_ne_u32_e32 vcc_lo, 0x7f800000, v13
                                        ; implicit-def: $vgpr13
	s_and_saveexec_b32 s10, vcc_lo
	s_xor_b32 s10, exec_lo, s10
; %bb.1193:                             ;   in Loop: Header=BB4_1061 Depth=2
	v_bfe_u32 v13, v40, 16, 1
	s_delay_alu instid0(VALU_DEP_1)
	v_add3_u32 v13, v40, v13, 0x7fff
                                        ; implicit-def: $vgpr40
; %bb.1194:                             ;   in Loop: Header=BB4_1061 Depth=2
	s_and_not1_saveexec_b32 s10, s10
; %bb.1195:                             ;   in Loop: Header=BB4_1061 Depth=2
	v_and_b32_e32 v13, 0xffff, v40
	v_or_b32_e32 v43, 0x10000, v40
	s_delay_alu instid0(VALU_DEP_2) | instskip(NEXT) | instid1(VALU_DEP_2)
	v_cmp_eq_u32_e32 vcc_lo, 0, v13
	v_cndmask_b32_e32 v13, v43, v40, vcc_lo
; %bb.1196:                             ;   in Loop: Header=BB4_1061 Depth=2
	s_or_b32 exec_lo, exec_lo, s10
	v_dual_lshrrev_b32 v96, 16, v96 :: v_dual_lshrrev_b32 v119, 16, v119
	v_dual_lshrrev_b32 v97, 16, v97 :: v_dual_sub_nc_u32 v117, v117, v14
	v_lshrrev_b32_e32 v40, 16, v41
	s_delay_alu instid0(VALU_DEP_3) | instskip(NEXT) | instid1(VALU_DEP_4)
	v_and_or_b32 v11, 0xffff0000, v11, v96
	v_and_or_b32 v10, 0xffff0000, v10, v119
	s_delay_alu instid0(VALU_DEP_4) | instskip(NEXT) | instid1(VALU_DEP_4)
	v_and_or_b32 v12, 0xffff0000, v12, v97
	v_and_or_b32 v13, 0xffff0000, v13, v40
	global_store_b128 v[84:85], v[10:13], off th:TH_STORE_NT
	s_wait_xcnt 0x0
	v_add_nc_u64_e32 v[84:85], 0x200, v[84:85]
	scratch_store_b128 off, v[10:13], s33 offset:96
	s_wait_xcnt 0x0
	s_and_saveexec_b32 s10, s43
	s_cbranch_execz .LBB4_1060
; %bb.1197:                             ;   in Loop: Header=BB4_1061 Depth=2
	v_add_nc_u64_e32 v[86:87], v[86:87], v[18:19]
	v_add_nc_u64_e32 v[82:83], v[82:83], v[18:19]
	;; [unrolled: 1-line block ×3, first 2 shown]
	v_sub_nc_u32_e32 v113, v113, v101
	v_sub_nc_u32_e32 v117, v117, v14
	s_branch .LBB4_1060
.LBB4_1198:                             ;   in Loop: Header=BB4_775 Depth=1
	s_or_b32 exec_lo, exec_lo, s41
	s_delay_alu instid0(SALU_CYCLE_1)
	s_and_b32 s11, s42, exec_lo
.LBB4_1199:                             ;   in Loop: Header=BB4_775 Depth=1
	s_or_b32 exec_lo, exec_lo, s40
	s_and_saveexec_b32 s10, s11
	s_cbranch_execz .LBB4_1265
; %bb.1200:                             ;   in Loop: Header=BB4_775 Depth=1
	s_trap 2
	scratch_load_b128 v[10:13], off, s33 offset:128
	s_wait_dscnt 0x0
	ds_load_b32 v82, v0
	s_wait_dscnt 0x0
	v_lshlrev_b32_e32 v86, 16, v82
	s_wait_loadcnt 0x0
	v_lshlrev_b32_e32 v82, 16, v10
	s_delay_alu instid0(VALU_DEP_1) | instskip(NEXT) | instid1(VALU_DEP_1)
	v_mul_f32_e32 v82, v86, v82
	v_and_b32_e32 v83, 0x7f800000, v82
	s_delay_alu instid0(VALU_DEP_1) | instskip(SKIP_2) | instid1(SALU_CYCLE_1)
	v_cmp_ne_u32_e32 vcc_lo, 0x7f800000, v83
                                        ; implicit-def: $vgpr83
	s_wait_xcnt 0x0
	s_and_saveexec_b32 s11, vcc_lo
	s_xor_b32 s11, exec_lo, s11
; %bb.1201:                             ;   in Loop: Header=BB4_775 Depth=1
	v_bfe_u32 v83, v82, 16, 1
	s_delay_alu instid0(VALU_DEP_1)
	v_add3_u32 v83, v82, v83, 0x7fff
                                        ; implicit-def: $vgpr82
; %bb.1202:                             ;   in Loop: Header=BB4_775 Depth=1
	s_and_not1_saveexec_b32 s11, s11
; %bb.1203:                             ;   in Loop: Header=BB4_775 Depth=1
	v_and_b32_e32 v83, 0xffff, v82
	v_or_b32_e32 v87, 0x10000, v82
	s_delay_alu instid0(VALU_DEP_2) | instskip(NEXT) | instid1(VALU_DEP_2)
	v_cmp_eq_u32_e32 vcc_lo, 0, v83
	v_cndmask_b32_e32 v83, v87, v82, vcc_lo
; %bb.1204:                             ;   in Loop: Header=BB4_775 Depth=1
	s_or_b32 exec_lo, exec_lo, s11
	v_and_b32_e32 v10, 0xffff0000, v10
	s_delay_alu instid0(VALU_DEP_1) | instskip(NEXT) | instid1(VALU_DEP_1)
	v_mul_f32_e32 v10, v86, v10
	v_and_b32_e32 v82, 0x7f800000, v10
	s_delay_alu instid0(VALU_DEP_1) | instskip(SKIP_1) | instid1(SALU_CYCLE_1)
	v_cmp_ne_u32_e32 vcc_lo, 0x7f800000, v82
                                        ; implicit-def: $vgpr82
	s_and_saveexec_b32 s11, vcc_lo
	s_xor_b32 s11, exec_lo, s11
; %bb.1205:                             ;   in Loop: Header=BB4_775 Depth=1
	v_bfe_u32 v82, v10, 16, 1
	s_delay_alu instid0(VALU_DEP_1)
	v_add3_u32 v82, v10, v82, 0x7fff
                                        ; implicit-def: $vgpr10
; %bb.1206:                             ;   in Loop: Header=BB4_775 Depth=1
	s_and_not1_saveexec_b32 s11, s11
; %bb.1207:                             ;   in Loop: Header=BB4_775 Depth=1
	v_and_b32_e32 v82, 0xffff, v10
	v_or_b32_e32 v87, 0x10000, v10
	s_delay_alu instid0(VALU_DEP_2) | instskip(NEXT) | instid1(VALU_DEP_2)
	v_cmp_eq_u32_e32 vcc_lo, 0, v82
	v_cndmask_b32_e32 v82, v87, v10, vcc_lo
; %bb.1208:                             ;   in Loop: Header=BB4_775 Depth=1
	s_or_b32 exec_lo, exec_lo, s11
	v_lshlrev_b32_e32 v10, 16, v11
	s_mov_b32 s11, exec_lo
                                        ; implicit-def: $vgpr119
	s_delay_alu instid0(VALU_DEP_1) | instskip(NEXT) | instid1(VALU_DEP_1)
	v_mul_f32_e32 v10, v86, v10
	v_and_b32_e32 v87, 0x7f800000, v10
	s_delay_alu instid0(VALU_DEP_1)
	v_cmpx_ne_u32_e32 0x7f800000, v87
	s_xor_b32 s11, exec_lo, s11
; %bb.1209:                             ;   in Loop: Header=BB4_775 Depth=1
	v_bfe_u32 v87, v10, 16, 1
	s_delay_alu instid0(VALU_DEP_1)
	v_add3_u32 v119, v10, v87, 0x7fff
                                        ; implicit-def: $vgpr10
; %bb.1210:                             ;   in Loop: Header=BB4_775 Depth=1
	s_and_not1_saveexec_b32 s11, s11
; %bb.1211:                             ;   in Loop: Header=BB4_775 Depth=1
	v_and_b32_e32 v87, 0xffff, v10
	v_or_b32_e32 v96, 0x10000, v10
	s_delay_alu instid0(VALU_DEP_2) | instskip(NEXT) | instid1(VALU_DEP_2)
	v_cmp_eq_u32_e32 vcc_lo, 0, v87
	v_cndmask_b32_e32 v119, v96, v10, vcc_lo
; %bb.1212:                             ;   in Loop: Header=BB4_775 Depth=1
	s_or_b32 exec_lo, exec_lo, s11
	v_and_b32_e32 v10, 0xffff0000, v11
	s_mov_b32 s11, exec_lo
                                        ; implicit-def: $vgpr113
	s_delay_alu instid0(VALU_DEP_1) | instskip(NEXT) | instid1(VALU_DEP_1)
	v_mul_f32_e32 v10, v86, v10
	v_and_b32_e32 v11, 0x7f800000, v10
	s_delay_alu instid0(VALU_DEP_1)
	v_cmpx_ne_u32_e32 0x7f800000, v11
	s_xor_b32 s11, exec_lo, s11
; %bb.1213:                             ;   in Loop: Header=BB4_775 Depth=1
	v_bfe_u32 v11, v10, 16, 1
	s_delay_alu instid0(VALU_DEP_1)
	v_add3_u32 v113, v10, v11, 0x7fff
                                        ; implicit-def: $vgpr10
; %bb.1214:                             ;   in Loop: Header=BB4_775 Depth=1
	s_and_not1_saveexec_b32 s11, s11
; %bb.1215:                             ;   in Loop: Header=BB4_775 Depth=1
	v_and_b32_e32 v11, 0xffff, v10
	v_or_b32_e32 v87, 0x10000, v10
	s_delay_alu instid0(VALU_DEP_2) | instskip(NEXT) | instid1(VALU_DEP_2)
	v_cmp_eq_u32_e32 vcc_lo, 0, v11
	v_cndmask_b32_e32 v113, v87, v10, vcc_lo
; %bb.1216:                             ;   in Loop: Header=BB4_775 Depth=1
	s_or_b32 exec_lo, exec_lo, s11
	v_lshlrev_b32_e32 v10, 16, v12
	s_mov_b32 s11, exec_lo
                                        ; implicit-def: $vgpr118
	s_delay_alu instid0(VALU_DEP_1) | instskip(NEXT) | instid1(VALU_DEP_1)
	v_mul_f32_e32 v10, v86, v10
	v_and_b32_e32 v11, 0x7f800000, v10
	s_delay_alu instid0(VALU_DEP_1)
	v_cmpx_ne_u32_e32 0x7f800000, v11
	s_xor_b32 s11, exec_lo, s11
; %bb.1217:                             ;   in Loop: Header=BB4_775 Depth=1
	v_bfe_u32 v11, v10, 16, 1
	s_delay_alu instid0(VALU_DEP_1)
	v_add3_u32 v118, v10, v11, 0x7fff
                                        ; implicit-def: $vgpr10
; %bb.1218:                             ;   in Loop: Header=BB4_775 Depth=1
	s_and_not1_saveexec_b32 s11, s11
; %bb.1219:                             ;   in Loop: Header=BB4_775 Depth=1
	v_and_b32_e32 v11, 0xffff, v10
	v_or_b32_e32 v87, 0x10000, v10
	s_delay_alu instid0(VALU_DEP_2) | instskip(NEXT) | instid1(VALU_DEP_2)
	v_cmp_eq_u32_e32 vcc_lo, 0, v11
	v_cndmask_b32_e32 v118, v87, v10, vcc_lo
; %bb.1220:                             ;   in Loop: Header=BB4_775 Depth=1
	s_or_b32 exec_lo, exec_lo, s11
	v_and_b32_e32 v10, 0xffff0000, v12
	s_mov_b32 s11, exec_lo
                                        ; implicit-def: $vgpr96
	s_delay_alu instid0(VALU_DEP_1) | instskip(NEXT) | instid1(VALU_DEP_1)
	v_mul_f32_e32 v10, v86, v10
	v_and_b32_e32 v11, 0x7f800000, v10
	s_delay_alu instid0(VALU_DEP_1)
	v_cmpx_ne_u32_e32 0x7f800000, v11
	s_xor_b32 s11, exec_lo, s11
; %bb.1221:                             ;   in Loop: Header=BB4_775 Depth=1
	v_bfe_u32 v11, v10, 16, 1
	s_delay_alu instid0(VALU_DEP_1)
	v_add3_u32 v96, v10, v11, 0x7fff
                                        ; implicit-def: $vgpr10
; %bb.1222:                             ;   in Loop: Header=BB4_775 Depth=1
	s_and_not1_saveexec_b32 s11, s11
; %bb.1223:                             ;   in Loop: Header=BB4_775 Depth=1
	v_and_b32_e32 v11, 0xffff, v10
	v_or_b32_e32 v12, 0x10000, v10
	s_delay_alu instid0(VALU_DEP_2) | instskip(NEXT) | instid1(VALU_DEP_2)
	v_cmp_eq_u32_e32 vcc_lo, 0, v11
	v_cndmask_b32_e32 v96, v12, v10, vcc_lo
; %bb.1224:                             ;   in Loop: Header=BB4_775 Depth=1
	s_or_b32 exec_lo, exec_lo, s11
	v_lshlrev_b32_e32 v10, 16, v13
	s_mov_b32 s11, exec_lo
                                        ; implicit-def: $vgpr97
	s_delay_alu instid0(VALU_DEP_1) | instskip(NEXT) | instid1(VALU_DEP_1)
	v_mul_f32_e32 v10, v86, v10
	v_and_b32_e32 v11, 0x7f800000, v10
	s_delay_alu instid0(VALU_DEP_1)
	v_cmpx_ne_u32_e32 0x7f800000, v11
	s_xor_b32 s11, exec_lo, s11
; %bb.1225:                             ;   in Loop: Header=BB4_775 Depth=1
	v_bfe_u32 v11, v10, 16, 1
	s_delay_alu instid0(VALU_DEP_1)
	v_add3_u32 v97, v10, v11, 0x7fff
                                        ; implicit-def: $vgpr10
; %bb.1226:                             ;   in Loop: Header=BB4_775 Depth=1
	s_and_not1_saveexec_b32 s11, s11
; %bb.1227:                             ;   in Loop: Header=BB4_775 Depth=1
	v_and_b32_e32 v11, 0xffff, v10
	v_or_b32_e32 v12, 0x10000, v10
	s_delay_alu instid0(VALU_DEP_2) | instskip(NEXT) | instid1(VALU_DEP_2)
	v_cmp_eq_u32_e32 vcc_lo, 0, v11
	v_cndmask_b32_e32 v97, v12, v10, vcc_lo
; %bb.1228:                             ;   in Loop: Header=BB4_775 Depth=1
	s_or_b32 exec_lo, exec_lo, s11
	v_and_b32_e32 v10, 0xffff0000, v13
	s_mov_b32 s11, exec_lo
	s_delay_alu instid0(VALU_DEP_1) | instskip(NEXT) | instid1(VALU_DEP_1)
	v_mul_f32_e32 v10, v86, v10
                                        ; implicit-def: $vgpr86
	v_and_b32_e32 v11, 0x7f800000, v10
	s_delay_alu instid0(VALU_DEP_1)
	v_cmpx_ne_u32_e32 0x7f800000, v11
	s_xor_b32 s11, exec_lo, s11
; %bb.1229:                             ;   in Loop: Header=BB4_775 Depth=1
	v_bfe_u32 v11, v10, 16, 1
	s_delay_alu instid0(VALU_DEP_1)
	v_add3_u32 v86, v10, v11, 0x7fff
                                        ; implicit-def: $vgpr10
; %bb.1230:                             ;   in Loop: Header=BB4_775 Depth=1
	s_and_not1_saveexec_b32 s11, s11
; %bb.1231:                             ;   in Loop: Header=BB4_775 Depth=1
	v_and_b32_e32 v11, 0xffff, v10
	v_or_b32_e32 v12, 0x10000, v10
	s_delay_alu instid0(VALU_DEP_2) | instskip(NEXT) | instid1(VALU_DEP_2)
	v_cmp_eq_u32_e32 vcc_lo, 0, v11
	v_cndmask_b32_e32 v86, v12, v10, vcc_lo
; %bb.1232:                             ;   in Loop: Header=BB4_775 Depth=1
	s_or_b32 exec_lo, exec_lo, s11
	scratch_load_b128 v[10:13], off, s33 offset:144
	v_and_b32_e32 v83, 0xffff0000, v83
	s_wait_loadcnt 0x0
	v_lshlrev_b32_e32 v87, 16, v10
	s_delay_alu instid0(VALU_DEP_1) | instskip(NEXT) | instid1(VALU_DEP_1)
	v_add_f32_e32 v83, v83, v87
	v_and_b32_e32 v87, 0x7f800000, v83
	s_delay_alu instid0(VALU_DEP_1) | instskip(SKIP_2) | instid1(SALU_CYCLE_1)
	v_cmp_ne_u32_e32 vcc_lo, 0x7f800000, v87
                                        ; implicit-def: $vgpr87
	s_wait_xcnt 0x0
	s_and_saveexec_b32 s11, vcc_lo
	s_xor_b32 s11, exec_lo, s11
; %bb.1233:                             ;   in Loop: Header=BB4_775 Depth=1
	v_bfe_u32 v87, v83, 16, 1
	s_delay_alu instid0(VALU_DEP_1)
	v_add3_u32 v87, v83, v87, 0x7fff
                                        ; implicit-def: $vgpr83
; %bb.1234:                             ;   in Loop: Header=BB4_775 Depth=1
	s_and_not1_saveexec_b32 s11, s11
; %bb.1235:                             ;   in Loop: Header=BB4_775 Depth=1
	v_and_b32_e32 v87, 0xffff, v83
	v_or_b32_e32 v40, 0x10000, v83
	s_delay_alu instid0(VALU_DEP_2) | instskip(NEXT) | instid1(VALU_DEP_2)
	v_cmp_eq_u32_e32 vcc_lo, 0, v87
	v_cndmask_b32_e32 v87, v40, v83, vcc_lo
; %bb.1236:                             ;   in Loop: Header=BB4_775 Depth=1
	s_or_b32 exec_lo, exec_lo, s11
	v_and_b32_e32 v83, 0xffff0000, v10
	v_and_b32_e32 v82, 0xffff0000, v82
	s_delay_alu instid0(VALU_DEP_2) | instskip(NEXT) | instid1(VALU_DEP_1)
	v_mov_b32_e32 v10, v83
	v_pk_add_f32 v[82:83], v[10:11], v[82:83]
	s_delay_alu instid0(VALU_DEP_1) | instskip(NEXT) | instid1(VALU_DEP_1)
	v_and_b32_e32 v10, 0x7f800000, v82
	v_cmp_ne_u32_e32 vcc_lo, 0x7f800000, v10
                                        ; implicit-def: $vgpr10
	s_and_saveexec_b32 s11, vcc_lo
	s_delay_alu instid0(SALU_CYCLE_1)
	s_xor_b32 s11, exec_lo, s11
; %bb.1237:                             ;   in Loop: Header=BB4_775 Depth=1
	v_bfe_u32 v10, v82, 16, 1
	s_delay_alu instid0(VALU_DEP_1)
	v_add3_u32 v10, v82, v10, 0x7fff
                                        ; implicit-def: $vgpr82_vgpr83
; %bb.1238:                             ;   in Loop: Header=BB4_775 Depth=1
	s_and_not1_saveexec_b32 s11, s11
; %bb.1239:                             ;   in Loop: Header=BB4_775 Depth=1
	v_and_b32_e32 v10, 0xffff, v82
	v_or_b32_e32 v83, 0x10000, v82
	s_delay_alu instid0(VALU_DEP_2) | instskip(NEXT) | instid1(VALU_DEP_2)
	v_cmp_eq_u32_e32 vcc_lo, 0, v10
	v_cndmask_b32_e32 v10, v83, v82, vcc_lo
; %bb.1240:                             ;   in Loop: Header=BB4_775 Depth=1
	s_or_b32 exec_lo, exec_lo, s11
	v_and_b32_e32 v82, 0xffff0000, v119
	v_lshlrev_b32_e32 v83, 16, v11
	s_delay_alu instid0(VALU_DEP_1) | instskip(NEXT) | instid1(VALU_DEP_1)
	v_add_f32_e32 v83, v82, v83
	v_and_b32_e32 v82, 0x7f800000, v83
	s_delay_alu instid0(VALU_DEP_1) | instskip(SKIP_1) | instid1(SALU_CYCLE_1)
	v_cmp_ne_u32_e32 vcc_lo, 0x7f800000, v82
                                        ; implicit-def: $vgpr82
	s_and_saveexec_b32 s11, vcc_lo
	s_xor_b32 s11, exec_lo, s11
; %bb.1241:                             ;   in Loop: Header=BB4_775 Depth=1
	v_bfe_u32 v82, v83, 16, 1
	s_delay_alu instid0(VALU_DEP_1)
	v_add3_u32 v82, v83, v82, 0x7fff
                                        ; implicit-def: $vgpr83
; %bb.1242:                             ;   in Loop: Header=BB4_775 Depth=1
	s_and_not1_saveexec_b32 s11, s11
; %bb.1243:                             ;   in Loop: Header=BB4_775 Depth=1
	v_and_b32_e32 v82, 0xffff, v83
	v_or_b32_e32 v119, 0x10000, v83
	s_delay_alu instid0(VALU_DEP_2) | instskip(NEXT) | instid1(VALU_DEP_2)
	v_cmp_eq_u32_e32 vcc_lo, 0, v82
	v_cndmask_b32_e32 v82, v119, v83, vcc_lo
; %bb.1244:                             ;   in Loop: Header=BB4_775 Depth=1
	s_or_b32 exec_lo, exec_lo, s11
	v_and_b32_e32 v11, 0xffff0000, v11
	v_and_b32_e32 v83, 0xffff0000, v113
	s_delay_alu instid0(VALU_DEP_1) | instskip(NEXT) | instid1(VALU_DEP_1)
	v_add_f32_e32 v83, v83, v11
	v_and_b32_e32 v11, 0x7f800000, v83
	s_delay_alu instid0(VALU_DEP_1) | instskip(SKIP_1) | instid1(SALU_CYCLE_1)
	v_cmp_ne_u32_e32 vcc_lo, 0x7f800000, v11
                                        ; implicit-def: $vgpr11
	s_and_saveexec_b32 s11, vcc_lo
	s_xor_b32 s11, exec_lo, s11
; %bb.1245:                             ;   in Loop: Header=BB4_775 Depth=1
	v_bfe_u32 v11, v83, 16, 1
	s_delay_alu instid0(VALU_DEP_1)
	v_add3_u32 v11, v83, v11, 0x7fff
                                        ; implicit-def: $vgpr83
; %bb.1246:                             ;   in Loop: Header=BB4_775 Depth=1
	s_and_not1_saveexec_b32 s11, s11
; %bb.1247:                             ;   in Loop: Header=BB4_775 Depth=1
	v_and_b32_e32 v11, 0xffff, v83
	v_or_b32_e32 v113, 0x10000, v83
	s_delay_alu instid0(VALU_DEP_2) | instskip(NEXT) | instid1(VALU_DEP_2)
	v_cmp_eq_u32_e32 vcc_lo, 0, v11
	v_cndmask_b32_e32 v11, v113, v83, vcc_lo
; %bb.1248:                             ;   in Loop: Header=BB4_775 Depth=1
	s_or_b32 exec_lo, exec_lo, s11
	v_and_b32_e32 v83, 0xffff0000, v118
	v_lshlrev_b32_e32 v113, 16, v12
	s_delay_alu instid0(VALU_DEP_1) | instskip(NEXT) | instid1(VALU_DEP_1)
	v_add_f32_e32 v113, v83, v113
	v_and_b32_e32 v83, 0x7f800000, v113
	s_delay_alu instid0(VALU_DEP_1) | instskip(SKIP_1) | instid1(SALU_CYCLE_1)
	v_cmp_ne_u32_e32 vcc_lo, 0x7f800000, v83
                                        ; implicit-def: $vgpr83
	s_and_saveexec_b32 s11, vcc_lo
	s_xor_b32 s11, exec_lo, s11
; %bb.1249:                             ;   in Loop: Header=BB4_775 Depth=1
	v_bfe_u32 v83, v113, 16, 1
	s_delay_alu instid0(VALU_DEP_1)
	v_add3_u32 v83, v113, v83, 0x7fff
                                        ; implicit-def: $vgpr113
; %bb.1250:                             ;   in Loop: Header=BB4_775 Depth=1
	s_and_not1_saveexec_b32 s11, s11
; %bb.1251:                             ;   in Loop: Header=BB4_775 Depth=1
	v_and_b32_e32 v83, 0xffff, v113
	v_or_b32_e32 v118, 0x10000, v113
	s_delay_alu instid0(VALU_DEP_2) | instskip(NEXT) | instid1(VALU_DEP_2)
	v_cmp_eq_u32_e32 vcc_lo, 0, v83
	v_cndmask_b32_e32 v83, v118, v113, vcc_lo
; %bb.1252:                             ;   in Loop: Header=BB4_775 Depth=1
	s_or_b32 exec_lo, exec_lo, s11
	v_and_b32_e32 v12, 0xffff0000, v12
	v_and_b32_e32 v96, 0xffff0000, v96
	s_delay_alu instid0(VALU_DEP_1) | instskip(NEXT) | instid1(VALU_DEP_1)
	v_add_f32_e32 v96, v96, v12
	v_and_b32_e32 v12, 0x7f800000, v96
	s_delay_alu instid0(VALU_DEP_1) | instskip(SKIP_1) | instid1(SALU_CYCLE_1)
	v_cmp_ne_u32_e32 vcc_lo, 0x7f800000, v12
                                        ; implicit-def: $vgpr12
	s_and_saveexec_b32 s11, vcc_lo
	s_xor_b32 s11, exec_lo, s11
; %bb.1253:                             ;   in Loop: Header=BB4_775 Depth=1
	v_bfe_u32 v12, v96, 16, 1
	s_delay_alu instid0(VALU_DEP_1)
	v_add3_u32 v12, v96, v12, 0x7fff
                                        ; implicit-def: $vgpr96
; %bb.1254:                             ;   in Loop: Header=BB4_775 Depth=1
	s_and_not1_saveexec_b32 s11, s11
; %bb.1255:                             ;   in Loop: Header=BB4_775 Depth=1
	v_and_b32_e32 v12, 0xffff, v96
	v_or_b32_e32 v113, 0x10000, v96
	s_delay_alu instid0(VALU_DEP_2) | instskip(NEXT) | instid1(VALU_DEP_2)
	v_cmp_eq_u32_e32 vcc_lo, 0, v12
	v_cndmask_b32_e32 v12, v113, v96, vcc_lo
; %bb.1256:                             ;   in Loop: Header=BB4_775 Depth=1
	s_or_b32 exec_lo, exec_lo, s11
	v_and_b32_e32 v96, 0xffff0000, v97
	v_lshlrev_b32_e32 v97, 16, v13
	s_delay_alu instid0(VALU_DEP_1) | instskip(NEXT) | instid1(VALU_DEP_1)
	v_add_f32_e32 v97, v96, v97
	v_and_b32_e32 v96, 0x7f800000, v97
	s_delay_alu instid0(VALU_DEP_1) | instskip(SKIP_1) | instid1(SALU_CYCLE_1)
	v_cmp_ne_u32_e32 vcc_lo, 0x7f800000, v96
                                        ; implicit-def: $vgpr96
	s_and_saveexec_b32 s11, vcc_lo
	s_xor_b32 s11, exec_lo, s11
; %bb.1257:                             ;   in Loop: Header=BB4_775 Depth=1
	v_bfe_u32 v96, v97, 16, 1
	s_delay_alu instid0(VALU_DEP_1)
	v_add3_u32 v96, v97, v96, 0x7fff
                                        ; implicit-def: $vgpr97
; %bb.1258:                             ;   in Loop: Header=BB4_775 Depth=1
	s_and_not1_saveexec_b32 s11, s11
; %bb.1259:                             ;   in Loop: Header=BB4_775 Depth=1
	v_and_b32_e32 v96, 0xffff, v97
	v_or_b32_e32 v113, 0x10000, v97
	s_delay_alu instid0(VALU_DEP_2) | instskip(NEXT) | instid1(VALU_DEP_2)
	v_cmp_eq_u32_e32 vcc_lo, 0, v96
	v_cndmask_b32_e32 v96, v113, v97, vcc_lo
; %bb.1260:                             ;   in Loop: Header=BB4_775 Depth=1
	s_or_b32 exec_lo, exec_lo, s11
	v_and_b32_e32 v13, 0xffff0000, v13
	v_and_b32_e32 v86, 0xffff0000, v86
	s_delay_alu instid0(VALU_DEP_1) | instskip(NEXT) | instid1(VALU_DEP_1)
	v_add_f32_e32 v86, v86, v13
	v_and_b32_e32 v13, 0x7f800000, v86
	s_delay_alu instid0(VALU_DEP_1) | instskip(SKIP_1) | instid1(SALU_CYCLE_1)
	v_cmp_ne_u32_e32 vcc_lo, 0x7f800000, v13
                                        ; implicit-def: $vgpr13
	s_and_saveexec_b32 s11, vcc_lo
	s_xor_b32 s11, exec_lo, s11
; %bb.1261:                             ;   in Loop: Header=BB4_775 Depth=1
	v_bfe_u32 v13, v86, 16, 1
	s_delay_alu instid0(VALU_DEP_1)
	v_add3_u32 v13, v86, v13, 0x7fff
                                        ; implicit-def: $vgpr86
; %bb.1262:                             ;   in Loop: Header=BB4_775 Depth=1
	s_and_not1_saveexec_b32 s11, s11
; %bb.1263:                             ;   in Loop: Header=BB4_775 Depth=1
	v_and_b32_e32 v13, 0xffff, v86
	v_or_b32_e32 v97, 0x10000, v86
	s_delay_alu instid0(VALU_DEP_2) | instskip(NEXT) | instid1(VALU_DEP_2)
	v_cmp_eq_u32_e32 vcc_lo, 0, v13
	v_cndmask_b32_e32 v13, v97, v86, vcc_lo
; %bb.1264:                             ;   in Loop: Header=BB4_775 Depth=1
	s_or_b32 exec_lo, exec_lo, s11
	v_dual_lshrrev_b32 v82, 16, v82 :: v_dual_lshrrev_b32 v86, 16, v87
	v_dual_lshrrev_b32 v83, 16, v83 :: v_dual_lshrrev_b32 v87, 16, v96
	s_delay_alu instid0(VALU_DEP_2) | instskip(NEXT) | instid1(VALU_DEP_3)
	v_and_or_b32 v11, 0xffff0000, v11, v82
	v_and_or_b32 v10, 0xffff0000, v10, v86
	s_delay_alu instid0(VALU_DEP_3) | instskip(NEXT) | instid1(VALU_DEP_4)
	v_and_or_b32 v12, 0xffff0000, v12, v83
	v_and_or_b32 v13, 0xffff0000, v13, v87
	global_store_b128 v[84:85], v[10:13], off th:TH_STORE_NT
.LBB4_1265:                             ;   in Loop: Header=BB4_775 Depth=1
	s_wait_xcnt 0x0
	s_or_b32 exec_lo, exec_lo, s10
	v_and_b32_e32 v11, 14, v98
	s_mov_b32 s11, s28
	s_mov_b32 s10, exec_lo
                                        ; implicit-def: $vgpr96
                                        ; implicit-def: $vgpr10
                                        ; implicit-def: $vgpr97
	s_delay_alu instid0(VALU_DEP_1) | instskip(NEXT) | instid1(VALU_DEP_1)
	v_cndmask_b32_e64 v113, v116, v11, s7
	v_cmpx_ne_u32_e32 0, v113
	s_cbranch_execz .LBB4_1267
; %bb.1266:                             ;   in Loop: Header=BB4_775 Depth=1
	v_cmp_lt_i32_e32 vcc_lo, 0, v117
	s_or_b32 s11, s28, exec_lo
	v_dual_cndmask_b32 v10, 0, v14 :: v_dual_sub_nc_u32 v11, v116, v11
	s_delay_alu instid0(VALU_DEP_1) | instskip(NEXT) | instid1(VALU_DEP_1)
	v_dual_cndmask_b32 v11, 0, v11, s7 :: v_dual_sub_nc_u32 v10, v10, v117
	v_add3_u32 v96, v114, v99, v11
	s_delay_alu instid0(VALU_DEP_2) | instskip(NEXT) | instid1(VALU_DEP_1)
	v_lshl_add_u32 v10, v10, 5, v115
	v_ashrrev_i32_e32 v12, 31, v10
	s_delay_alu instid0(VALU_DEP_1) | instskip(NEXT) | instid1(VALU_DEP_1)
	v_lshrrev_b32_e32 v12, 27, v12
	v_add_nc_u32_e32 v12, v10, v12
	s_delay_alu instid0(VALU_DEP_1) | instskip(NEXT) | instid1(VALU_DEP_1)
	v_and_b32_e32 v12, 0xffffffe0, v12
	v_sub_nc_u32_e32 v97, v10, v12
.LBB4_1267:                             ;   in Loop: Header=BB4_775 Depth=1
	s_or_b32 exec_lo, exec_lo, s10
	s_delay_alu instid0(SALU_CYCLE_1) | instskip(SKIP_1) | instid1(SALU_CYCLE_1)
	s_and_not1_b32 s7, s28, exec_lo
	s_and_b32 s10, s11, exec_lo
	s_or_b32 s28, s7, s10
.LBB4_1268:                             ;   in Loop: Header=BB4_775 Depth=1
	s_or_b32 exec_lo, exec_lo, s29
	s_and_saveexec_b32 s11, s28
	s_cbranch_execz .LBB4_1412
.LBB4_1269:                             ;   in Loop: Header=BB4_775 Depth=1
	s_delay_alu instid0(VALU_DEP_1) | instskip(SKIP_2) | instid1(VALU_DEP_3)
	v_dual_ashrrev_i32 v11, 31, v10 :: v_dual_ashrrev_i32 v12, 31, v113
	v_dual_mov_b32 v119, 0 :: v_dual_mov_b32 v118, 0
	v_dual_mov_b32 v85, 0 :: v_dual_mov_b32 v84, 0
	v_lshrrev_b32_e32 v11, 27, v11
	s_mov_b32 s10, 0
	s_mov_b32 s7, exec_lo
	v_dual_mov_b32 v87, 0 :: v_dual_mov_b32 v86, 0
	s_delay_alu instid0(VALU_DEP_2) | instskip(NEXT) | instid1(VALU_DEP_1)
	v_dual_add_nc_u32 v10, v10, v11 :: v_dual_lshrrev_b32 v11, 24, v12
	v_dual_lshlrev_b32 v12, 1, v97 :: v_dual_ashrrev_i32 v10, 5, v10
	s_delay_alu instid0(VALU_DEP_1) | instskip(NEXT) | instid1(VALU_DEP_1)
	v_dual_add_nc_u32 v11, v113, v11 :: v_dual_lshlrev_b32 v13, 8, v10
	v_ashrrev_i32_e32 v98, 8, v11
	s_wait_dscnt 0x0
	s_delay_alu instid0(VALU_DEP_2) | instskip(NEXT) | instid1(VALU_DEP_2)
	v_add3_u32 v82, v96, v12, v13
	v_dual_sub_nc_u32 v99, v98, v10 :: v_dual_mov_b32 v13, 0
	s_delay_alu instid0(VALU_DEP_2) | instskip(NEXT) | instid1(VALU_DEP_1)
	v_dual_mov_b32 v12, 0 :: v_dual_ashrrev_i32 v83, 31, v82
	v_add_nc_u64_e32 v[10:11], v[80:81], v[82:83]
	s_delay_alu instid0(VALU_DEP_3)
	v_cmpx_lt_i32_e32 0, v99
	s_cbranch_execz .LBB4_1341
; %bb.1270:                             ;   in Loop: Header=BB4_775 Depth=1
	s_trap 2
	ds_load_b64 v[84:85], v0
	v_add_nc_u64_e32 v[12:13], v[82:83], v[70:71]
	s_mov_b32 s13, 0
	s_mov_b32 s12, 0
                                        ; implicit-def: $sgpr10
                                        ; implicit-def: $vgpr47
                                        ; implicit-def: $vgpr45
                                        ; implicit-def: $vgpr43
                                        ; implicit-def: $vgpr40
                                        ; implicit-def: $vgpr114
                                        ; implicit-def: $vgpr115
                                        ; implicit-def: $vgpr116
                                        ; implicit-def: $vgpr117
	s_wait_dscnt 0x0
	v_add_nc_u64_e32 v[82:83], v[84:85], v[82:83]
	s_branch .LBB4_1272
.LBB4_1271:                             ;   in Loop: Header=BB4_1272 Depth=2
	s_or_b32 exec_lo, exec_lo, s28
	v_dual_cndmask_b32 v41, 0, v14, s13 :: v_dual_cndmask_b32 v59, 0, v55, s13
	v_add_nc_u64_e32 v[118:119], v[12:13], v[20:21]
	v_add_nc_u64_e32 v[56:57], v[82:83], v[20:21]
	v_cndmask_b32_e64 v58, 0x100, v54, s13
	s_delay_alu instid0(VALU_DEP_4)
	v_sub_nc_u32_e32 v99, v99, v41
	s_clause 0x3
	flat_store_d16_hi_b16 v[10:11], v84 th:TH_STORE_NT
	flat_store_d16_hi_b16 v[10:11], v87 offset:64 th:TH_STORE_NT
	flat_store_d16_hi_b16 v[10:11], v86 offset:128 th:TH_STORE_NT
	;; [unrolled: 1-line block ×3, first 2 shown]
	v_cndmask_b32_e64 v13, v13, v119, s13
	v_cmp_gt_i32_e32 vcc_lo, 1, v99
	s_wait_xcnt 0x0
	v_add_nc_u64_e32 v[10:11], v[10:11], v[58:59]
	v_dual_cndmask_b32 v12, v12, v118, s13 :: v_dual_cndmask_b32 v83, v83, v57, s13
	v_cndmask_b32_e64 v82, v82, v56, s13
	s_or_b32 s12, vcc_lo, s12
	s_and_not1_b32 s10, s10, exec_lo
	s_and_b32 s28, s13, exec_lo
	s_delay_alu instid0(SALU_CYCLE_1)
	s_or_b32 s10, s10, s28
	s_and_not1_b32 exec_lo, exec_lo, s12
	s_cbranch_execz .LBB4_1340
.LBB4_1272:                             ;   Parent Loop BB4_775 Depth=1
                                        ; =>  This Inner Loop Header: Depth=2
	s_clause 0x3
	flat_load_u16 v58, v[12:13] th:TH_LOAD_NT
	flat_load_u16 v57, v[12:13] offset:64 th:TH_LOAD_NT
	flat_load_u16 v56, v[12:13] offset:128 th:TH_LOAD_NT
	;; [unrolled: 1-line block ×3, first 2 shown]
	s_clause 0x3
	flat_load_u16 v44, v[82:83] th:TH_LOAD_NT
	flat_load_u16 v41, v[82:83] offset:64 th:TH_LOAD_NT
	flat_load_u16 v119, v[82:83] offset:128 th:TH_LOAD_NT
	;; [unrolled: 1-line block ×3, first 2 shown]
	s_wait_xcnt 0x0
	s_and_saveexec_b32 s28, s13
	s_cbranch_execz .LBB4_1306
; %bb.1273:                             ;   in Loop: Header=BB4_1272 Depth=2
	s_trap 2
	ds_load_b32 v84, v0
	s_wait_dscnt 0x0
	v_dual_lshlrev_b32 v85, 16, v84 :: v_dual_lshlrev_b32 v84, 16, v47
	s_delay_alu instid0(VALU_DEP_1) | instskip(NEXT) | instid1(VALU_DEP_1)
	v_mov_b32_e32 v86, v85
	v_pk_mul_f32 v[86:87], v[86:87], v[84:85]
	s_delay_alu instid0(VALU_DEP_1) | instskip(NEXT) | instid1(VALU_DEP_1)
	v_and_b32_e32 v84, 0x7f800000, v86
	v_cmp_ne_u32_e32 vcc_lo, 0x7f800000, v84
                                        ; implicit-def: $vgpr84
	s_and_saveexec_b32 s13, vcc_lo
	s_delay_alu instid0(SALU_CYCLE_1)
	s_xor_b32 s13, exec_lo, s13
; %bb.1274:                             ;   in Loop: Header=BB4_1272 Depth=2
	v_bfe_u32 v84, v86, 16, 1
	s_delay_alu instid0(VALU_DEP_1)
	v_add3_u32 v84, v86, v84, 0x7fff
                                        ; implicit-def: $vgpr86_vgpr87
; %bb.1275:                             ;   in Loop: Header=BB4_1272 Depth=2
	s_and_not1_saveexec_b32 s13, s13
; %bb.1276:                             ;   in Loop: Header=BB4_1272 Depth=2
	v_and_b32_e32 v84, 0xffff, v86
	v_or_b32_e32 v87, 0x10000, v86
	s_delay_alu instid0(VALU_DEP_2) | instskip(NEXT) | instid1(VALU_DEP_2)
	v_cmp_eq_u32_e32 vcc_lo, 0, v84
	v_cndmask_b32_e32 v84, v87, v86, vcc_lo
; %bb.1277:                             ;   in Loop: Header=BB4_1272 Depth=2
	s_or_b32 exec_lo, exec_lo, s13
	v_lshlrev_b32_e32 v86, 16, v45
	s_delay_alu instid0(VALU_DEP_1) | instskip(NEXT) | instid1(VALU_DEP_1)
	v_mul_f32_e32 v86, v85, v86
	v_and_b32_e32 v87, 0x7f800000, v86
	s_delay_alu instid0(VALU_DEP_1) | instskip(SKIP_1) | instid1(SALU_CYCLE_1)
	v_cmp_ne_u32_e32 vcc_lo, 0x7f800000, v87
                                        ; implicit-def: $vgpr87
	s_and_saveexec_b32 s13, vcc_lo
	s_xor_b32 s13, exec_lo, s13
; %bb.1278:                             ;   in Loop: Header=BB4_1272 Depth=2
	v_bfe_u32 v87, v86, 16, 1
	s_delay_alu instid0(VALU_DEP_1)
	v_add3_u32 v87, v86, v87, 0x7fff
                                        ; implicit-def: $vgpr86
; %bb.1279:                             ;   in Loop: Header=BB4_1272 Depth=2
	s_and_not1_saveexec_b32 s13, s13
; %bb.1280:                             ;   in Loop: Header=BB4_1272 Depth=2
	v_and_b32_e32 v87, 0xffff, v86
	v_or_b32_e32 v45, 0x10000, v86
	s_delay_alu instid0(VALU_DEP_2) | instskip(NEXT) | instid1(VALU_DEP_2)
	v_cmp_eq_u32_e32 vcc_lo, 0, v87
	v_cndmask_b32_e32 v87, v45, v86, vcc_lo
; %bb.1281:                             ;   in Loop: Header=BB4_1272 Depth=2
	s_or_b32 exec_lo, exec_lo, s13
	v_lshlrev_b32_e32 v86, 16, v43
	s_delay_alu instid0(VALU_DEP_1) | instskip(NEXT) | instid1(VALU_DEP_1)
	v_mul_f32_e32 v43, v85, v86
	v_and_b32_e32 v86, 0x7f800000, v43
	s_delay_alu instid0(VALU_DEP_1) | instskip(SKIP_1) | instid1(SALU_CYCLE_1)
	v_cmp_ne_u32_e32 vcc_lo, 0x7f800000, v86
                                        ; implicit-def: $vgpr86
	s_and_saveexec_b32 s13, vcc_lo
	s_xor_b32 s13, exec_lo, s13
; %bb.1282:                             ;   in Loop: Header=BB4_1272 Depth=2
	v_bfe_u32 v86, v43, 16, 1
	s_delay_alu instid0(VALU_DEP_1)
	v_add3_u32 v86, v43, v86, 0x7fff
                                        ; implicit-def: $vgpr43
; %bb.1283:                             ;   in Loop: Header=BB4_1272 Depth=2
	s_and_not1_saveexec_b32 s13, s13
; %bb.1284:                             ;   in Loop: Header=BB4_1272 Depth=2
	v_and_b32_e32 v86, 0xffff, v43
	v_or_b32_e32 v45, 0x10000, v43
	s_delay_alu instid0(VALU_DEP_2) | instskip(NEXT) | instid1(VALU_DEP_2)
	v_cmp_eq_u32_e32 vcc_lo, 0, v86
	v_cndmask_b32_e32 v86, v45, v43, vcc_lo
; %bb.1285:                             ;   in Loop: Header=BB4_1272 Depth=2
	s_or_b32 exec_lo, exec_lo, s13
	v_lshlrev_b32_e32 v40, 16, v40
	s_delay_alu instid0(VALU_DEP_1) | instskip(NEXT) | instid1(VALU_DEP_1)
	v_mul_f32_e32 v40, v85, v40
	v_and_b32_e32 v85, 0x7f800000, v40
	s_delay_alu instid0(VALU_DEP_1) | instskip(SKIP_1) | instid1(SALU_CYCLE_1)
	v_cmp_ne_u32_e32 vcc_lo, 0x7f800000, v85
                                        ; implicit-def: $vgpr85
	s_and_saveexec_b32 s13, vcc_lo
	s_xor_b32 s13, exec_lo, s13
; %bb.1286:                             ;   in Loop: Header=BB4_1272 Depth=2
	v_bfe_u32 v85, v40, 16, 1
	s_delay_alu instid0(VALU_DEP_1)
	v_add3_u32 v85, v40, v85, 0x7fff
                                        ; implicit-def: $vgpr40
; %bb.1287:                             ;   in Loop: Header=BB4_1272 Depth=2
	s_and_not1_saveexec_b32 s13, s13
; %bb.1288:                             ;   in Loop: Header=BB4_1272 Depth=2
	v_and_b32_e32 v85, 0xffff, v40
	v_or_b32_e32 v43, 0x10000, v40
	s_delay_alu instid0(VALU_DEP_2) | instskip(NEXT) | instid1(VALU_DEP_2)
	v_cmp_eq_u32_e32 vcc_lo, 0, v85
	v_cndmask_b32_e32 v85, v43, v40, vcc_lo
; %bb.1289:                             ;   in Loop: Header=BB4_1272 Depth=2
	s_or_b32 exec_lo, exec_lo, s13
	v_and_b32_e32 v84, 0xffff0000, v84
	v_lshlrev_b32_e32 v40, 16, v114
	s_delay_alu instid0(VALU_DEP_1) | instskip(NEXT) | instid1(VALU_DEP_1)
	v_add_f32_e32 v40, v40, v84
	v_and_b32_e32 v84, 0x7f800000, v40
	s_delay_alu instid0(VALU_DEP_1) | instskip(SKIP_1) | instid1(SALU_CYCLE_1)
	v_cmp_ne_u32_e32 vcc_lo, 0x7f800000, v84
                                        ; implicit-def: $vgpr84
	s_and_saveexec_b32 s13, vcc_lo
	s_xor_b32 s13, exec_lo, s13
; %bb.1290:                             ;   in Loop: Header=BB4_1272 Depth=2
	v_bfe_u32 v84, v40, 16, 1
	s_delay_alu instid0(VALU_DEP_1)
	v_add3_u32 v84, v40, v84, 0x7fff
                                        ; implicit-def: $vgpr40
; %bb.1291:                             ;   in Loop: Header=BB4_1272 Depth=2
	s_and_not1_saveexec_b32 s13, s13
; %bb.1292:                             ;   in Loop: Header=BB4_1272 Depth=2
	v_and_b32_e32 v84, 0xffff, v40
	v_or_b32_e32 v43, 0x10000, v40
	s_delay_alu instid0(VALU_DEP_2) | instskip(NEXT) | instid1(VALU_DEP_2)
	v_cmp_eq_u32_e32 vcc_lo, 0, v84
	v_cndmask_b32_e32 v84, v43, v40, vcc_lo
; %bb.1293:                             ;   in Loop: Header=BB4_1272 Depth=2
	s_or_b32 exec_lo, exec_lo, s13
	v_and_b32_e32 v87, 0xffff0000, v87
	v_lshlrev_b32_e32 v40, 16, v115
	s_delay_alu instid0(VALU_DEP_1) | instskip(NEXT) | instid1(VALU_DEP_1)
	v_add_f32_e32 v40, v40, v87
	v_and_b32_e32 v87, 0x7f800000, v40
	s_delay_alu instid0(VALU_DEP_1) | instskip(SKIP_1) | instid1(SALU_CYCLE_1)
	v_cmp_ne_u32_e32 vcc_lo, 0x7f800000, v87
                                        ; implicit-def: $vgpr87
	s_and_saveexec_b32 s13, vcc_lo
	s_xor_b32 s13, exec_lo, s13
; %bb.1294:                             ;   in Loop: Header=BB4_1272 Depth=2
	v_bfe_u32 v87, v40, 16, 1
	s_delay_alu instid0(VALU_DEP_1)
	v_add3_u32 v87, v40, v87, 0x7fff
                                        ; implicit-def: $vgpr40
; %bb.1295:                             ;   in Loop: Header=BB4_1272 Depth=2
	s_and_not1_saveexec_b32 s13, s13
; %bb.1296:                             ;   in Loop: Header=BB4_1272 Depth=2
	v_and_b32_e32 v87, 0xffff, v40
	v_or_b32_e32 v43, 0x10000, v40
	s_delay_alu instid0(VALU_DEP_2) | instskip(NEXT) | instid1(VALU_DEP_2)
	v_cmp_eq_u32_e32 vcc_lo, 0, v87
	v_cndmask_b32_e32 v87, v43, v40, vcc_lo
; %bb.1297:                             ;   in Loop: Header=BB4_1272 Depth=2
	s_or_b32 exec_lo, exec_lo, s13
	v_and_b32_e32 v86, 0xffff0000, v86
	v_lshlrev_b32_e32 v40, 16, v116
	s_delay_alu instid0(VALU_DEP_1) | instskip(NEXT) | instid1(VALU_DEP_1)
	v_add_f32_e32 v40, v40, v86
	v_and_b32_e32 v86, 0x7f800000, v40
	s_delay_alu instid0(VALU_DEP_1) | instskip(SKIP_1) | instid1(SALU_CYCLE_1)
	v_cmp_ne_u32_e32 vcc_lo, 0x7f800000, v86
                                        ; implicit-def: $vgpr86
	s_and_saveexec_b32 s13, vcc_lo
	s_xor_b32 s13, exec_lo, s13
; %bb.1298:                             ;   in Loop: Header=BB4_1272 Depth=2
	v_bfe_u32 v86, v40, 16, 1
	s_delay_alu instid0(VALU_DEP_1)
	v_add3_u32 v86, v40, v86, 0x7fff
                                        ; implicit-def: $vgpr40
; %bb.1299:                             ;   in Loop: Header=BB4_1272 Depth=2
	s_and_not1_saveexec_b32 s13, s13
; %bb.1300:                             ;   in Loop: Header=BB4_1272 Depth=2
	v_and_b32_e32 v86, 0xffff, v40
	v_or_b32_e32 v43, 0x10000, v40
	s_delay_alu instid0(VALU_DEP_2) | instskip(NEXT) | instid1(VALU_DEP_2)
	v_cmp_eq_u32_e32 vcc_lo, 0, v86
	v_cndmask_b32_e32 v86, v43, v40, vcc_lo
; %bb.1301:                             ;   in Loop: Header=BB4_1272 Depth=2
	s_or_b32 exec_lo, exec_lo, s13
	v_and_b32_e32 v85, 0xffff0000, v85
	v_lshlrev_b32_e32 v40, 16, v117
	s_delay_alu instid0(VALU_DEP_1) | instskip(NEXT) | instid1(VALU_DEP_1)
	v_add_f32_e32 v40, v40, v85
	v_and_b32_e32 v85, 0x7f800000, v40
	s_delay_alu instid0(VALU_DEP_1) | instskip(SKIP_1) | instid1(SALU_CYCLE_1)
	v_cmp_ne_u32_e32 vcc_lo, 0x7f800000, v85
                                        ; implicit-def: $vgpr85
	s_and_saveexec_b32 s13, vcc_lo
	s_xor_b32 s13, exec_lo, s13
; %bb.1302:                             ;   in Loop: Header=BB4_1272 Depth=2
	v_bfe_u32 v85, v40, 16, 1
	s_delay_alu instid0(VALU_DEP_1)
	v_add3_u32 v85, v40, v85, 0x7fff
                                        ; implicit-def: $vgpr40
; %bb.1303:                             ;   in Loop: Header=BB4_1272 Depth=2
	s_and_not1_saveexec_b32 s13, s13
; %bb.1304:                             ;   in Loop: Header=BB4_1272 Depth=2
	v_and_b32_e32 v85, 0xffff, v40
	v_or_b32_e32 v43, 0x10000, v40
	s_delay_alu instid0(VALU_DEP_2) | instskip(NEXT) | instid1(VALU_DEP_2)
	v_cmp_eq_u32_e32 vcc_lo, 0, v85
	v_cndmask_b32_e32 v85, v43, v40, vcc_lo
; %bb.1305:                             ;   in Loop: Header=BB4_1272 Depth=2
	s_or_b32 exec_lo, exec_lo, s13
	v_dual_lshrrev_b32 v47, 16, v84 :: v_dual_lshrrev_b32 v45, 16, v87
	s_delay_alu instid0(VALU_DEP_2)
	v_dual_lshrrev_b32 v43, 16, v86 :: v_dual_lshrrev_b32 v40, 16, v85
	s_clause 0x3
	flat_store_b16 v[10:11], v47 th:TH_STORE_NT
	flat_store_b16 v[10:11], v45 offset:64 th:TH_STORE_NT
	flat_store_b16 v[10:11], v43 offset:128 th:TH_STORE_NT
	;; [unrolled: 1-line block ×3, first 2 shown]
	s_wait_xcnt 0x0
	v_add_nc_u64_e32 v[10:11], v[10:11], v[54:55]
.LBB4_1306:                             ;   in Loop: Header=BB4_1272 Depth=2
	s_or_b32 exec_lo, exec_lo, s28
	v_sub_nc_u32_e32 v99, v99, v14
	v_add_nc_u64_e32 v[12:13], v[12:13], v[54:55]
	v_add_nc_u64_e32 v[82:83], v[82:83], v[54:55]
	s_delay_alu instid0(VALU_DEP_3)
	v_cmp_lt_i32_e64 s13, 0, v99
	s_and_saveexec_b32 s28, s13
	s_cbranch_execz .LBB4_1308
; %bb.1307:                             ;   in Loop: Header=BB4_1272 Depth=2
	s_clause 0x3
	flat_load_u16 v47, v[12:13] th:TH_LOAD_NT
	flat_load_u16 v45, v[12:13] offset:64 th:TH_LOAD_NT
	flat_load_u16 v43, v[12:13] offset:128 th:TH_LOAD_NT
	;; [unrolled: 1-line block ×3, first 2 shown]
	s_clause 0x3
	flat_load_u16 v114, v[82:83] th:TH_LOAD_NT
	flat_load_u16 v115, v[82:83] offset:64 th:TH_LOAD_NT
	flat_load_u16 v116, v[82:83] offset:128 th:TH_LOAD_NT
	;; [unrolled: 1-line block ×3, first 2 shown]
	s_wait_xcnt 0x4
	v_add_nc_u64_e32 v[12:13], 0x100, v[12:13]
	s_wait_xcnt 0x0
	v_add_nc_u64_e32 v[82:83], 0x100, v[82:83]
.LBB4_1308:                             ;   in Loop: Header=BB4_1272 Depth=2
	s_or_b32 exec_lo, exec_lo, s28
	s_trap 2
	ds_load_b32 v84, v0
	s_wait_loadcnt_dscnt 0x700
	v_dual_lshlrev_b32 v85, 16, v84 :: v_dual_lshlrev_b32 v84, 16, v58
	s_delay_alu instid0(VALU_DEP_1) | instskip(NEXT) | instid1(VALU_DEP_1)
	v_mov_b32_e32 v86, v85
	v_pk_mul_f32 v[86:87], v[86:87], v[84:85]
	s_delay_alu instid0(VALU_DEP_1) | instskip(NEXT) | instid1(VALU_DEP_1)
	v_and_b32_e32 v84, 0x7f800000, v86
	v_cmp_ne_u32_e32 vcc_lo, 0x7f800000, v84
                                        ; implicit-def: $vgpr84
	s_and_saveexec_b32 s28, vcc_lo
	s_delay_alu instid0(SALU_CYCLE_1)
	s_xor_b32 s28, exec_lo, s28
; %bb.1309:                             ;   in Loop: Header=BB4_1272 Depth=2
	v_bfe_u32 v84, v86, 16, 1
	s_delay_alu instid0(VALU_DEP_1)
	v_add3_u32 v84, v86, v84, 0x7fff
                                        ; implicit-def: $vgpr86_vgpr87
; %bb.1310:                             ;   in Loop: Header=BB4_1272 Depth=2
	s_and_not1_saveexec_b32 s28, s28
; %bb.1311:                             ;   in Loop: Header=BB4_1272 Depth=2
	v_and_b32_e32 v84, 0xffff, v86
	v_or_b32_e32 v87, 0x10000, v86
	s_delay_alu instid0(VALU_DEP_2) | instskip(NEXT) | instid1(VALU_DEP_2)
	v_cmp_eq_u32_e32 vcc_lo, 0, v84
	v_cndmask_b32_e32 v84, v87, v86, vcc_lo
; %bb.1312:                             ;   in Loop: Header=BB4_1272 Depth=2
	s_or_b32 exec_lo, exec_lo, s28
	s_wait_loadcnt 0x6
	v_lshlrev_b32_e32 v86, 16, v57
	s_delay_alu instid0(VALU_DEP_1) | instskip(NEXT) | instid1(VALU_DEP_1)
	v_mul_f32_e32 v86, v85, v86
	v_and_b32_e32 v87, 0x7f800000, v86
	s_delay_alu instid0(VALU_DEP_1) | instskip(SKIP_1) | instid1(SALU_CYCLE_1)
	v_cmp_ne_u32_e32 vcc_lo, 0x7f800000, v87
                                        ; implicit-def: $vgpr87
	s_and_saveexec_b32 s28, vcc_lo
	s_xor_b32 s28, exec_lo, s28
; %bb.1313:                             ;   in Loop: Header=BB4_1272 Depth=2
	v_bfe_u32 v87, v86, 16, 1
	s_delay_alu instid0(VALU_DEP_1)
	v_add3_u32 v87, v86, v87, 0x7fff
                                        ; implicit-def: $vgpr86
; %bb.1314:                             ;   in Loop: Header=BB4_1272 Depth=2
	s_and_not1_saveexec_b32 s28, s28
; %bb.1315:                             ;   in Loop: Header=BB4_1272 Depth=2
	v_and_b32_e32 v87, 0xffff, v86
	v_or_b32_e32 v57, 0x10000, v86
	s_delay_alu instid0(VALU_DEP_2) | instskip(NEXT) | instid1(VALU_DEP_2)
	v_cmp_eq_u32_e32 vcc_lo, 0, v87
	v_cndmask_b32_e32 v87, v57, v86, vcc_lo
; %bb.1316:                             ;   in Loop: Header=BB4_1272 Depth=2
	s_or_b32 exec_lo, exec_lo, s28
	s_wait_loadcnt 0x5
	v_lshlrev_b32_e32 v86, 16, v56
	s_delay_alu instid0(VALU_DEP_1) | instskip(NEXT) | instid1(VALU_DEP_1)
	v_mul_f32_e32 v56, v85, v86
	v_and_b32_e32 v86, 0x7f800000, v56
	s_delay_alu instid0(VALU_DEP_1) | instskip(SKIP_1) | instid1(SALU_CYCLE_1)
	v_cmp_ne_u32_e32 vcc_lo, 0x7f800000, v86
                                        ; implicit-def: $vgpr86
	s_and_saveexec_b32 s28, vcc_lo
	s_xor_b32 s28, exec_lo, s28
; %bb.1317:                             ;   in Loop: Header=BB4_1272 Depth=2
	v_bfe_u32 v86, v56, 16, 1
	s_delay_alu instid0(VALU_DEP_1)
	v_add3_u32 v86, v56, v86, 0x7fff
                                        ; implicit-def: $vgpr56
; %bb.1318:                             ;   in Loop: Header=BB4_1272 Depth=2
	s_and_not1_saveexec_b32 s28, s28
; %bb.1319:                             ;   in Loop: Header=BB4_1272 Depth=2
	v_and_b32_e32 v86, 0xffff, v56
	v_or_b32_e32 v57, 0x10000, v56
	s_delay_alu instid0(VALU_DEP_2) | instskip(NEXT) | instid1(VALU_DEP_2)
	v_cmp_eq_u32_e32 vcc_lo, 0, v86
	v_cndmask_b32_e32 v86, v57, v56, vcc_lo
; %bb.1320:                             ;   in Loop: Header=BB4_1272 Depth=2
	s_or_b32 exec_lo, exec_lo, s28
	s_wait_loadcnt 0x4
	v_lshlrev_b32_e32 v46, 16, v46
	s_delay_alu instid0(VALU_DEP_1) | instskip(NEXT) | instid1(VALU_DEP_1)
	v_mul_f32_e32 v46, v85, v46
	v_and_b32_e32 v85, 0x7f800000, v46
	s_delay_alu instid0(VALU_DEP_1) | instskip(SKIP_1) | instid1(SALU_CYCLE_1)
	v_cmp_ne_u32_e32 vcc_lo, 0x7f800000, v85
                                        ; implicit-def: $vgpr85
	s_and_saveexec_b32 s28, vcc_lo
	s_xor_b32 s28, exec_lo, s28
; %bb.1321:                             ;   in Loop: Header=BB4_1272 Depth=2
	v_bfe_u32 v85, v46, 16, 1
	s_delay_alu instid0(VALU_DEP_1)
	v_add3_u32 v85, v46, v85, 0x7fff
                                        ; implicit-def: $vgpr46
; %bb.1322:                             ;   in Loop: Header=BB4_1272 Depth=2
	s_and_not1_saveexec_b32 s28, s28
; %bb.1323:                             ;   in Loop: Header=BB4_1272 Depth=2
	v_and_b32_e32 v85, 0xffff, v46
	v_or_b32_e32 v56, 0x10000, v46
	s_delay_alu instid0(VALU_DEP_2) | instskip(NEXT) | instid1(VALU_DEP_2)
	v_cmp_eq_u32_e32 vcc_lo, 0, v85
	v_cndmask_b32_e32 v85, v56, v46, vcc_lo
; %bb.1324:                             ;   in Loop: Header=BB4_1272 Depth=2
	s_or_b32 exec_lo, exec_lo, s28
	v_and_b32_e32 v84, 0xffff0000, v84
	s_wait_loadcnt 0x3
	v_lshlrev_b32_e32 v44, 16, v44
	s_delay_alu instid0(VALU_DEP_1) | instskip(NEXT) | instid1(VALU_DEP_1)
	v_add_f32_e32 v44, v44, v84
	v_and_b32_e32 v84, 0x7f800000, v44
	s_delay_alu instid0(VALU_DEP_1) | instskip(SKIP_1) | instid1(SALU_CYCLE_1)
	v_cmp_ne_u32_e32 vcc_lo, 0x7f800000, v84
                                        ; implicit-def: $vgpr84
	s_and_saveexec_b32 s28, vcc_lo
	s_xor_b32 s28, exec_lo, s28
; %bb.1325:                             ;   in Loop: Header=BB4_1272 Depth=2
	v_bfe_u32 v84, v44, 16, 1
	s_delay_alu instid0(VALU_DEP_1)
	v_add3_u32 v84, v44, v84, 0x7fff
                                        ; implicit-def: $vgpr44
; %bb.1326:                             ;   in Loop: Header=BB4_1272 Depth=2
	s_and_not1_saveexec_b32 s28, s28
; %bb.1327:                             ;   in Loop: Header=BB4_1272 Depth=2
	v_and_b32_e32 v84, 0xffff, v44
	v_or_b32_e32 v46, 0x10000, v44
	s_delay_alu instid0(VALU_DEP_2) | instskip(NEXT) | instid1(VALU_DEP_2)
	v_cmp_eq_u32_e32 vcc_lo, 0, v84
	v_cndmask_b32_e32 v84, v46, v44, vcc_lo
; %bb.1328:                             ;   in Loop: Header=BB4_1272 Depth=2
	s_or_b32 exec_lo, exec_lo, s28
	v_and_b32_e32 v87, 0xffff0000, v87
	s_wait_loadcnt 0x2
	v_lshlrev_b32_e32 v41, 16, v41
	s_delay_alu instid0(VALU_DEP_1) | instskip(NEXT) | instid1(VALU_DEP_1)
	v_add_f32_e32 v41, v41, v87
	v_and_b32_e32 v87, 0x7f800000, v41
	s_delay_alu instid0(VALU_DEP_1) | instskip(SKIP_1) | instid1(SALU_CYCLE_1)
	v_cmp_ne_u32_e32 vcc_lo, 0x7f800000, v87
                                        ; implicit-def: $vgpr87
	s_and_saveexec_b32 s28, vcc_lo
	s_xor_b32 s28, exec_lo, s28
; %bb.1329:                             ;   in Loop: Header=BB4_1272 Depth=2
	v_bfe_u32 v87, v41, 16, 1
	s_delay_alu instid0(VALU_DEP_1)
	v_add3_u32 v87, v41, v87, 0x7fff
                                        ; implicit-def: $vgpr41
; %bb.1330:                             ;   in Loop: Header=BB4_1272 Depth=2
	s_and_not1_saveexec_b32 s28, s28
; %bb.1331:                             ;   in Loop: Header=BB4_1272 Depth=2
	v_and_b32_e32 v87, 0xffff, v41
	v_or_b32_e32 v44, 0x10000, v41
	s_delay_alu instid0(VALU_DEP_2) | instskip(NEXT) | instid1(VALU_DEP_2)
	v_cmp_eq_u32_e32 vcc_lo, 0, v87
	v_cndmask_b32_e32 v87, v44, v41, vcc_lo
; %bb.1332:                             ;   in Loop: Header=BB4_1272 Depth=2
	s_or_b32 exec_lo, exec_lo, s28
	v_and_b32_e32 v86, 0xffff0000, v86
	s_wait_loadcnt 0x1
	v_lshlrev_b32_e32 v119, 16, v119
	s_delay_alu instid0(VALU_DEP_1) | instskip(NEXT) | instid1(VALU_DEP_1)
	v_add_f32_e32 v119, v119, v86
	v_and_b32_e32 v86, 0x7f800000, v119
	s_delay_alu instid0(VALU_DEP_1) | instskip(SKIP_1) | instid1(SALU_CYCLE_1)
	v_cmp_ne_u32_e32 vcc_lo, 0x7f800000, v86
                                        ; implicit-def: $vgpr86
	s_and_saveexec_b32 s28, vcc_lo
	s_xor_b32 s28, exec_lo, s28
; %bb.1333:                             ;   in Loop: Header=BB4_1272 Depth=2
	v_bfe_u32 v86, v119, 16, 1
	s_delay_alu instid0(VALU_DEP_1)
	v_add3_u32 v86, v119, v86, 0x7fff
                                        ; implicit-def: $vgpr119
; %bb.1334:                             ;   in Loop: Header=BB4_1272 Depth=2
	s_and_not1_saveexec_b32 s28, s28
; %bb.1335:                             ;   in Loop: Header=BB4_1272 Depth=2
	v_and_b32_e32 v86, 0xffff, v119
	v_or_b32_e32 v41, 0x10000, v119
	s_delay_alu instid0(VALU_DEP_2) | instskip(NEXT) | instid1(VALU_DEP_2)
	v_cmp_eq_u32_e32 vcc_lo, 0, v86
	v_cndmask_b32_e32 v86, v41, v119, vcc_lo
; %bb.1336:                             ;   in Loop: Header=BB4_1272 Depth=2
	s_or_b32 exec_lo, exec_lo, s28
	v_and_b32_e32 v85, 0xffff0000, v85
	s_wait_loadcnt 0x0
	v_lshlrev_b32_e32 v118, 16, v118
	s_delay_alu instid0(VALU_DEP_1) | instskip(NEXT) | instid1(VALU_DEP_1)
	v_add_f32_e32 v118, v118, v85
	v_and_b32_e32 v85, 0x7f800000, v118
	s_delay_alu instid0(VALU_DEP_1) | instskip(SKIP_1) | instid1(SALU_CYCLE_1)
	v_cmp_ne_u32_e32 vcc_lo, 0x7f800000, v85
                                        ; implicit-def: $vgpr85
	s_and_saveexec_b32 s28, vcc_lo
	s_xor_b32 s28, exec_lo, s28
; %bb.1337:                             ;   in Loop: Header=BB4_1272 Depth=2
	v_bfe_u32 v85, v118, 16, 1
	s_delay_alu instid0(VALU_DEP_1)
	v_add3_u32 v85, v118, v85, 0x7fff
                                        ; implicit-def: $vgpr118
; %bb.1338:                             ;   in Loop: Header=BB4_1272 Depth=2
	s_and_not1_saveexec_b32 s28, s28
	s_cbranch_execz .LBB4_1271
; %bb.1339:                             ;   in Loop: Header=BB4_1272 Depth=2
	v_and_b32_e32 v85, 0xffff, v118
	v_or_b32_e32 v119, 0x10000, v118
	s_delay_alu instid0(VALU_DEP_2) | instskip(NEXT) | instid1(VALU_DEP_2)
	v_cmp_eq_u32_e32 vcc_lo, 0, v85
	v_cndmask_b32_e32 v85, v119, v118, vcc_lo
	s_branch .LBB4_1271
.LBB4_1340:                             ;   in Loop: Header=BB4_775 Depth=1
	s_or_b32 exec_lo, exec_lo, s12
	v_dual_lshlrev_b32 v119, 16, v47 :: v_dual_lshlrev_b32 v118, 16, v45
	v_dual_lshlrev_b32 v87, 16, v43 :: v_dual_lshlrev_b32 v86, 16, v40
	;; [unrolled: 1-line block ×4, first 2 shown]
	s_and_b32 s10, s10, exec_lo
.LBB4_1341:                             ;   in Loop: Header=BB4_775 Depth=1
	s_or_b32 exec_lo, exec_lo, s7
	s_and_saveexec_b32 s7, s10
	s_cbranch_execz .LBB4_1375
; %bb.1342:                             ;   in Loop: Header=BB4_775 Depth=1
	s_trap 2
	ds_load_b32 v82, v0
	s_wait_dscnt 0x0
	v_lshlrev_b32_e32 v82, 16, v82
	s_delay_alu instid0(VALU_DEP_1) | instskip(NEXT) | instid1(VALU_DEP_1)
	v_mul_f32_e32 v114, v119, v82
	v_and_b32_e32 v83, 0x7f800000, v114
	s_delay_alu instid0(VALU_DEP_1) | instskip(SKIP_1) | instid1(SALU_CYCLE_1)
	v_cmp_ne_u32_e32 vcc_lo, 0x7f800000, v83
                                        ; implicit-def: $vgpr83
	s_and_saveexec_b32 s10, vcc_lo
	s_xor_b32 s10, exec_lo, s10
; %bb.1343:                             ;   in Loop: Header=BB4_775 Depth=1
	v_bfe_u32 v83, v114, 16, 1
	s_delay_alu instid0(VALU_DEP_1)
	v_add3_u32 v83, v114, v83, 0x7fff
                                        ; implicit-def: $vgpr114
; %bb.1344:                             ;   in Loop: Header=BB4_775 Depth=1
	s_and_not1_saveexec_b32 s10, s10
; %bb.1345:                             ;   in Loop: Header=BB4_775 Depth=1
	v_and_b32_e32 v83, 0xffff, v114
	v_or_b32_e32 v115, 0x10000, v114
	s_delay_alu instid0(VALU_DEP_2) | instskip(NEXT) | instid1(VALU_DEP_2)
	v_cmp_eq_u32_e32 vcc_lo, 0, v83
	v_cndmask_b32_e32 v83, v115, v114, vcc_lo
; %bb.1346:                             ;   in Loop: Header=BB4_775 Depth=1
	s_or_b32 exec_lo, exec_lo, s10
	v_mul_f32_e32 v115, v118, v82
	s_delay_alu instid0(VALU_DEP_1) | instskip(NEXT) | instid1(VALU_DEP_1)
	v_and_b32_e32 v114, 0x7f800000, v115
	v_cmp_ne_u32_e32 vcc_lo, 0x7f800000, v114
                                        ; implicit-def: $vgpr114
	s_and_saveexec_b32 s10, vcc_lo
	s_delay_alu instid0(SALU_CYCLE_1)
	s_xor_b32 s10, exec_lo, s10
; %bb.1347:                             ;   in Loop: Header=BB4_775 Depth=1
	v_bfe_u32 v114, v115, 16, 1
	s_delay_alu instid0(VALU_DEP_1)
	v_add3_u32 v114, v115, v114, 0x7fff
                                        ; implicit-def: $vgpr115
; %bb.1348:                             ;   in Loop: Header=BB4_775 Depth=1
	s_and_not1_saveexec_b32 s10, s10
; %bb.1349:                             ;   in Loop: Header=BB4_775 Depth=1
	v_and_b32_e32 v114, 0xffff, v115
	v_or_b32_e32 v116, 0x10000, v115
	s_delay_alu instid0(VALU_DEP_2) | instskip(NEXT) | instid1(VALU_DEP_2)
	v_cmp_eq_u32_e32 vcc_lo, 0, v114
	v_cndmask_b32_e32 v114, v116, v115, vcc_lo
; %bb.1350:                             ;   in Loop: Header=BB4_775 Depth=1
	s_or_b32 exec_lo, exec_lo, s10
	v_mul_f32_e32 v115, v87, v82
	s_delay_alu instid0(VALU_DEP_1) | instskip(NEXT) | instid1(VALU_DEP_1)
	v_and_b32_e32 v87, 0x7f800000, v115
	v_cmp_ne_u32_e32 vcc_lo, 0x7f800000, v87
                                        ; implicit-def: $vgpr87
	s_and_saveexec_b32 s10, vcc_lo
	s_delay_alu instid0(SALU_CYCLE_1)
	s_xor_b32 s10, exec_lo, s10
; %bb.1351:                             ;   in Loop: Header=BB4_775 Depth=1
	v_bfe_u32 v87, v115, 16, 1
	s_delay_alu instid0(VALU_DEP_1)
	v_add3_u32 v87, v115, v87, 0x7fff
                                        ; implicit-def: $vgpr115
; %bb.1352:                             ;   in Loop: Header=BB4_775 Depth=1
	s_and_not1_saveexec_b32 s10, s10
; %bb.1353:                             ;   in Loop: Header=BB4_775 Depth=1
	v_and_b32_e32 v87, 0xffff, v115
	v_or_b32_e32 v116, 0x10000, v115
	s_delay_alu instid0(VALU_DEP_2) | instskip(NEXT) | instid1(VALU_DEP_2)
	v_cmp_eq_u32_e32 vcc_lo, 0, v87
	v_cndmask_b32_e32 v87, v116, v115, vcc_lo
; %bb.1354:                             ;   in Loop: Header=BB4_775 Depth=1
	s_or_b32 exec_lo, exec_lo, s10
	v_mul_f32_e32 v86, v86, v82
	s_delay_alu instid0(VALU_DEP_1) | instskip(NEXT) | instid1(VALU_DEP_1)
	v_and_b32_e32 v82, 0x7f800000, v86
	v_cmp_ne_u32_e32 vcc_lo, 0x7f800000, v82
                                        ; implicit-def: $vgpr82
	s_and_saveexec_b32 s10, vcc_lo
	s_delay_alu instid0(SALU_CYCLE_1)
	s_xor_b32 s10, exec_lo, s10
; %bb.1355:                             ;   in Loop: Header=BB4_775 Depth=1
	v_bfe_u32 v82, v86, 16, 1
	s_delay_alu instid0(VALU_DEP_1)
	v_add3_u32 v82, v86, v82, 0x7fff
                                        ; implicit-def: $vgpr86
; %bb.1356:                             ;   in Loop: Header=BB4_775 Depth=1
	s_and_not1_saveexec_b32 s10, s10
; %bb.1357:                             ;   in Loop: Header=BB4_775 Depth=1
	v_and_b32_e32 v82, 0xffff, v86
	v_or_b32_e32 v115, 0x10000, v86
	s_delay_alu instid0(VALU_DEP_2) | instskip(NEXT) | instid1(VALU_DEP_2)
	v_cmp_eq_u32_e32 vcc_lo, 0, v82
	v_cndmask_b32_e32 v82, v115, v86, vcc_lo
; %bb.1358:                             ;   in Loop: Header=BB4_775 Depth=1
	s_or_b32 exec_lo, exec_lo, s10
	v_and_b32_e32 v83, 0xffff0000, v83
	s_delay_alu instid0(VALU_DEP_1) | instskip(NEXT) | instid1(VALU_DEP_1)
	v_add_f32_e32 v85, v85, v83
	v_and_b32_e32 v83, 0x7f800000, v85
	s_delay_alu instid0(VALU_DEP_1) | instskip(SKIP_1) | instid1(SALU_CYCLE_1)
	v_cmp_ne_u32_e32 vcc_lo, 0x7f800000, v83
                                        ; implicit-def: $vgpr83
	s_and_saveexec_b32 s10, vcc_lo
	s_xor_b32 s10, exec_lo, s10
; %bb.1359:                             ;   in Loop: Header=BB4_775 Depth=1
	v_bfe_u32 v83, v85, 16, 1
	s_delay_alu instid0(VALU_DEP_1)
	v_add3_u32 v83, v85, v83, 0x7fff
                                        ; implicit-def: $vgpr85
; %bb.1360:                             ;   in Loop: Header=BB4_775 Depth=1
	s_and_not1_saveexec_b32 s10, s10
; %bb.1361:                             ;   in Loop: Header=BB4_775 Depth=1
	v_and_b32_e32 v83, 0xffff, v85
	v_or_b32_e32 v86, 0x10000, v85
	s_delay_alu instid0(VALU_DEP_2) | instskip(NEXT) | instid1(VALU_DEP_2)
	v_cmp_eq_u32_e32 vcc_lo, 0, v83
	v_cndmask_b32_e32 v83, v86, v85, vcc_lo
; %bb.1362:                             ;   in Loop: Header=BB4_775 Depth=1
	s_or_b32 exec_lo, exec_lo, s10
	v_and_b32_e32 v85, 0xffff0000, v114
	s_delay_alu instid0(VALU_DEP_1) | instskip(NEXT) | instid1(VALU_DEP_1)
	v_add_f32_e32 v85, v84, v85
	v_and_b32_e32 v84, 0x7f800000, v85
	s_delay_alu instid0(VALU_DEP_1) | instskip(SKIP_1) | instid1(SALU_CYCLE_1)
	v_cmp_ne_u32_e32 vcc_lo, 0x7f800000, v84
                                        ; implicit-def: $vgpr84
	s_and_saveexec_b32 s10, vcc_lo
	s_xor_b32 s10, exec_lo, s10
; %bb.1363:                             ;   in Loop: Header=BB4_775 Depth=1
	v_bfe_u32 v84, v85, 16, 1
	s_delay_alu instid0(VALU_DEP_1)
	v_add3_u32 v84, v85, v84, 0x7fff
                                        ; implicit-def: $vgpr85
; %bb.1364:                             ;   in Loop: Header=BB4_775 Depth=1
	s_and_not1_saveexec_b32 s10, s10
; %bb.1365:                             ;   in Loop: Header=BB4_775 Depth=1
	v_and_b32_e32 v84, 0xffff, v85
	v_or_b32_e32 v86, 0x10000, v85
	s_delay_alu instid0(VALU_DEP_2) | instskip(NEXT) | instid1(VALU_DEP_2)
	v_cmp_eq_u32_e32 vcc_lo, 0, v84
	v_cndmask_b32_e32 v84, v86, v85, vcc_lo
; %bb.1366:                             ;   in Loop: Header=BB4_775 Depth=1
	s_or_b32 exec_lo, exec_lo, s10
	v_and_b32_e32 v85, 0xffff0000, v87
	s_delay_alu instid0(VALU_DEP_1) | instskip(NEXT) | instid1(VALU_DEP_1)
	v_add_f32_e32 v85, v13, v85
	v_and_b32_e32 v13, 0x7f800000, v85
	s_delay_alu instid0(VALU_DEP_1) | instskip(SKIP_1) | instid1(SALU_CYCLE_1)
	v_cmp_ne_u32_e32 vcc_lo, 0x7f800000, v13
                                        ; implicit-def: $vgpr13
	s_and_saveexec_b32 s10, vcc_lo
	s_xor_b32 s10, exec_lo, s10
; %bb.1367:                             ;   in Loop: Header=BB4_775 Depth=1
	v_bfe_u32 v13, v85, 16, 1
	s_delay_alu instid0(VALU_DEP_1)
	v_add3_u32 v13, v85, v13, 0x7fff
                                        ; implicit-def: $vgpr85
; %bb.1368:                             ;   in Loop: Header=BB4_775 Depth=1
	s_and_not1_saveexec_b32 s10, s10
; %bb.1369:                             ;   in Loop: Header=BB4_775 Depth=1
	v_and_b32_e32 v13, 0xffff, v85
	v_or_b32_e32 v86, 0x10000, v85
	s_delay_alu instid0(VALU_DEP_2) | instskip(NEXT) | instid1(VALU_DEP_2)
	v_cmp_eq_u32_e32 vcc_lo, 0, v13
	v_cndmask_b32_e32 v13, v86, v85, vcc_lo
; %bb.1370:                             ;   in Loop: Header=BB4_775 Depth=1
	s_or_b32 exec_lo, exec_lo, s10
	v_and_b32_e32 v82, 0xffff0000, v82
	s_delay_alu instid0(VALU_DEP_1) | instskip(NEXT) | instid1(VALU_DEP_1)
	v_add_f32_e32 v12, v12, v82
	v_and_b32_e32 v82, 0x7f800000, v12
	s_delay_alu instid0(VALU_DEP_1) | instskip(SKIP_1) | instid1(SALU_CYCLE_1)
	v_cmp_ne_u32_e32 vcc_lo, 0x7f800000, v82
                                        ; implicit-def: $vgpr82
	s_and_saveexec_b32 s10, vcc_lo
	s_xor_b32 s10, exec_lo, s10
; %bb.1371:                             ;   in Loop: Header=BB4_775 Depth=1
	v_bfe_u32 v82, v12, 16, 1
	s_delay_alu instid0(VALU_DEP_1)
	v_add3_u32 v82, v12, v82, 0x7fff
                                        ; implicit-def: $vgpr12
; %bb.1372:                             ;   in Loop: Header=BB4_775 Depth=1
	s_and_not1_saveexec_b32 s10, s10
; %bb.1373:                             ;   in Loop: Header=BB4_775 Depth=1
	v_and_b32_e32 v82, 0xffff, v12
	v_or_b32_e32 v85, 0x10000, v12
	s_delay_alu instid0(VALU_DEP_2) | instskip(NEXT) | instid1(VALU_DEP_2)
	v_cmp_eq_u32_e32 vcc_lo, 0, v82
	v_cndmask_b32_e32 v82, v85, v12, vcc_lo
; %bb.1374:                             ;   in Loop: Header=BB4_775 Depth=1
	s_or_b32 exec_lo, exec_lo, s10
	s_clause 0x3
	flat_store_d16_hi_b16 v[10:11], v83 th:TH_STORE_NT
	flat_store_d16_hi_b16 v[10:11], v84 offset:64 th:TH_STORE_NT
	flat_store_d16_hi_b16 v[10:11], v13 offset:128 th:TH_STORE_NT
	;; [unrolled: 1-line block ×3, first 2 shown]
.LBB4_1375:                             ;   in Loop: Header=BB4_775 Depth=1
	s_wait_xcnt 0x0
	s_or_b32 exec_lo, exec_lo, s7
	v_lshlrev_b32_e32 v10, 8, v98
	s_delay_alu instid0(VALU_DEP_1)
	v_cmp_ne_u32_e32 vcc_lo, v113, v10
	s_and_b32 exec_lo, exec_lo, vcc_lo
	s_cbranch_execz .LBB4_1412
; %bb.1376:                             ;   in Loop: Header=BB4_775 Depth=1
	v_lshlrev_b32_e32 v11, 5, v99
	s_delay_alu instid0(VALU_DEP_1) | instskip(NEXT) | instid1(VALU_DEP_1)
	v_sub_nc_u32_e32 v11, v97, v11
	v_ashrrev_i32_e32 v12, 31, v11
	s_delay_alu instid0(VALU_DEP_1) | instskip(NEXT) | instid1(VALU_DEP_1)
	v_lshrrev_b32_e32 v12, 27, v12
	v_add_nc_u32_e32 v12, v11, v12
	s_delay_alu instid0(VALU_DEP_1) | instskip(NEXT) | instid1(VALU_DEP_1)
	v_and_b32_e32 v13, 0x7fffffe0, v12
	v_dual_lshlrev_b32 v12, 1, v12 :: v_dual_sub_nc_u32 v11, v11, v13
	s_delay_alu instid0(VALU_DEP_1) | instskip(NEXT) | instid1(VALU_DEP_2)
	v_and_b32_e32 v12, 0xffffffc0, v12
	v_lshlrev_b32_e32 v11, 1, v11
	s_delay_alu instid0(VALU_DEP_1) | instskip(NEXT) | instid1(VALU_DEP_1)
	v_add3_u32 v10, v12, v11, v10
	v_sub_nc_u32_e32 v82, v113, v10
	s_delay_alu instid0(VALU_DEP_1)
	v_cmp_lt_i32_e32 vcc_lo, 1, v82
	s_and_b32 exec_lo, exec_lo, vcc_lo
	s_cbranch_execz .LBB4_1412
; %bb.1377:                             ;   in Loop: Header=BB4_775 Depth=1
	s_trap 2
	ds_load_b64 v[12:13], v0
	v_add_nc_u32_e32 v84, v10, v96
	s_mov_b32 s40, 0
	s_mov_b32 s28, 0
                                        ; implicit-def: $sgpr29
	s_delay_alu instid0(VALU_DEP_1) | instskip(NEXT) | instid1(VALU_DEP_1)
	v_ashrrev_i32_e32 v85, 31, v84
	v_add_nc_u64_e32 v[10:11], v[80:81], v[84:85]
	v_add_nc_u64_e32 v[70:71], v[84:85], v[70:71]
	s_wait_dscnt 0x0
	v_add_nc_u64_e32 v[12:13], v[12:13], v[84:85]
	s_branch .LBB4_1379
.LBB4_1378:                             ;   in Loop: Header=BB4_1379 Depth=2
	s_or_b32 exec_lo, exec_lo, s7
	s_delay_alu instid0(VALU_DEP_1) | instskip(SKIP_2) | instid1(VALU_DEP_3)
	v_dual_cndmask_b32 v82, 0, v102, s40 :: v_dual_lshrrev_b32 v83, 16, v81
	v_add_nc_u64_e32 v[84:85], v[12:13], v[22:23]
	v_dual_cndmask_b32 v87, 0, v65, s40 :: v_dual_cndmask_b32 v86, 64, v64, s40
	v_sub_nc_u32_e32 v82, v80, v82
	v_add_nc_u64_e32 v[80:81], v[70:71], v[22:23]
	flat_store_b16 v[10:11], v83 th:TH_STORE_NT
	scratch_store_b16 off, v83, s33 offset:96
	v_cndmask_b32_e64 v13, v13, v85, s40
	v_cmp_gt_i32_e32 vcc_lo, 2, v82
	s_wait_xcnt 0x1
	v_add_nc_u64_e32 v[10:11], v[10:11], v[86:87]
	v_dual_cndmask_b32 v12, v12, v84, s40 :: v_dual_cndmask_b32 v71, v71, v81, s40
	v_cndmask_b32_e64 v70, v70, v80, s40
	s_or_b32 s28, vcc_lo, s28
	s_and_not1_b32 s7, s29, exec_lo
	s_and_b32 s10, s40, exec_lo
	s_delay_alu instid0(SALU_CYCLE_1)
	s_or_b32 s29, s7, s10
	s_wait_xcnt 0x0
	s_and_not1_b32 exec_lo, exec_lo, s28
	s_cbranch_execz .LBB4_1402
.LBB4_1379:                             ;   Parent Loop BB4_775 Depth=1
                                        ; =>  This Loop Header: Depth=2
                                        ;       Child Loop BB4_1380 Depth 3
                                        ;       Child Loop BB4_1393 Depth 3
	s_add_co_i32 s7, s33, 0x60
	s_mov_b64 s[12:13], 0
	s_mov_b32 s41, s7
	s_mov_b32 s42, -1
.LBB4_1380:                             ;   Parent Loop BB4_775 Depth=1
                                        ;     Parent Loop BB4_1379 Depth=2
                                        ; =>    This Inner Loop Header: Depth=3
	s_cmp_eq_u32 s12, 1
	s_cselect_b32 vcc_lo, -1, 0
	s_cmp_eq_u32 s12, 0
	v_dual_cndmask_b32 v81, v71, v13 :: v_dual_cndmask_b32 v80, v70, v12
	s_cselect_b32 s7, -1, 0
	s_and_b32 s10, exec_lo, s42
	s_mov_b64 s[12:13], 1
	s_mov_b32 s42, 0
	flat_load_u16 v83, v[80:81] th:TH_LOAD_NT
	s_wait_xcnt 0x0
	v_add_nc_u64_e32 v[80:81], 64, v[80:81]
	s_delay_alu instid0(VALU_DEP_1)
	v_dual_cndmask_b32 v13, v13, v81 :: v_dual_cndmask_b32 v12, v12, v80
	v_dual_cndmask_b32 v71, v71, v81, s7 :: v_dual_cndmask_b32 v70, v70, v80, s7
	s_add_co_i32 s7, s33, 0x80
	s_mov_b32 vcc_lo, s10
	s_wait_loadcnt_dscnt 0x0
	scratch_store_b16 off, v83, s41
	s_wait_xcnt 0x0
	s_mov_b32 s41, s7
	s_cbranch_vccnz .LBB4_1380
; %bb.1381:                             ;   in Loop: Header=BB4_1379 Depth=2
	s_and_saveexec_b32 s7, s40
	s_cbranch_execz .LBB4_1391
; %bb.1382:                             ;   in Loop: Header=BB4_1379 Depth=2
	s_trap 2
	scratch_load_u16 v80, off, s33 offset:88
	ds_load_b32 v81, v0
	s_wait_loadcnt_dscnt 0x0
	v_dual_lshlrev_b32 v81, 16, v81 :: v_dual_lshlrev_b32 v80, 16, v80
	s_delay_alu instid0(VALU_DEP_1) | instskip(NEXT) | instid1(VALU_DEP_1)
	v_mul_f32_e32 v80, v81, v80
	v_and_b32_e32 v81, 0x7f800000, v80
	s_delay_alu instid0(VALU_DEP_1) | instskip(SKIP_2) | instid1(SALU_CYCLE_1)
	v_cmp_ne_u32_e32 vcc_lo, 0x7f800000, v81
                                        ; implicit-def: $vgpr81
	s_wait_xcnt 0x0
	s_and_saveexec_b32 s10, vcc_lo
	s_xor_b32 s10, exec_lo, s10
; %bb.1383:                             ;   in Loop: Header=BB4_1379 Depth=2
	v_bfe_u32 v81, v80, 16, 1
	s_delay_alu instid0(VALU_DEP_1)
	v_add3_u32 v81, v80, v81, 0x7fff
                                        ; implicit-def: $vgpr80
; %bb.1384:                             ;   in Loop: Header=BB4_1379 Depth=2
	s_and_not1_saveexec_b32 s10, s10
; %bb.1385:                             ;   in Loop: Header=BB4_1379 Depth=2
	v_and_b32_e32 v81, 0xffff, v80
	v_or_b32_e32 v83, 0x10000, v80
	s_delay_alu instid0(VALU_DEP_2) | instskip(NEXT) | instid1(VALU_DEP_2)
	v_cmp_eq_u32_e32 vcc_lo, 0, v81
	v_cndmask_b32_e32 v81, v83, v80, vcc_lo
; %bb.1386:                             ;   in Loop: Header=BB4_1379 Depth=2
	s_or_b32 exec_lo, exec_lo, s10
	scratch_load_u16 v80, off, s33 offset:90
	v_and_b32_e32 v81, 0xffff0000, v81
	s_wait_loadcnt 0x0
	v_lshlrev_b32_e32 v80, 16, v80
	s_delay_alu instid0(VALU_DEP_1) | instskip(NEXT) | instid1(VALU_DEP_1)
	v_add_f32_e32 v80, v81, v80
	v_and_b32_e32 v81, 0x7f800000, v80
	s_delay_alu instid0(VALU_DEP_1) | instskip(SKIP_2) | instid1(SALU_CYCLE_1)
	v_cmp_ne_u32_e32 vcc_lo, 0x7f800000, v81
                                        ; implicit-def: $vgpr81
	s_wait_xcnt 0x0
	s_and_saveexec_b32 s10, vcc_lo
	s_xor_b32 s10, exec_lo, s10
; %bb.1387:                             ;   in Loop: Header=BB4_1379 Depth=2
	v_bfe_u32 v81, v80, 16, 1
	s_delay_alu instid0(VALU_DEP_1)
	v_add3_u32 v81, v80, v81, 0x7fff
                                        ; implicit-def: $vgpr80
; %bb.1388:                             ;   in Loop: Header=BB4_1379 Depth=2
	s_and_not1_saveexec_b32 s10, s10
; %bb.1389:                             ;   in Loop: Header=BB4_1379 Depth=2
	v_and_b32_e32 v81, 0xffff, v80
	v_or_b32_e32 v83, 0x10000, v80
	s_delay_alu instid0(VALU_DEP_2) | instskip(NEXT) | instid1(VALU_DEP_2)
	v_cmp_eq_u32_e32 vcc_lo, 0, v81
	v_cndmask_b32_e32 v81, v83, v80, vcc_lo
; %bb.1390:                             ;   in Loop: Header=BB4_1379 Depth=2
	s_or_b32 exec_lo, exec_lo, s10
	s_delay_alu instid0(VALU_DEP_1)
	v_lshrrev_b32_e32 v80, 16, v81
	flat_store_b16 v[10:11], v80 th:TH_STORE_NT
	s_wait_xcnt 0x0
	v_add_nc_u64_e32 v[10:11], v[10:11], v[64:65]
	scratch_store_b16 off, v80, s33 offset:88
.LBB4_1391:                             ;   in Loop: Header=BB4_1379 Depth=2
	s_wait_xcnt 0x0
	s_or_b32 exec_lo, exec_lo, s7
	v_sub_nc_u32_e32 v80, v82, v102
	v_add_nc_u64_e32 v[70:71], v[70:71], v[22:23]
	v_add_nc_u64_e32 v[12:13], v[12:13], v[22:23]
	s_delay_alu instid0(VALU_DEP_3)
	v_cmp_lt_i32_e64 s40, 1, v80
	s_and_saveexec_b32 s41, s40
	s_cbranch_execz .LBB4_1394
; %bb.1392:                             ;   in Loop: Header=BB4_1379 Depth=2
	s_add_co_i32 s7, s33, 0x58
	s_mov_b64 s[12:13], 0
	s_mov_b32 s42, s7
	s_mov_b32 s43, -1
.LBB4_1393:                             ;   Parent Loop BB4_775 Depth=1
                                        ;     Parent Loop BB4_1379 Depth=2
                                        ; =>    This Inner Loop Header: Depth=3
	s_cmp_eq_u32 s12, 1
	s_cselect_b32 vcc_lo, -1, 0
	s_cmp_eq_u32 s12, 0
	v_dual_cndmask_b32 v83, v71, v13 :: v_dual_cndmask_b32 v82, v70, v12
	s_cselect_b32 s7, -1, 0
	s_and_b32 s10, exec_lo, s43
	s_mov_b64 s[12:13], 1
	s_mov_b32 s43, 0
	flat_load_u16 v81, v[82:83] th:TH_LOAD_NT
	s_wait_xcnt 0x0
	v_add_nc_u64_e32 v[82:83], 64, v[82:83]
	s_delay_alu instid0(VALU_DEP_1)
	v_dual_cndmask_b32 v71, v71, v83, s7 :: v_dual_cndmask_b32 v70, v70, v82, s7
	v_dual_cndmask_b32 v13, v13, v83 :: v_dual_cndmask_b32 v12, v12, v82
	s_add_co_i32 s7, s33, 0x5a
	s_mov_b32 vcc_lo, s10
	s_wait_loadcnt_dscnt 0x0
	scratch_store_b16 off, v81, s42
	s_wait_xcnt 0x0
	s_mov_b32 s42, s7
	s_cbranch_vccnz .LBB4_1393
.LBB4_1394:                             ;   in Loop: Header=BB4_1379 Depth=2
	s_or_b32 exec_lo, exec_lo, s41
	s_trap 2
	scratch_load_u16 v81, off, s33 offset:96
	ds_load_b32 v82, v0
	s_wait_loadcnt_dscnt 0x0
	v_dual_lshlrev_b32 v82, 16, v82 :: v_dual_lshlrev_b32 v81, 16, v81
	s_delay_alu instid0(VALU_DEP_1) | instskip(NEXT) | instid1(VALU_DEP_1)
	v_mul_f32_e32 v81, v82, v81
	v_and_b32_e32 v82, 0x7f800000, v81
	s_delay_alu instid0(VALU_DEP_1) | instskip(SKIP_2) | instid1(SALU_CYCLE_1)
	v_cmp_ne_u32_e32 vcc_lo, 0x7f800000, v82
                                        ; implicit-def: $vgpr82
	s_wait_xcnt 0x0
	s_and_saveexec_b32 s7, vcc_lo
	s_xor_b32 s7, exec_lo, s7
; %bb.1395:                             ;   in Loop: Header=BB4_1379 Depth=2
	v_bfe_u32 v82, v81, 16, 1
	s_delay_alu instid0(VALU_DEP_1)
	v_add3_u32 v82, v81, v82, 0x7fff
                                        ; implicit-def: $vgpr81
; %bb.1396:                             ;   in Loop: Header=BB4_1379 Depth=2
	s_and_not1_saveexec_b32 s7, s7
; %bb.1397:                             ;   in Loop: Header=BB4_1379 Depth=2
	v_and_b32_e32 v82, 0xffff, v81
	v_or_b32_e32 v83, 0x10000, v81
	s_delay_alu instid0(VALU_DEP_2) | instskip(NEXT) | instid1(VALU_DEP_2)
	v_cmp_eq_u32_e32 vcc_lo, 0, v82
	v_cndmask_b32_e32 v82, v83, v81, vcc_lo
; %bb.1398:                             ;   in Loop: Header=BB4_1379 Depth=2
	s_or_b32 exec_lo, exec_lo, s7
	scratch_load_u16 v81, off, s33 offset:128
	v_and_b32_e32 v82, 0xffff0000, v82
	s_wait_loadcnt 0x0
	v_lshlrev_b32_e32 v81, 16, v81
	s_delay_alu instid0(VALU_DEP_1) | instskip(NEXT) | instid1(VALU_DEP_1)
	v_add_f32_e32 v82, v82, v81
	v_and_b32_e32 v81, 0x7f800000, v82
	s_delay_alu instid0(VALU_DEP_1) | instskip(SKIP_2) | instid1(SALU_CYCLE_1)
	v_cmp_ne_u32_e32 vcc_lo, 0x7f800000, v81
                                        ; implicit-def: $vgpr81
	s_wait_xcnt 0x0
	s_and_saveexec_b32 s7, vcc_lo
	s_xor_b32 s7, exec_lo, s7
; %bb.1399:                             ;   in Loop: Header=BB4_1379 Depth=2
	v_bfe_u32 v81, v82, 16, 1
	s_delay_alu instid0(VALU_DEP_1)
	v_add3_u32 v81, v82, v81, 0x7fff
                                        ; implicit-def: $vgpr82
; %bb.1400:                             ;   in Loop: Header=BB4_1379 Depth=2
	s_and_not1_saveexec_b32 s7, s7
	s_cbranch_execz .LBB4_1378
; %bb.1401:                             ;   in Loop: Header=BB4_1379 Depth=2
	v_and_b32_e32 v81, 0xffff, v82
	v_or_b32_e32 v83, 0x10000, v82
	s_delay_alu instid0(VALU_DEP_2) | instskip(NEXT) | instid1(VALU_DEP_2)
	v_cmp_eq_u32_e32 vcc_lo, 0, v81
	v_cndmask_b32_e32 v81, v83, v82, vcc_lo
	s_branch .LBB4_1378
.LBB4_1402:                             ;   in Loop: Header=BB4_775 Depth=1
	s_or_b32 exec_lo, exec_lo, s28
	s_delay_alu instid0(SALU_CYCLE_1)
	s_and_b32 exec_lo, exec_lo, s29
	s_cbranch_execz .LBB4_1412
; %bb.1403:                             ;   in Loop: Header=BB4_775 Depth=1
	s_trap 2
	scratch_load_u16 v12, off, s33 offset:88
	ds_load_b32 v13, v0
	s_wait_loadcnt_dscnt 0x0
	v_dual_lshlrev_b32 v13, 16, v13 :: v_dual_lshlrev_b32 v12, 16, v12
	s_delay_alu instid0(VALU_DEP_1) | instskip(NEXT) | instid1(VALU_DEP_1)
	v_mul_f32_e32 v12, v13, v12
	v_and_b32_e32 v13, 0x7f800000, v12
	s_delay_alu instid0(VALU_DEP_1) | instskip(SKIP_2) | instid1(SALU_CYCLE_1)
	v_cmp_ne_u32_e32 vcc_lo, 0x7f800000, v13
                                        ; implicit-def: $vgpr13
	s_wait_xcnt 0x0
	s_and_saveexec_b32 s7, vcc_lo
	s_xor_b32 s7, exec_lo, s7
; %bb.1404:                             ;   in Loop: Header=BB4_775 Depth=1
	v_bfe_u32 v13, v12, 16, 1
	s_delay_alu instid0(VALU_DEP_1)
	v_add3_u32 v13, v12, v13, 0x7fff
                                        ; implicit-def: $vgpr12
; %bb.1405:                             ;   in Loop: Header=BB4_775 Depth=1
	s_and_not1_saveexec_b32 s7, s7
; %bb.1406:                             ;   in Loop: Header=BB4_775 Depth=1
	v_and_b32_e32 v13, 0xffff, v12
	v_or_b32_e32 v70, 0x10000, v12
	s_delay_alu instid0(VALU_DEP_2) | instskip(NEXT) | instid1(VALU_DEP_2)
	v_cmp_eq_u32_e32 vcc_lo, 0, v13
	v_cndmask_b32_e32 v13, v70, v12, vcc_lo
; %bb.1407:                             ;   in Loop: Header=BB4_775 Depth=1
	s_or_b32 exec_lo, exec_lo, s7
	scratch_load_u16 v12, off, s33 offset:90
	v_and_b32_e32 v13, 0xffff0000, v13
	s_wait_loadcnt 0x0
	v_lshlrev_b32_e32 v12, 16, v12
	s_delay_alu instid0(VALU_DEP_1) | instskip(NEXT) | instid1(VALU_DEP_1)
	v_add_f32_e32 v12, v13, v12
	v_and_b32_e32 v13, 0x7f800000, v12
	s_delay_alu instid0(VALU_DEP_1) | instskip(SKIP_2) | instid1(SALU_CYCLE_1)
	v_cmp_ne_u32_e32 vcc_lo, 0x7f800000, v13
                                        ; implicit-def: $vgpr13
	s_wait_xcnt 0x0
	s_and_saveexec_b32 s7, vcc_lo
	s_xor_b32 s7, exec_lo, s7
; %bb.1408:                             ;   in Loop: Header=BB4_775 Depth=1
	v_bfe_u32 v13, v12, 16, 1
	s_delay_alu instid0(VALU_DEP_1)
	v_add3_u32 v13, v12, v13, 0x7fff
                                        ; implicit-def: $vgpr12
; %bb.1409:                             ;   in Loop: Header=BB4_775 Depth=1
	s_and_not1_saveexec_b32 s7, s7
; %bb.1410:                             ;   in Loop: Header=BB4_775 Depth=1
	v_and_b32_e32 v13, 0xffff, v12
	v_or_b32_e32 v70, 0x10000, v12
	s_delay_alu instid0(VALU_DEP_2) | instskip(NEXT) | instid1(VALU_DEP_2)
	v_cmp_eq_u32_e32 vcc_lo, 0, v13
	v_cndmask_b32_e32 v13, v70, v12, vcc_lo
; %bb.1411:                             ;   in Loop: Header=BB4_775 Depth=1
	s_or_b32 exec_lo, exec_lo, s7
	flat_store_d16_hi_b16 v[10:11], v13 th:TH_STORE_NT
.LBB4_1412:                             ;   in Loop: Header=BB4_775 Depth=1
	s_wait_xcnt 0x0
	s_or_b32 exec_lo, exec_lo, s11
	v_cmp_ne_u32_e64 s7, 0, v16
	s_and_saveexec_b32 s10, s2
	s_cbranch_execz .LBB4_1431
.LBB4_1413:                             ;   in Loop: Header=BB4_775 Depth=1
	s_and_saveexec_b32 s11, s3
	s_delay_alu instid0(SALU_CYCLE_1)
	s_xor_b32 s11, exec_lo, s11
	s_cbranch_execz .LBB4_1428
; %bb.1414:                             ;   in Loop: Header=BB4_775 Depth=1
	s_and_saveexec_b32 s12, s4
	s_cbranch_execz .LBB4_1427
; %bb.1415:                             ;   in Loop: Header=BB4_775 Depth=1
	s_mov_b32 s28, exec_lo
	s_mov_b32 s13, exec_lo
	v_mbcnt_lo_u32_b32 v10, s28, 0
	global_wb scope:SCOPE_DEV
	s_wait_storecnt 0x0
	s_wait_loadcnt_dscnt 0x0
	global_inv scope:SCOPE_DEV
	v_cmpx_eq_u32_e32 0, v10
	s_cbranch_execz .LBB4_1417
; %bb.1416:                             ;   in Loop: Header=BB4_775 Depth=1
	s_bcnt1_i32_b32 s28, s28
	s_delay_alu instid0(SALU_CYCLE_1)
	v_mov_b32_e32 v16, s28
	s_wait_loadcnt 0x0
	ds_add_u64 v0, v[16:17]
	s_trap 2
.LBB4_1417:                             ;   in Loop: Header=BB4_775 Depth=1
	s_or_b32 exec_lo, exec_lo, s13
	s_trap 2
	ds_load_b64 v[10:11], v0
	s_wait_dscnt 0x0
	v_add_nc_u64_e32 v[48:49], v[48:49], v[14:15]
	s_mov_b32 s13, exec_lo
	s_delay_alu instid0(VALU_DEP_1)
	v_cmpx_lt_u64_e64 v[10:11], v[48:49]
	s_cbranch_execz .LBB4_1426
; %bb.1418:                             ;   in Loop: Header=BB4_775 Depth=1
	s_mov_b32 s28, 0
	s_mov_b32 s41, 0
                                        ; implicit-def: $sgpr29
                                        ; implicit-def: $sgpr40
	s_branch .LBB4_1420
.LBB4_1419:                             ;   in Loop: Header=BB4_1420 Depth=2
	s_or_b32 exec_lo, exec_lo, s43
	s_delay_alu instid0(SALU_CYCLE_1) | instskip(NEXT) | instid1(SALU_CYCLE_1)
	s_and_b32 s42, exec_lo, s44
	s_or_b32 s28, s42, s28
	s_and_not1_b32 s29, s29, exec_lo
	s_and_b32 s42, s40, exec_lo
	s_delay_alu instid0(SALU_CYCLE_1)
	s_or_b32 s29, s29, s42
	s_and_not1_b32 exec_lo, exec_lo, s28
	s_cbranch_execz .LBB4_1424
.LBB4_1420:                             ;   Parent Loop BB4_775 Depth=1
                                        ; =>  This Inner Loop Header: Depth=2
	s_add_co_i32 s41, s41, 1
	s_delay_alu instid0(SALU_CYCLE_1) | instskip(SKIP_1) | instid1(SALU_CYCLE_1)
	s_cmp_lg_u32 s41, 0x2710
	s_cselect_b32 s42, -1, 0
	s_and_b32 vcc_lo, exec_lo, s42
	s_cbranch_vccz .LBB4_1422
; %bb.1421:                             ;   in Loop: Header=BB4_1420 Depth=2
	s_mov_b32 s44, -1
	s_or_b32 s40, s40, exec_lo
	s_and_saveexec_b32 s43, s42
	s_cbranch_execz .LBB4_1419
	s_branch .LBB4_1423
.LBB4_1422:                             ;   in Loop: Header=BB4_1420 Depth=2
	s_trap 2
	ds_load_b64 v[10:11], v0
	s_and_not1_b32 s42, s42, exec_lo
	s_mov_b32 s41, 0
	s_wait_loadcnt_dscnt 0x0
	flat_load_b32 v10, v[10:11] scope:SCOPE_SYS
	s_wait_loadcnt_dscnt 0x0
	global_inv scope:SCOPE_SYS
	v_cmp_eq_u32_e32 vcc_lo, 0, v10
	s_and_b32 s43, vcc_lo, exec_lo
	s_delay_alu instid0(SALU_CYCLE_1)
	s_or_b32 s42, s42, s43
	s_mov_b32 s44, -1
	s_or_b32 s40, s40, exec_lo
	s_and_saveexec_b32 s43, s42
	s_cbranch_execz .LBB4_1419
.LBB4_1423:                             ;   in Loop: Header=BB4_1420 Depth=2
	s_sleep 1
	s_trap 2
	ds_load_b64 v[10:11], v0
	s_wait_dscnt 0x0
	s_and_not1_b32 s40, s40, exec_lo
	v_cmp_ge_u64_e32 vcc_lo, v[10:11], v[48:49]
	s_or_not1_b32 s44, vcc_lo, exec_lo
	s_branch .LBB4_1419
.LBB4_1424:                             ;   in Loop: Header=BB4_775 Depth=1
	s_or_b32 exec_lo, exec_lo, s28
	s_and_saveexec_b32 s28, s29
	s_delay_alu instid0(SALU_CYCLE_1)
	s_xor_b32 s28, exec_lo, s28
	s_cbranch_execz .LBB4_1426
; %bb.1425:                             ;   in Loop: Header=BB4_775 Depth=1
	ds_store_b32 v0, v112
	s_trap 2
.LBB4_1426:                             ;   in Loop: Header=BB4_775 Depth=1
	s_or_b32 exec_lo, exec_lo, s13
	;;#ASMSTART
	s_wakeup
	;;#ASMEND
.LBB4_1427:                             ;   in Loop: Header=BB4_775 Depth=1
	s_or_b32 exec_lo, exec_lo, s12
.LBB4_1428:                             ;   in Loop: Header=BB4_775 Depth=1
	s_and_not1_saveexec_b32 s11, s11
	s_cbranch_execz .LBB4_1430
; %bb.1429:                             ;   in Loop: Header=BB4_775 Depth=1
	global_wb scope:SCOPE_DEV
	s_wait_storecnt 0x0
	s_wait_loadcnt_dscnt 0x0
	global_inv scope:SCOPE_DEV
	s_barrier_signal -1
	s_barrier_wait -1
.LBB4_1430:                             ;   in Loop: Header=BB4_775 Depth=1
	s_or_b32 exec_lo, exec_lo, s11
.LBB4_1431:                             ;   in Loop: Header=BB4_775 Depth=1
	s_delay_alu instid0(SALU_CYCLE_1) | instskip(SKIP_1) | instid1(VALU_DEP_1)
	s_or_b32 exec_lo, exec_lo, s10
	v_and_b32_e32 v10, 16, v30
	v_cmp_ne_u32_e32 vcc_lo, 0, v10
	s_and_b32 s10, vcc_lo, s7
	s_delay_alu instid0(SALU_CYCLE_1)
	s_and_saveexec_b32 s7, s10
	s_cbranch_execz .LBB4_1433
; %bb.1432:                             ;   in Loop: Header=BB4_775 Depth=1
	global_wb scope:SCOPE_SYS
	s_wait_storecnt 0x0
	s_wait_loadcnt_dscnt 0x0
	global_inv scope:SCOPE_SYS
.LBB4_1433:                             ;   in Loop: Header=BB4_775 Depth=1
	s_or_b32 exec_lo, exec_lo, s7
	v_and_b32_e32 v10, 32, v30
	s_mov_b32 s7, exec_lo
	s_delay_alu instid0(VALU_DEP_1)
	v_cmpx_ne_u32_e32 0, v10
	s_cbranch_execz .LBB4_1435
; %bb.1434:                             ;   in Loop: Header=BB4_775 Depth=1
	v_add_nc_u64_e32 v[8:9], 1, v[8:9]
	global_wb scope:SCOPE_SYS
	s_wait_storecnt 0x0
	s_wait_loadcnt_dscnt 0x0
	flat_store_b64 v[32:33], v[8:9] scope:SCOPE_SYS
.LBB4_1435:                             ;   in Loop: Header=BB4_775 Depth=1
	s_wait_xcnt 0x0
	s_or_b32 exec_lo, exec_lo, s7
	v_mov_b32_e32 v70, v69
.LBB4_1436:                             ;   in Loop: Header=BB4_775 Depth=1
	s_or_b32 exec_lo, exec_lo, s27
	s_and_saveexec_b32 s10, s26
	s_cbranch_execz .LBB4_774
; %bb.1437:                             ;   in Loop: Header=BB4_775 Depth=1
	v_and_b32_e32 v10, 4, v30
	s_mov_b32 s11, exec_lo
	s_delay_alu instid0(VALU_DEP_1)
	v_cmpx_ne_u32_e32 0, v10
	s_cbranch_execz .LBB4_1459
; %bb.1438:                             ;   in Loop: Header=BB4_775 Depth=1
	v_add_nc_u64_e32 v[10:11], 1, v[8:9]
	s_mov_b32 s12, exec_lo
	s_wait_loadcnt 0x0
	s_delay_alu instid0(VALU_DEP_1)
	v_cmpx_lt_u64_e64 v[38:39], v[10:11]
	s_cbranch_execz .LBB4_1450
; %bb.1439:                             ;   in Loop: Header=BB4_775 Depth=1
	v_and_b32_e32 v9, 64, v30
	s_mov_b32 s13, 0
	s_mov_b32 s29, 0
                                        ; implicit-def: $sgpr26
                                        ; implicit-def: $sgpr27
                                        ; implicit-def: $sgpr28
	s_delay_alu instid0(VALU_DEP_1)
	v_cmp_eq_u32_e32 vcc_lo, 0, v9
	s_branch .LBB4_1443
.LBB4_1440:                             ;   in Loop: Header=BB4_1443 Depth=2
	s_wait_loadcnt_dscnt 0x0
	v_cmp_ge_u64_e64 s7, v[38:39], v[10:11]
	s_or_b32 s42, s42, exec_lo
	s_or_not1_b32 s41, s7, exec_lo
.LBB4_1441:                             ;   in Loop: Header=BB4_1443 Depth=2
	s_or_b32 exec_lo, exec_lo, s44
	s_delay_alu instid0(SALU_CYCLE_1)
	s_and_not1_b32 s7, s28, exec_lo
	s_and_b32 s28, s42, exec_lo
	s_and_not1_b32 s27, s27, exec_lo
	s_and_b32 s41, s41, exec_lo
	s_or_b32 s28, s7, s28
	s_or_b32 s27, s27, s41
.LBB4_1442:                             ;   in Loop: Header=BB4_1443 Depth=2
	s_or_b32 exec_lo, exec_lo, s40
	s_delay_alu instid0(SALU_CYCLE_1) | instskip(NEXT) | instid1(SALU_CYCLE_1)
	s_and_b32 s7, exec_lo, s27
	s_or_b32 s13, s7, s13
	s_and_not1_b32 s7, s26, exec_lo
	s_and_b32 s26, s28, exec_lo
	s_delay_alu instid0(SALU_CYCLE_1)
	s_or_b32 s26, s7, s26
	s_and_not1_b32 exec_lo, exec_lo, s13
	s_cbranch_execz .LBB4_1447
.LBB4_1443:                             ;   Parent Loop BB4_775 Depth=1
                                        ; =>  This Inner Loop Header: Depth=2
	s_sleep 1
	s_wait_loadcnt_dscnt 0x0
	flat_load_b64 v[38:39], v[32:33] scope:SCOPE_SYS
	s_or_b32 s28, s28, exec_lo
	s_or_b32 s27, s27, exec_lo
                                        ; implicit-def: $vgpr9
	s_wait_xcnt 0x0
	s_and_saveexec_b32 s40, vcc_lo
	s_cbranch_execz .LBB4_1442
; %bb.1444:                             ;   in Loop: Header=BB4_1443 Depth=2
	s_cmp_lt_i32 s29, 0x270f
	s_mov_b32 s41, -1
	s_cselect_b32 s43, -1, 0
	s_cmp_gt_i32 s29, 0x270e
	s_cbranch_scc0 .LBB4_1446
; %bb.1445:                             ;   in Loop: Header=BB4_1443 Depth=2
	s_trap 2
	ds_load_b64 v[12:13], v0
	s_and_not1_b32 s29, s43, exec_lo
	s_mov_b32 s42, 0
	s_wait_storecnt 0x0
	s_wait_loadcnt_dscnt 0x0
	flat_load_b32 v9, v[12:13] scope:SCOPE_SYS
	s_wait_loadcnt_dscnt 0x0
	global_inv scope:SCOPE_SYS
	v_cmp_eq_u32_e64 s7, 0, v9
	s_and_b32 s7, s7, exec_lo
	s_delay_alu instid0(SALU_CYCLE_1)
	s_or_b32 s43, s29, s7
	s_mov_b32 s29, 0
	s_and_saveexec_b32 s44, s43
	s_cbranch_execz .LBB4_1441
	s_branch .LBB4_1440
.LBB4_1446:                             ;   in Loop: Header=BB4_1443 Depth=2
	s_add_co_i32 s29, s29, 1
	s_mov_b32 s42, -1
                                        ; implicit-def: $vgpr9
	s_and_saveexec_b32 s44, s43
	s_cbranch_execz .LBB4_1441
	s_branch .LBB4_1440
.LBB4_1447:                             ;   in Loop: Header=BB4_775 Depth=1
	s_or_b32 exec_lo, exec_lo, s13
	s_xor_b32 s7, s26, -1
	s_delay_alu instid0(SALU_CYCLE_1) | instskip(NEXT) | instid1(SALU_CYCLE_1)
	s_and_saveexec_b32 s13, s7
	s_xor_b32 s7, exec_lo, s13
	s_cbranch_execz .LBB4_1449
; %bb.1448:                             ;   in Loop: Header=BB4_775 Depth=1
	v_or_b32_e32 v30, 64, v30
	s_wait_storecnt 0x0
	s_wait_loadcnt_dscnt 0x0
	ds_store_b32 v0, v9
	s_trap 2
.LBB4_1449:                             ;   in Loop: Header=BB4_775 Depth=1
	s_or_b32 exec_lo, exec_lo, s7
.LBB4_1450:                             ;   in Loop: Header=BB4_775 Depth=1
	s_delay_alu instid0(SALU_CYCLE_1) | instskip(SKIP_4) | instid1(VALU_DEP_2)
	s_or_b32 exec_lo, exec_lo, s12
	v_and_b32_e32 v9, 0x100, v30
	v_and_b32_e32 v16, 7, v8
	s_mov_b32 s7, -1
	;;#ASMSTART
	s_wakeup
	;;#ASMEND
	v_cmp_ne_u32_e32 vcc_lo, 0, v9
                                        ; implicit-def: $vgpr8_vgpr9
	s_and_saveexec_b32 s12, vcc_lo
	s_cbranch_execz .LBB4_1454
; %bb.1451:                             ;   in Loop: Header=BB4_775 Depth=1
	v_mad_nc_u64_u32 v[12:13], v16, 24, v[6:7]
	flat_load_b32 v8, v[12:13]
	s_wait_loadcnt_dscnt 0x0
	v_cmp_eq_u32_e64 s7, 1, v8
	v_cmp_ne_u32_e32 vcc_lo, 1, v8
                                        ; implicit-def: $vgpr8_vgpr9
	s_wait_xcnt 0x0
	s_and_saveexec_b32 s13, s7
	s_cbranch_execz .LBB4_1453
; %bb.1452:                             ;   in Loop: Header=BB4_775 Depth=1
	flat_load_b32 v8, v[12:13] offset:4 scope:SCOPE_SYS
	s_wait_loadcnt_dscnt 0x0
	v_ashrrev_i32_e32 v9, 31, v8
	s_delay_alu instid0(VALU_DEP_1)
	v_lshrrev_b64 v[8:9], 1, v[8:9]
.LBB4_1453:                             ;   in Loop: Header=BB4_775 Depth=1
	s_wait_xcnt 0x0
	s_or_b32 exec_lo, exec_lo, s13
	s_delay_alu instid0(SALU_CYCLE_1)
	s_or_not1_b32 s7, vcc_lo, exec_lo
.LBB4_1454:                             ;   in Loop: Header=BB4_775 Depth=1
	s_or_b32 exec_lo, exec_lo, s12
	s_and_saveexec_b32 s12, s7
; %bb.1455:                             ;   in Loop: Header=BB4_775 Depth=1
	v_mul_u64_e32 v[8:9], v[16:17], v[34:35]
; %bb.1456:                             ;   in Loop: Header=BB4_775 Depth=1
	s_or_b32 exec_lo, exec_lo, s12
	v_and_b32_e32 v12, 0x2000, v30
	s_delay_alu instid0(VALU_DEP_2)
	v_lshl_add_u64 v[8:9], v[8:9], 1, v[36:37]
	s_mov_b32 s7, exec_lo
	ds_store_b64 v0, v[8:9] offset:728
	v_cmpx_ne_u32_e32 0, v12
	s_cbranch_execz .LBB4_1458
; %bb.1457:                             ;   in Loop: Header=BB4_775 Depth=1
	ds_load_b64 v[8:9], v0 offset:872
	s_wait_dscnt 0x0
	v_add_nc_u64_e32 v[8:9], 1, v[8:9]
	ds_store_b64 v0, v[8:9] offset:872
.LBB4_1458:                             ;   in Loop: Header=BB4_775 Depth=1
	s_or_b32 exec_lo, exec_lo, s7
	v_mov_b64_e32 v[8:9], v[10:11]
.LBB4_1459:                             ;   in Loop: Header=BB4_775 Depth=1
	s_or_b32 exec_lo, exec_lo, s11
	s_and_saveexec_b32 s7, s2
	s_cbranch_execz .LBB4_1478
; %bb.1460:                             ;   in Loop: Header=BB4_775 Depth=1
	s_and_saveexec_b32 s11, s3
	s_delay_alu instid0(SALU_CYCLE_1)
	s_xor_b32 s11, exec_lo, s11
	s_cbranch_execz .LBB4_1475
; %bb.1461:                             ;   in Loop: Header=BB4_775 Depth=1
	s_and_saveexec_b32 s12, s4
	s_cbranch_execz .LBB4_1474
; %bb.1462:                             ;   in Loop: Header=BB4_775 Depth=1
	s_mov_b32 s26, exec_lo
	s_mov_b32 s13, exec_lo
	v_mbcnt_lo_u32_b32 v10, s26, 0
	global_wb scope:SCOPE_DEV
	s_wait_storecnt 0x0
	s_wait_loadcnt_dscnt 0x0
	global_inv scope:SCOPE_DEV
	v_cmpx_eq_u32_e32 0, v10
	s_cbranch_execz .LBB4_1464
; %bb.1463:                             ;   in Loop: Header=BB4_775 Depth=1
	s_bcnt1_i32_b32 s26, s26
	s_delay_alu instid0(SALU_CYCLE_1)
	v_mov_b32_e32 v16, s26
	s_wait_loadcnt 0x0
	ds_add_u64 v0, v[16:17]
	s_trap 2
.LBB4_1464:                             ;   in Loop: Header=BB4_775 Depth=1
	s_or_b32 exec_lo, exec_lo, s13
	s_trap 2
	ds_load_b64 v[10:11], v0
	s_wait_dscnt 0x0
	v_add_nc_u64_e32 v[48:49], v[48:49], v[14:15]
	s_mov_b32 s13, exec_lo
	s_delay_alu instid0(VALU_DEP_1)
	v_cmpx_lt_u64_e64 v[10:11], v[48:49]
	s_cbranch_execz .LBB4_1473
; %bb.1465:                             ;   in Loop: Header=BB4_775 Depth=1
	s_mov_b32 s26, 0
	s_mov_b32 s29, 0
                                        ; implicit-def: $sgpr27
                                        ; implicit-def: $sgpr28
	s_branch .LBB4_1467
.LBB4_1466:                             ;   in Loop: Header=BB4_1467 Depth=2
	s_or_b32 exec_lo, exec_lo, s41
	s_delay_alu instid0(SALU_CYCLE_1) | instskip(NEXT) | instid1(SALU_CYCLE_1)
	s_and_b32 s40, exec_lo, s42
	s_or_b32 s26, s40, s26
	s_and_not1_b32 s27, s27, exec_lo
	s_and_b32 s40, s28, exec_lo
	s_delay_alu instid0(SALU_CYCLE_1)
	s_or_b32 s27, s27, s40
	s_and_not1_b32 exec_lo, exec_lo, s26
	s_cbranch_execz .LBB4_1471
.LBB4_1467:                             ;   Parent Loop BB4_775 Depth=1
                                        ; =>  This Inner Loop Header: Depth=2
	s_add_co_i32 s29, s29, 1
	s_delay_alu instid0(SALU_CYCLE_1) | instskip(SKIP_1) | instid1(SALU_CYCLE_1)
	s_cmp_lg_u32 s29, 0x2710
	s_cselect_b32 s40, -1, 0
	s_and_b32 vcc_lo, exec_lo, s40
	s_cbranch_vccz .LBB4_1469
; %bb.1468:                             ;   in Loop: Header=BB4_1467 Depth=2
	s_mov_b32 s42, -1
	s_or_b32 s28, s28, exec_lo
	s_and_saveexec_b32 s41, s40
	s_cbranch_execz .LBB4_1466
	s_branch .LBB4_1470
.LBB4_1469:                             ;   in Loop: Header=BB4_1467 Depth=2
	s_trap 2
	ds_load_b64 v[10:11], v0
	s_and_not1_b32 s40, s40, exec_lo
	s_mov_b32 s29, 0
	s_wait_loadcnt_dscnt 0x0
	flat_load_b32 v10, v[10:11] scope:SCOPE_SYS
	s_wait_loadcnt_dscnt 0x0
	global_inv scope:SCOPE_SYS
	v_cmp_eq_u32_e32 vcc_lo, 0, v10
	s_and_b32 s41, vcc_lo, exec_lo
	s_delay_alu instid0(SALU_CYCLE_1)
	s_or_b32 s40, s40, s41
	s_mov_b32 s42, -1
	s_or_b32 s28, s28, exec_lo
	s_and_saveexec_b32 s41, s40
	s_cbranch_execz .LBB4_1466
.LBB4_1470:                             ;   in Loop: Header=BB4_1467 Depth=2
	s_sleep 1
	s_trap 2
	ds_load_b64 v[10:11], v0
	s_wait_dscnt 0x0
	s_and_not1_b32 s28, s28, exec_lo
	v_cmp_ge_u64_e32 vcc_lo, v[10:11], v[48:49]
	s_or_not1_b32 s42, vcc_lo, exec_lo
	s_branch .LBB4_1466
.LBB4_1471:                             ;   in Loop: Header=BB4_775 Depth=1
	s_or_b32 exec_lo, exec_lo, s26
	s_and_saveexec_b32 s26, s27
	s_delay_alu instid0(SALU_CYCLE_1)
	s_xor_b32 s26, exec_lo, s26
	s_cbranch_execz .LBB4_1473
; %bb.1472:                             ;   in Loop: Header=BB4_775 Depth=1
	ds_store_b32 v0, v112
	s_trap 2
.LBB4_1473:                             ;   in Loop: Header=BB4_775 Depth=1
	s_or_b32 exec_lo, exec_lo, s13
	;;#ASMSTART
	s_wakeup
	;;#ASMEND
.LBB4_1474:                             ;   in Loop: Header=BB4_775 Depth=1
	s_or_b32 exec_lo, exec_lo, s12
.LBB4_1475:                             ;   in Loop: Header=BB4_775 Depth=1
	s_and_not1_saveexec_b32 s11, s11
	s_cbranch_execz .LBB4_1477
; %bb.1476:                             ;   in Loop: Header=BB4_775 Depth=1
	global_wb scope:SCOPE_DEV
	s_wait_storecnt 0x0
	s_wait_loadcnt_dscnt 0x0
	global_inv scope:SCOPE_DEV
	s_barrier_signal -1
	s_barrier_wait -1
.LBB4_1477:                             ;   in Loop: Header=BB4_775 Depth=1
	s_or_b32 exec_lo, exec_lo, s11
.LBB4_1478:                             ;   in Loop: Header=BB4_775 Depth=1
	s_delay_alu instid0(SALU_CYCLE_1) | instskip(SKIP_3) | instid1(VALU_DEP_1)
	s_or_b32 exec_lo, exec_lo, s7
	s_trap 2
	ds_load_b32 v10, v0
	v_sub_nc_u32_e32 v11, v68, v70
	v_min_i32_e32 v11, v69, v11
	s_delay_alu instid0(VALU_DEP_1) | instskip(SKIP_4) | instid1(VALU_DEP_1)
	v_cmp_lt_i32_e32 vcc_lo, 0, v11
	s_wait_dscnt 0x0
	v_readfirstlane_b32 s7, v10
	v_and_b32_e32 v10, 16, v30
	s_cmp_eq_u32 s7, 0
	v_cmp_ne_u32_e64 s7, 0, v10
	s_cselect_b32 s11, -1, 0
	s_delay_alu instid0(SALU_CYCLE_1) | instskip(NEXT) | instid1(SALU_CYCLE_1)
	s_and_b32 s11, vcc_lo, s11
	s_and_b32 s11, s7, s11
	s_delay_alu instid0(SALU_CYCLE_1)
	s_and_saveexec_b32 s7, s11
	s_cbranch_execz .LBB4_1480
; %bb.1479:                             ;   in Loop: Header=BB4_775 Depth=1
	global_wb scope:SCOPE_SYS
	s_wait_loadcnt 0x0
	s_wait_storecnt 0x0
	global_inv scope:SCOPE_SYS
.LBB4_1480:                             ;   in Loop: Header=BB4_775 Depth=1
	s_or_b32 exec_lo, exec_lo, s7
	v_and_b32_e32 v10, 32, v30
	s_mov_b32 s7, exec_lo
	s_delay_alu instid0(VALU_DEP_1)
	v_cmpx_ne_u32_e32 0, v10
	s_cbranch_execz .LBB4_773
; %bb.1481:                             ;   in Loop: Header=BB4_775 Depth=1
	v_add_nc_u64_e32 v[8:9], 1, v[8:9]
	global_wb scope:SCOPE_SYS
	s_wait_loadcnt 0x0
	s_wait_storecnt 0x0
	flat_store_b64 v[32:33], v[8:9] scope:SCOPE_SYS
	s_branch .LBB4_773
.LBB4_1482:
	s_or_b32 exec_lo, exec_lo, s20
.LBB4_1483:
	s_delay_alu instid0(SALU_CYCLE_1)
	s_or_b32 exec_lo, exec_lo, s15
.LBB4_1484:
	s_delay_alu instid0(SALU_CYCLE_1)
	s_or_b32 exec_lo, exec_lo, s14
                                        ; implicit-def: $vgpr26_vgpr27
                                        ; implicit-def: $vgpr4_vgpr5
                                        ; implicit-def: $vgpr52_vgpr53
                                        ; implicit-def: $vgpr34
                                        ; implicit-def: $vgpr38_vgpr39
                                        ; implicit-def: $vgpr36_vgpr37
                                        ; implicit-def: $vgpr32_vgpr33
                                        ; implicit-def: $vgpr0
                                        ; implicit-def: $vgpr19
                                        ; implicit-def: $vgpr50_vgpr51
.LBB4_1485:
	s_and_not1_saveexec_b32 s11, s18
	s_cbranch_execz .LBB4_2038
; %bb.1486:
	v_mov_b64_e32 v[48:49], 0
	s_mov_b32 s12, exec_lo
	v_cmpx_ne_u64_e32 0, v[4:5]
	s_cbranch_execz .LBB4_2037
; %bb.1487:
	v_dual_mov_b32 v55, 0 :: v_dual_bitop2_b32 v43, 31, v0 bitop3:0x40
	v_dual_lshrrev_b32 v64, 5, v1 :: v_dual_ashrrev_i32 v35, 31, v34
	s_delay_alu instid0(VALU_DEP_2) | instskip(SKIP_1) | instid1(VALU_DEP_3)
	v_dual_mov_b32 v65, v55 :: v_dual_bitop2_b32 v10, 31, v31 bitop3:0x40
	v_lshrrev_b32_e32 v46, 5, v0
	v_dual_lshlrev_b32 v44, 9, v64 :: v_dual_lshlrev_b32 v45, 6, v64
	v_lshl_add_u32 v66, v64, 10, 0xfffffc00
	v_lshl_add_u32 v70, v64, 8, 0xffffff00
	s_wait_dscnt 0x0
	s_delay_alu instid0(VALU_DEP_3)
	v_dual_mov_b32 v83, v55 :: v_dual_add_nc_u32 v68, 0xfffffe00, v44
	v_subrev_nc_u32_e32 v80, 64, v45
	v_ashrrev_i32_e32 v67, 31, v66
	v_ashrrev_i32_e32 v71, 31, v70
	v_cmp_eq_u32_e64 s4, 0, v10
	v_ashrrev_i32_e32 v69, 31, v68
	v_dual_ashrrev_i32 v81, 31, v80 :: v_dual_lshlrev_b32 v10, 4, v43
	s_lshr_b32 s2, s17, 27
	v_cmp_eq_u32_e32 vcc_lo, 32, v1
	v_add_nc_u64_e32 v[84:85], 0x400, v[66:67]
	v_add_nc_u64_e32 v[86:87], 0x200, v[68:69]
	;; [unrolled: 1-line block ×4, first 2 shown]
	v_mov_b64_e32 v[100:101], 0
	v_cmp_ne_u64_e64 s7, 0, v[52:53]
	v_mov_b64_e32 v[102:103], 0
	v_mov_b64_e32 v[48:49], 0
	v_cmp_ge_u32_e64 s1, v0, v1
	s_add_co_i32 s17, s17, s2
	v_cmp_ne_u32_e64 s2, 32, v1
	v_cmp_ne_u32_e64 s3, v1, v42
	v_cmp_eq_u32_e64 s5, 0, v43
	v_cmp_lt_u32_e64 s6, v43, v19
	v_lshl_or_b32 v82, v46, 10, v10
	v_mov_b32_e32 v47, 1
	s_ashr_i32 s14, s17, 5
	s_mov_b32 s13, 0
	s_xor_b32 s15, vcc_lo, -1
	s_trap 2
	s_branch .LBB4_1491
.LBB4_1488:                             ;   in Loop: Header=BB4_1491 Depth=1
	s_wait_xcnt 0x0
	s_or_b32 exec_lo, exec_lo, s17
	v_add_nc_u64_e32 v[8:9], 1, v[8:9]
	global_wb scope:SCOPE_SYS
	s_wait_storecnt 0x0
	s_wait_loadcnt_dscnt 0x0
	flat_store_b64 v[32:33], v[8:9] scope:SCOPE_SYS
.LBB4_1489:                             ;   in Loop: Header=BB4_1491 Depth=1
	s_wait_xcnt 0x0
	s_or_b32 exec_lo, exec_lo, s10
.LBB4_1490:                             ;   in Loop: Header=BB4_1491 Depth=1
	s_delay_alu instid0(SALU_CYCLE_1) | instskip(SKIP_1) | instid1(VALU_DEP_1)
	s_or_b32 exec_lo, exec_lo, s18
	v_add_nc_u64_e32 v[102:103], v[102:103], v[50:51]
	v_cmp_ge_u64_e32 vcc_lo, v[102:103], v[4:5]
	s_or_b32 s13, vcc_lo, s13
	s_delay_alu instid0(SALU_CYCLE_1)
	s_and_not1_b32 exec_lo, exec_lo, s13
	s_cbranch_execz .LBB4_2036
.LBB4_1491:                             ; =>This Loop Header: Depth=1
                                        ;     Child Loop BB4_1500 Depth 2
                                        ;     Child Loop BB4_1524 Depth 2
	;; [unrolled: 1-line block ×10, first 2 shown]
	v_sub_nc_u64_e32 v[10:11], v[4:5], v[102:103]
	s_delay_alu instid0(VALU_DEP_1) | instskip(NEXT) | instid1(VALU_DEP_1)
	v_min_u64 v[112:113], v[50:51], v[10:11]
	v_add_nc_u32_e32 v10, 15, v112
	s_delay_alu instid0(VALU_DEP_2) | instskip(NEXT) | instid1(VALU_DEP_2)
	v_cmp_eq_u64_e32 vcc_lo, 0, v[112:113]
	v_and_b32_e32 v10, 0x3ffffff0, v10
	s_or_b32 s17, s1, vcc_lo
	s_delay_alu instid0(SALU_CYCLE_1) | instskip(NEXT) | instid1(VALU_DEP_1)
	s_xor_b32 s10, s17, -1
	v_dual_mov_b32 v10, 0 :: v_dual_max_i32 v113, s14, v10
	s_and_saveexec_b32 s18, s10
	s_cbranch_execz .LBB4_1987
; %bb.1492:                             ;   in Loop: Header=BB4_1491 Depth=1
	s_and_saveexec_b32 s10, s0
	s_cbranch_execz .LBB4_1494
; %bb.1493:                             ;   in Loop: Header=BB4_1491 Depth=1
	s_trap 2
	ds_load_b64 v[10:11], v0
	s_wait_dscnt 0x0
	v_lshl_add_u64 v[10:11], v[26:27], 1, v[10:11]
	s_delay_alu instid0(VALU_DEP_1)
	v_lshl_add_u64 v[10:11], v[102:103], 1, v[10:11]
	ds_store_b64 v0, v[10:11]
	ds_store_b64 v0, v[100:101]
.LBB4_1494:                             ;   in Loop: Header=BB4_1491 Depth=1
	s_or_b32 exec_lo, exec_lo, s10
	v_and_b32_e32 v10, 8, v30
	v_min_u32_e32 v113, v113, v112
	s_mov_b32 s19, exec_lo
	s_delay_alu instid0(VALU_DEP_2)
	v_cmpx_ne_u32_e32 0, v10
	s_cbranch_execz .LBB4_1516
; %bb.1495:                             ;   in Loop: Header=BB4_1491 Depth=1
	s_wait_loadcnt 0x0
	v_add_nc_u64_e32 v[12:13], 8, v[38:39]
	v_add_nc_u64_e32 v[10:11], 1, v[8:9]
	s_mov_b32 s20, exec_lo
	s_delay_alu instid0(VALU_DEP_1)
	v_cmpx_lt_u64_e64 v[12:13], v[10:11]
	s_cbranch_execz .LBB4_1507
; %bb.1496:                             ;   in Loop: Header=BB4_1491 Depth=1
	v_and_b32_e32 v9, 64, v30
	s_mov_b32 s21, 0
	s_mov_b32 s25, 0
                                        ; implicit-def: $sgpr22
                                        ; implicit-def: $sgpr23
                                        ; implicit-def: $sgpr24
	s_delay_alu instid0(VALU_DEP_1)
	v_cmp_eq_u32_e32 vcc_lo, 0, v9
	s_branch .LBB4_1500
.LBB4_1497:                             ;   in Loop: Header=BB4_1500 Depth=2
	s_wait_loadcnt_dscnt 0x0
	v_add_nc_u64_e32 v[12:13], 8, v[38:39]
	s_or_b32 s28, s28, exec_lo
	s_delay_alu instid0(VALU_DEP_1)
	v_cmp_ge_u64_e64 s10, v[12:13], v[10:11]
	s_or_not1_b32 s27, s10, exec_lo
.LBB4_1498:                             ;   in Loop: Header=BB4_1500 Depth=2
	s_or_b32 exec_lo, exec_lo, s40
	s_delay_alu instid0(SALU_CYCLE_1)
	s_and_not1_b32 s10, s24, exec_lo
	s_and_b32 s24, s28, exec_lo
	s_and_not1_b32 s23, s23, exec_lo
	s_and_b32 s27, s27, exec_lo
	s_or_b32 s24, s10, s24
	s_or_b32 s23, s23, s27
.LBB4_1499:                             ;   in Loop: Header=BB4_1500 Depth=2
	s_or_b32 exec_lo, exec_lo, s26
	s_delay_alu instid0(SALU_CYCLE_1) | instskip(NEXT) | instid1(SALU_CYCLE_1)
	s_and_b32 s10, exec_lo, s23
	s_or_b32 s21, s10, s21
	s_and_not1_b32 s10, s22, exec_lo
	s_and_b32 s22, s24, exec_lo
	s_delay_alu instid0(SALU_CYCLE_1)
	s_or_b32 s22, s10, s22
	s_and_not1_b32 exec_lo, exec_lo, s21
	s_cbranch_execz .LBB4_1504
.LBB4_1500:                             ;   Parent Loop BB4_1491 Depth=1
                                        ; =>  This Inner Loop Header: Depth=2
	s_sleep 1
	s_wait_loadcnt_dscnt 0x0
	flat_load_b64 v[38:39], v[32:33] scope:SCOPE_SYS
	s_or_b32 s24, s24, exec_lo
	s_or_b32 s23, s23, exec_lo
                                        ; implicit-def: $vgpr9
	s_wait_xcnt 0x0
	s_and_saveexec_b32 s26, vcc_lo
	s_cbranch_execz .LBB4_1499
; %bb.1501:                             ;   in Loop: Header=BB4_1500 Depth=2
	s_cmp_lt_i32 s25, 0x270f
	s_mov_b32 s27, -1
	s_cselect_b32 s29, -1, 0
	s_cmp_gt_i32 s25, 0x270e
	s_cbranch_scc0 .LBB4_1503
; %bb.1502:                             ;   in Loop: Header=BB4_1500 Depth=2
	s_trap 2
	ds_load_b64 v[12:13], v0
	s_and_not1_b32 s25, s29, exec_lo
	s_mov_b32 s28, 0
	s_wait_storecnt 0x0
	s_wait_loadcnt_dscnt 0x0
	flat_load_b32 v9, v[12:13] scope:SCOPE_SYS
	s_wait_loadcnt_dscnt 0x0
	global_inv scope:SCOPE_SYS
	v_cmp_eq_u32_e64 s10, 0, v9
	s_and_b32 s10, s10, exec_lo
	s_delay_alu instid0(SALU_CYCLE_1)
	s_or_b32 s29, s25, s10
	s_mov_b32 s25, 0
	s_wait_xcnt 0x0
	s_and_saveexec_b32 s40, s29
	s_cbranch_execz .LBB4_1498
	s_branch .LBB4_1497
.LBB4_1503:                             ;   in Loop: Header=BB4_1500 Depth=2
	s_add_co_i32 s25, s25, 1
	s_mov_b32 s28, -1
                                        ; implicit-def: $vgpr9
	s_and_saveexec_b32 s40, s29
	s_cbranch_execz .LBB4_1498
	s_branch .LBB4_1497
.LBB4_1504:                             ;   in Loop: Header=BB4_1491 Depth=1
	s_or_b32 exec_lo, exec_lo, s21
	s_xor_b32 s10, s22, -1
	s_delay_alu instid0(SALU_CYCLE_1) | instskip(NEXT) | instid1(SALU_CYCLE_1)
	s_and_saveexec_b32 s21, s10
	s_xor_b32 s10, exec_lo, s21
	s_cbranch_execz .LBB4_1506
; %bb.1505:                             ;   in Loop: Header=BB4_1491 Depth=1
	v_or_b32_e32 v30, 64, v30
	s_wait_storecnt 0x0
	s_wait_loadcnt_dscnt 0x0
	ds_store_b32 v0, v9
	s_trap 2
.LBB4_1506:                             ;   in Loop: Header=BB4_1491 Depth=1
	s_or_b32 exec_lo, exec_lo, s10
.LBB4_1507:                             ;   in Loop: Header=BB4_1491 Depth=1
	s_delay_alu instid0(SALU_CYCLE_1) | instskip(SKIP_4) | instid1(VALU_DEP_2)
	s_or_b32 exec_lo, exec_lo, s20
	v_and_b32_e32 v9, 0x100, v30
	v_and_b32_e32 v54, 7, v8
	s_mov_b32 s10, -1
	;;#ASMSTART
	s_wakeup
	;;#ASMEND
	v_cmp_ne_u32_e32 vcc_lo, 0, v9
                                        ; implicit-def: $vgpr8_vgpr9
	s_and_saveexec_b32 s20, vcc_lo
	s_cbranch_execz .LBB4_1511
; %bb.1508:                             ;   in Loop: Header=BB4_1491 Depth=1
	v_mad_nc_u64_u32 v[12:13], v54, 24, v[6:7]
	v_dual_mov_b32 v9, v55 :: v_dual_lshlrev_b32 v8, 1, v113
	s_mov_b32 s21, exec_lo
	s_clause 0x1
	flat_load_b32 v14, v[12:13]
	flat_store_b64 v[12:13], v[8:9] offset:8
                                        ; implicit-def: $vgpr8_vgpr9
	s_wait_loadcnt_dscnt 0x1
	v_cmp_ne_u32_e32 vcc_lo, 1, v14
	s_wait_xcnt 0x0
	v_cmpx_eq_u32_e32 1, v14
	s_cbranch_execz .LBB4_1510
; %bb.1509:                             ;   in Loop: Header=BB4_1491 Depth=1
	flat_load_b32 v8, v[12:13] offset:4 scope:SCOPE_SYS
	s_wait_loadcnt_dscnt 0x0
	v_ashrrev_i32_e32 v9, 31, v8
	s_delay_alu instid0(VALU_DEP_1)
	v_lshrrev_b64 v[8:9], 1, v[8:9]
.LBB4_1510:                             ;   in Loop: Header=BB4_1491 Depth=1
	s_wait_xcnt 0x0
	s_or_b32 exec_lo, exec_lo, s21
	s_delay_alu instid0(SALU_CYCLE_1)
	s_or_not1_b32 s10, vcc_lo, exec_lo
.LBB4_1511:                             ;   in Loop: Header=BB4_1491 Depth=1
	s_or_b32 exec_lo, exec_lo, s20
	s_and_saveexec_b32 s20, s10
; %bb.1512:                             ;   in Loop: Header=BB4_1491 Depth=1
	v_mul_u64_e32 v[8:9], v[54:55], v[34:35]
; %bb.1513:                             ;   in Loop: Header=BB4_1491 Depth=1
	s_or_b32 exec_lo, exec_lo, s20
	v_and_b32_e32 v12, 0x2000, v30
	s_delay_alu instid0(VALU_DEP_2)
	v_lshl_add_u64 v[8:9], v[8:9], 1, v[36:37]
	s_mov_b32 s10, exec_lo
	ds_store_b64 v0, v[8:9] offset:784
	v_cmpx_ne_u32_e32 0, v12
	s_cbranch_execz .LBB4_1515
; %bb.1514:                             ;   in Loop: Header=BB4_1491 Depth=1
	ds_load_b64 v[8:9], v0 offset:872
	s_wait_dscnt 0x0
	v_add_nc_u64_e32 v[8:9], 1, v[8:9]
	ds_store_b64 v0, v[8:9] offset:872
.LBB4_1515:                             ;   in Loop: Header=BB4_1491 Depth=1
	s_or_b32 exec_lo, exec_lo, s10
	v_mov_b64_e32 v[8:9], v[10:11]
.LBB4_1516:                             ;   in Loop: Header=BB4_1491 Depth=1
	s_or_b32 exec_lo, exec_lo, s19
	s_and_saveexec_b32 s10, s2
	s_cbranch_execz .LBB4_1535
; %bb.1517:                             ;   in Loop: Header=BB4_1491 Depth=1
	s_and_saveexec_b32 s19, s3
	s_delay_alu instid0(SALU_CYCLE_1)
	s_xor_b32 s19, exec_lo, s19
	s_cbranch_execz .LBB4_1532
; %bb.1518:                             ;   in Loop: Header=BB4_1491 Depth=1
	s_and_saveexec_b32 s20, s4
	s_cbranch_execz .LBB4_1531
; %bb.1519:                             ;   in Loop: Header=BB4_1491 Depth=1
	s_mov_b32 s22, exec_lo
	s_mov_b32 s21, exec_lo
	v_mbcnt_lo_u32_b32 v10, s22, 0
	global_wb scope:SCOPE_DEV
	s_wait_storecnt 0x0
	s_wait_loadcnt_dscnt 0x0
	global_inv scope:SCOPE_DEV
	v_cmpx_eq_u32_e32 0, v10
	s_cbranch_execz .LBB4_1521
; %bb.1520:                             ;   in Loop: Header=BB4_1491 Depth=1
	s_bcnt1_i32_b32 s22, s22
	s_delay_alu instid0(SALU_CYCLE_1)
	v_mov_b32_e32 v54, s22
	s_wait_loadcnt 0x0
	ds_add_u64 v0, v[54:55]
	s_trap 2
.LBB4_1521:                             ;   in Loop: Header=BB4_1491 Depth=1
	s_or_b32 exec_lo, exec_lo, s21
	s_trap 2
	ds_load_b64 v[10:11], v0
	s_wait_dscnt 0x0
	v_add_nc_u64_e32 v[48:49], v[48:49], v[64:65]
	s_mov_b32 s21, exec_lo
	s_delay_alu instid0(VALU_DEP_1)
	v_cmpx_lt_u64_e64 v[10:11], v[48:49]
	s_cbranch_execz .LBB4_1530
; %bb.1522:                             ;   in Loop: Header=BB4_1491 Depth=1
	s_mov_b32 s22, 0
	s_mov_b32 s25, 0
                                        ; implicit-def: $sgpr23
                                        ; implicit-def: $sgpr24
	s_branch .LBB4_1524
.LBB4_1523:                             ;   in Loop: Header=BB4_1524 Depth=2
	s_or_b32 exec_lo, exec_lo, s27
	s_delay_alu instid0(SALU_CYCLE_1) | instskip(NEXT) | instid1(SALU_CYCLE_1)
	s_and_b32 s26, exec_lo, s28
	s_or_b32 s22, s26, s22
	s_and_not1_b32 s23, s23, exec_lo
	s_and_b32 s26, s24, exec_lo
	s_delay_alu instid0(SALU_CYCLE_1)
	s_or_b32 s23, s23, s26
	s_and_not1_b32 exec_lo, exec_lo, s22
	s_cbranch_execz .LBB4_1528
.LBB4_1524:                             ;   Parent Loop BB4_1491 Depth=1
                                        ; =>  This Inner Loop Header: Depth=2
	s_add_co_i32 s25, s25, 1
	s_delay_alu instid0(SALU_CYCLE_1) | instskip(SKIP_1) | instid1(SALU_CYCLE_1)
	s_cmp_lg_u32 s25, 0x2710
	s_cselect_b32 s26, -1, 0
	s_and_b32 vcc_lo, exec_lo, s26
	s_cbranch_vccz .LBB4_1526
; %bb.1525:                             ;   in Loop: Header=BB4_1524 Depth=2
	s_mov_b32 s28, -1
	s_or_b32 s24, s24, exec_lo
	s_and_saveexec_b32 s27, s26
	s_cbranch_execz .LBB4_1523
	s_branch .LBB4_1527
.LBB4_1526:                             ;   in Loop: Header=BB4_1524 Depth=2
	s_trap 2
	ds_load_b64 v[10:11], v0
	s_and_not1_b32 s26, s26, exec_lo
	s_mov_b32 s25, 0
	s_wait_loadcnt_dscnt 0x0
	flat_load_b32 v10, v[10:11] scope:SCOPE_SYS
	s_wait_loadcnt_dscnt 0x0
	global_inv scope:SCOPE_SYS
	v_cmp_eq_u32_e32 vcc_lo, 0, v10
	s_and_b32 s27, vcc_lo, exec_lo
	s_delay_alu instid0(SALU_CYCLE_1)
	s_or_b32 s26, s26, s27
	s_mov_b32 s28, -1
	s_or_b32 s24, s24, exec_lo
	s_wait_xcnt 0x0
	s_and_saveexec_b32 s27, s26
	s_cbranch_execz .LBB4_1523
.LBB4_1527:                             ;   in Loop: Header=BB4_1524 Depth=2
	s_sleep 1
	s_trap 2
	ds_load_b64 v[10:11], v0
	s_wait_dscnt 0x0
	s_and_not1_b32 s24, s24, exec_lo
	v_cmp_ge_u64_e32 vcc_lo, v[10:11], v[48:49]
	s_or_not1_b32 s28, vcc_lo, exec_lo
	s_branch .LBB4_1523
.LBB4_1528:                             ;   in Loop: Header=BB4_1491 Depth=1
	s_or_b32 exec_lo, exec_lo, s22
	s_and_saveexec_b32 s22, s23
	s_delay_alu instid0(SALU_CYCLE_1)
	s_xor_b32 s22, exec_lo, s22
	s_cbranch_execz .LBB4_1530
; %bb.1529:                             ;   in Loop: Header=BB4_1491 Depth=1
	ds_store_b32 v0, v47
	s_trap 2
.LBB4_1530:                             ;   in Loop: Header=BB4_1491 Depth=1
	s_or_b32 exec_lo, exec_lo, s21
	;;#ASMSTART
	s_wakeup
	;;#ASMEND
.LBB4_1531:                             ;   in Loop: Header=BB4_1491 Depth=1
	s_or_b32 exec_lo, exec_lo, s20
.LBB4_1532:                             ;   in Loop: Header=BB4_1491 Depth=1
	s_and_not1_saveexec_b32 s19, s19
	s_cbranch_execz .LBB4_1534
; %bb.1533:                             ;   in Loop: Header=BB4_1491 Depth=1
	global_wb scope:SCOPE_DEV
	s_wait_storecnt 0x0
	s_wait_loadcnt_dscnt 0x0
	global_inv scope:SCOPE_DEV
	s_barrier_signal -1
	s_barrier_wait -1
.LBB4_1534:                             ;   in Loop: Header=BB4_1491 Depth=1
	s_or_b32 exec_lo, exec_lo, s19
.LBB4_1535:                             ;   in Loop: Header=BB4_1491 Depth=1
	s_delay_alu instid0(SALU_CYCLE_1) | instskip(SKIP_3) | instid1(VALU_DEP_1)
	s_or_b32 exec_lo, exec_lo, s10
	s_trap 2
	ds_load_b32 v10, v0
	v_and_b32_e32 v11, 0x4000, v30
	v_cmp_ne_u32_e32 vcc_lo, 0, v11
	s_and_b32 s19, s15, vcc_lo
	s_delay_alu instid0(SALU_CYCLE_1)
	s_and_saveexec_b32 s10, s19
	s_cbranch_execz .LBB4_1554
; %bb.1536:                             ;   in Loop: Header=BB4_1491 Depth=1
	s_and_saveexec_b32 s19, s3
	s_delay_alu instid0(SALU_CYCLE_1)
	s_xor_b32 s19, exec_lo, s19
	s_cbranch_execz .LBB4_1551
; %bb.1537:                             ;   in Loop: Header=BB4_1491 Depth=1
	s_and_saveexec_b32 s20, s4
	s_cbranch_execz .LBB4_1550
; %bb.1538:                             ;   in Loop: Header=BB4_1491 Depth=1
	s_mov_b32 s22, exec_lo
	s_mov_b32 s21, exec_lo
	v_mbcnt_lo_u32_b32 v11, s22, 0
	global_wb scope:SCOPE_DEV
	s_wait_storecnt 0x0
	s_wait_loadcnt_dscnt 0x0
	global_inv scope:SCOPE_DEV
	v_cmpx_eq_u32_e32 0, v11
	s_cbranch_execz .LBB4_1540
; %bb.1539:                             ;   in Loop: Header=BB4_1491 Depth=1
	s_bcnt1_i32_b32 s22, s22
	s_delay_alu instid0(SALU_CYCLE_1)
	v_mov_b32_e32 v54, s22
	s_wait_loadcnt 0x0
	ds_add_u64 v0, v[54:55]
	s_trap 2
.LBB4_1540:                             ;   in Loop: Header=BB4_1491 Depth=1
	s_or_b32 exec_lo, exec_lo, s21
	s_trap 2
	ds_load_b64 v[12:13], v0
	s_wait_dscnt 0x0
	v_add_nc_u64_e32 v[48:49], v[48:49], v[64:65]
	s_mov_b32 s21, exec_lo
	s_delay_alu instid0(VALU_DEP_1)
	v_cmpx_lt_u64_e64 v[12:13], v[48:49]
	s_cbranch_execz .LBB4_1549
; %bb.1541:                             ;   in Loop: Header=BB4_1491 Depth=1
	s_mov_b32 s22, 0
	s_mov_b32 s25, 0
                                        ; implicit-def: $sgpr23
                                        ; implicit-def: $sgpr24
	s_branch .LBB4_1543
.LBB4_1542:                             ;   in Loop: Header=BB4_1543 Depth=2
	s_or_b32 exec_lo, exec_lo, s27
	s_delay_alu instid0(SALU_CYCLE_1) | instskip(NEXT) | instid1(SALU_CYCLE_1)
	s_and_b32 s26, exec_lo, s28
	s_or_b32 s22, s26, s22
	s_and_not1_b32 s23, s23, exec_lo
	s_and_b32 s26, s24, exec_lo
	s_delay_alu instid0(SALU_CYCLE_1)
	s_or_b32 s23, s23, s26
	s_and_not1_b32 exec_lo, exec_lo, s22
	s_cbranch_execz .LBB4_1547
.LBB4_1543:                             ;   Parent Loop BB4_1491 Depth=1
                                        ; =>  This Inner Loop Header: Depth=2
	s_add_co_i32 s25, s25, 1
	s_delay_alu instid0(SALU_CYCLE_1) | instskip(SKIP_1) | instid1(SALU_CYCLE_1)
	s_cmp_lg_u32 s25, 0x2710
	s_cselect_b32 s26, -1, 0
	s_and_b32 vcc_lo, exec_lo, s26
	s_cbranch_vccz .LBB4_1545
; %bb.1544:                             ;   in Loop: Header=BB4_1543 Depth=2
	s_mov_b32 s28, -1
	s_or_b32 s24, s24, exec_lo
	s_and_saveexec_b32 s27, s26
	s_cbranch_execz .LBB4_1542
	s_branch .LBB4_1546
.LBB4_1545:                             ;   in Loop: Header=BB4_1543 Depth=2
	s_trap 2
	ds_load_b64 v[12:13], v0
	s_and_not1_b32 s26, s26, exec_lo
	s_mov_b32 s25, 0
	s_wait_loadcnt_dscnt 0x0
	flat_load_b32 v11, v[12:13] scope:SCOPE_SYS
	s_wait_loadcnt_dscnt 0x0
	global_inv scope:SCOPE_SYS
	v_cmp_eq_u32_e32 vcc_lo, 0, v11
	s_and_b32 s27, vcc_lo, exec_lo
	s_delay_alu instid0(SALU_CYCLE_1)
	s_or_b32 s26, s26, s27
	s_mov_b32 s28, -1
	s_or_b32 s24, s24, exec_lo
	s_wait_xcnt 0x0
	s_and_saveexec_b32 s27, s26
	s_cbranch_execz .LBB4_1542
.LBB4_1546:                             ;   in Loop: Header=BB4_1543 Depth=2
	s_sleep 1
	s_trap 2
	ds_load_b64 v[12:13], v0
	s_wait_dscnt 0x0
	s_and_not1_b32 s24, s24, exec_lo
	v_cmp_ge_u64_e32 vcc_lo, v[12:13], v[48:49]
	s_or_not1_b32 s28, vcc_lo, exec_lo
	s_branch .LBB4_1542
.LBB4_1547:                             ;   in Loop: Header=BB4_1491 Depth=1
	s_or_b32 exec_lo, exec_lo, s22
	s_and_saveexec_b32 s22, s23
	s_delay_alu instid0(SALU_CYCLE_1)
	s_xor_b32 s22, exec_lo, s22
	s_cbranch_execz .LBB4_1549
; %bb.1548:                             ;   in Loop: Header=BB4_1491 Depth=1
	ds_store_b32 v0, v47
	s_trap 2
.LBB4_1549:                             ;   in Loop: Header=BB4_1491 Depth=1
	s_or_b32 exec_lo, exec_lo, s21
	;;#ASMSTART
	s_wakeup
	;;#ASMEND
.LBB4_1550:                             ;   in Loop: Header=BB4_1491 Depth=1
	s_or_b32 exec_lo, exec_lo, s20
.LBB4_1551:                             ;   in Loop: Header=BB4_1491 Depth=1
	s_and_not1_saveexec_b32 s19, s19
	s_cbranch_execz .LBB4_1553
; %bb.1552:                             ;   in Loop: Header=BB4_1491 Depth=1
	global_wb scope:SCOPE_DEV
	s_wait_storecnt 0x0
	s_wait_loadcnt_dscnt 0x0
	global_inv scope:SCOPE_DEV
	s_barrier_signal -1
	s_barrier_wait -1
.LBB4_1553:                             ;   in Loop: Header=BB4_1491 Depth=1
	s_or_b32 exec_lo, exec_lo, s19
.LBB4_1554:                             ;   in Loop: Header=BB4_1491 Depth=1
	s_delay_alu instid0(SALU_CYCLE_1)
	s_or_b32 exec_lo, exec_lo, s10
	s_trap 2
	ds_load_b64 v[114:115], v0
	s_wait_dscnt 0x0
	v_cmp_eq_u64_e32 vcc_lo, 0, v[114:115]
	s_cbranch_vccnz .LBB4_1562
; %bb.1555:                             ;   in Loop: Header=BB4_1491 Depth=1
	s_trap 2
	ds_load_b64 v[116:117], v0
	s_wait_dscnt 0x0
	v_cmp_eq_u64_e32 vcc_lo, 0, v[116:117]
	s_cbranch_vccnz .LBB4_1562
; %bb.1556:                             ;   in Loop: Header=BB4_1491 Depth=1
	s_mov_b32 s10, -1
	s_and_saveexec_b32 s19, s5
	s_cbranch_execz .LBB4_1558
; %bb.1557:                             ;   in Loop: Header=BB4_1491 Depth=1
	ds_load_b32 v11, v0 offset:720
	s_wait_dscnt 0x0
	v_and_b32_e32 v11, 15, v11
	s_delay_alu instid0(VALU_DEP_1)
	v_cmp_eq_u32_e32 vcc_lo, 0, v11
	s_or_not1_b32 s10, vcc_lo, exec_lo
.LBB4_1558:                             ;   in Loop: Header=BB4_1491 Depth=1
	s_or_b32 exec_lo, exec_lo, s19
	s_and_saveexec_b32 s19, s6
	s_cbranch_execz .LBB4_1560
; %bb.1559:                             ;   in Loop: Header=BB4_1491 Depth=1
	ds_load_b32 v11, v0 offset:784
	s_wait_dscnt 0x0
	v_and_b32_e32 v11, 15, v11
	s_delay_alu instid0(VALU_DEP_1) | instskip(SKIP_3) | instid1(SALU_CYCLE_1)
	v_cmp_eq_u32_e32 vcc_lo, 0, v11
	s_and_b32 s20, s10, vcc_lo
	s_and_not1_b32 s10, s10, exec_lo
	s_and_b32 s20, s20, exec_lo
	s_or_b32 s10, s10, s20
.LBB4_1560:                             ;   in Loop: Header=BB4_1491 Depth=1
	s_or_b32 exec_lo, exec_lo, s19
	s_xor_b32 s10, s10, -1
	s_mov_b32 s20, -1
	v_cndmask_b32_e64 v11, 0, 1, s10
	v_cmp_eq_u32_e64 s10, 0, v10
	s_delay_alu instid0(VALU_DEP_2)
	v_cmp_ne_u32_e32 vcc_lo, 0, v11
	s_cbranch_vccz .LBB4_1563
; %bb.1561:                             ;   in Loop: Header=BB4_1491 Depth=1
	s_mov_b32 s20, 0
	s_mov_b32 s19, -1
	s_branch .LBB4_1564
.LBB4_1562:                             ;   in Loop: Header=BB4_1491 Depth=1
	s_mov_b32 s10, 0
	s_and_saveexec_b32 s19, s2
	s_cbranch_execnz .LBB4_1962
	s_branch .LBB4_1980
.LBB4_1563:                             ;   in Loop: Header=BB4_1491 Depth=1
	s_mov_b32 s19, 0
.LBB4_1564:                             ;   in Loop: Header=BB4_1491 Depth=1
	v_dual_cndmask_b32 v54, 0, v113, s10 :: v_dual_mov_b32 v14, 0
	s_and_not1_b32 vcc_lo, exec_lo, s20
	s_delay_alu instid0(VALU_DEP_1)
	v_lshlrev_b32_e32 v56, 1, v54
	s_cbranch_vccnz .LBB4_1700
; %bb.1565:                             ;   in Loop: Header=BB4_1491 Depth=1
	v_lshrrev_b32_e32 v57, 9, v54
	v_add_nc_u64_e32 v[118:119], v[116:117], v[82:83]
	s_mov_b32 s20, 0
	s_mov_b32 s10, exec_lo
                                        ; implicit-def: $vgpr14_vgpr15
                                        ; implicit-def: $vgpr10_vgpr11
	s_delay_alu instid0(VALU_DEP_2) | instskip(NEXT) | instid1(VALU_DEP_1)
	v_sub_nc_u32_e32 v58, v57, v46
	v_cmpx_lt_i32_e32 0, v58
	s_cbranch_execz .LBB4_1702
; %bb.1566:                             ;   in Loop: Header=BB4_1491 Depth=1
	s_trap 2
	ds_load_b32 v10, v0
	v_add_nc_u64_e32 v[40:41], v[114:115], v[82:83]
	s_mov_b32 s22, 0
                                        ; implicit-def: $sgpr21
                                        ; implicit-def: $vgpr14_vgpr15
	s_wait_dscnt 0x0
	v_lshlrev_b32_e32 v59, 16, v10
                                        ; implicit-def: $vgpr10_vgpr11
	s_branch .LBB4_1568
.LBB4_1567:                             ;   in Loop: Header=BB4_1568 Depth=2
	s_or_b32 exec_lo, exec_lo, s23
	v_dual_lshrrev_b32 v61, 16, v61 :: v_dual_lshrrev_b32 v60, 16, v60
	v_dual_lshrrev_b32 v62, 16, v62 :: v_dual_lshrrev_b32 v63, 16, v63
	s_delay_alu instid0(VALU_DEP_2) | instskip(NEXT) | instid1(VALU_DEP_3)
	v_and_or_b32 v23, 0xffff0000, v23, v61
	v_and_or_b32 v22, 0xffff0000, v22, v60
	v_dual_lshrrev_b32 v60, 16, v73 :: v_dual_lshrrev_b32 v61, 16, v72
	v_cndmask_b32_e64 v72, 0, v64, s22
	v_and_or_b32 v24, 0xffff0000, v24, v62
	v_and_or_b32 v25, 0xffff0000, v25, v63
	v_dual_lshrrev_b32 v62, 16, v74 :: v_dual_lshrrev_b32 v63, 16, v75
	v_and_or_b32 v18, 0xffff0000, v18, v61
	v_dual_cndmask_b32 v61, 0, v67, s22 :: v_dual_sub_nc_u32 v58, v58, v72
	v_and_or_b32 v19, 0xffff0000, v19, v60
	s_delay_alu instid0(VALU_DEP_4)
	v_and_or_b32 v20, 0xffff0000, v20, v62
	v_and_or_b32 v21, 0xffff0000, v21, v63
	v_dual_cndmask_b32 v60, 0, v66, s22 :: v_dual_cndmask_b32 v63, 0, v85, s22
	v_cndmask_b32_e64 v62, 0x400, v84, s22
	v_cmp_gt_i32_e32 vcc_lo, 1, v58
	s_clause 0x1
	global_store_b128 v[118:119], v[22:25], off th:TH_STORE_NT
	global_store_b128 v[118:119], v[18:21], off offset:512 th:TH_STORE_NT
	v_add_nc_u64_e32 v[40:41], v[40:41], v[60:61]
	s_wait_xcnt 0x0
	v_add_nc_u64_e32 v[118:119], v[118:119], v[62:63]
	s_or_b32 s20, vcc_lo, s20
	s_and_not1_b32 s21, s21, exec_lo
	s_and_b32 s23, s22, exec_lo
	s_delay_alu instid0(SALU_CYCLE_1)
	s_or_b32 s21, s21, s23
	s_and_not1_b32 exec_lo, exec_lo, s20
	s_cbranch_execz .LBB4_1701
.LBB4_1568:                             ;   Parent Loop BB4_1491 Depth=1
                                        ; =>  This Inner Loop Header: Depth=2
	s_clause 0x1
	global_load_b128 v[22:25], v[40:41], off th:TH_LOAD_NT
	global_load_b128 v[18:21], v[40:41], off offset:512 th:TH_LOAD_NT
	s_wait_xcnt 0x0
	s_and_saveexec_b32 s23, s22
	s_cbranch_execz .LBB4_1634
; %bb.1569:                             ;   in Loop: Header=BB4_1568 Depth=2
	v_lshlrev_b32_e32 v60, 16, v14
	s_delay_alu instid0(VALU_DEP_1) | instskip(NEXT) | instid1(VALU_DEP_1)
	v_mul_f32_e32 v61, v59, v60
	v_and_b32_e32 v60, 0x7f800000, v61
	s_delay_alu instid0(VALU_DEP_1) | instskip(SKIP_1) | instid1(SALU_CYCLE_1)
	v_cmp_ne_u32_e32 vcc_lo, 0x7f800000, v60
                                        ; implicit-def: $vgpr60
	s_and_saveexec_b32 s22, vcc_lo
	s_xor_b32 s22, exec_lo, s22
; %bb.1570:                             ;   in Loop: Header=BB4_1568 Depth=2
	v_bfe_u32 v60, v61, 16, 1
	s_delay_alu instid0(VALU_DEP_1)
	v_add3_u32 v60, v61, v60, 0x7fff
                                        ; implicit-def: $vgpr61
; %bb.1571:                             ;   in Loop: Header=BB4_1568 Depth=2
	s_and_not1_saveexec_b32 s22, s22
; %bb.1572:                             ;   in Loop: Header=BB4_1568 Depth=2
	v_and_b32_e32 v60, 0xffff, v61
	v_or_b32_e32 v62, 0x10000, v61
	s_delay_alu instid0(VALU_DEP_2) | instskip(NEXT) | instid1(VALU_DEP_2)
	v_cmp_eq_u32_e32 vcc_lo, 0, v60
	v_cndmask_b32_e32 v60, v62, v61, vcc_lo
; %bb.1573:                             ;   in Loop: Header=BB4_1568 Depth=2
	s_or_b32 exec_lo, exec_lo, s22
	v_and_b32_e32 v14, 0xffff0000, v14
	s_delay_alu instid0(VALU_DEP_1) | instskip(NEXT) | instid1(VALU_DEP_1)
	v_mul_f32_e32 v61, v59, v14
	v_and_b32_e32 v14, 0x7f800000, v61
	s_delay_alu instid0(VALU_DEP_1) | instskip(SKIP_1) | instid1(SALU_CYCLE_1)
	v_cmp_ne_u32_e32 vcc_lo, 0x7f800000, v14
                                        ; implicit-def: $vgpr14
	s_and_saveexec_b32 s22, vcc_lo
	s_xor_b32 s22, exec_lo, s22
; %bb.1574:                             ;   in Loop: Header=BB4_1568 Depth=2
	v_bfe_u32 v14, v61, 16, 1
	s_delay_alu instid0(VALU_DEP_1)
	v_add3_u32 v14, v61, v14, 0x7fff
                                        ; implicit-def: $vgpr61
; %bb.1575:                             ;   in Loop: Header=BB4_1568 Depth=2
	s_and_not1_saveexec_b32 s22, s22
; %bb.1576:                             ;   in Loop: Header=BB4_1568 Depth=2
	v_and_b32_e32 v14, 0xffff, v61
	v_or_b32_e32 v62, 0x10000, v61
	s_delay_alu instid0(VALU_DEP_2) | instskip(NEXT) | instid1(VALU_DEP_2)
	v_cmp_eq_u32_e32 vcc_lo, 0, v14
	v_cndmask_b32_e32 v14, v62, v61, vcc_lo
; %bb.1577:                             ;   in Loop: Header=BB4_1568 Depth=2
	s_or_b32 exec_lo, exec_lo, s22
	v_lshlrev_b32_e32 v61, 16, v15
	s_delay_alu instid0(VALU_DEP_1) | instskip(NEXT) | instid1(VALU_DEP_1)
	v_mul_f32_e32 v62, v59, v61
	v_and_b32_e32 v61, 0x7f800000, v62
	s_delay_alu instid0(VALU_DEP_1) | instskip(SKIP_1) | instid1(SALU_CYCLE_1)
	v_cmp_ne_u32_e32 vcc_lo, 0x7f800000, v61
                                        ; implicit-def: $vgpr61
	s_and_saveexec_b32 s22, vcc_lo
	s_xor_b32 s22, exec_lo, s22
; %bb.1578:                             ;   in Loop: Header=BB4_1568 Depth=2
	v_bfe_u32 v61, v62, 16, 1
	s_delay_alu instid0(VALU_DEP_1)
	v_add3_u32 v61, v62, v61, 0x7fff
                                        ; implicit-def: $vgpr62
; %bb.1579:                             ;   in Loop: Header=BB4_1568 Depth=2
	s_and_not1_saveexec_b32 s22, s22
; %bb.1580:                             ;   in Loop: Header=BB4_1568 Depth=2
	v_and_b32_e32 v61, 0xffff, v62
	v_or_b32_e32 v63, 0x10000, v62
	s_delay_alu instid0(VALU_DEP_2) | instskip(NEXT) | instid1(VALU_DEP_2)
	v_cmp_eq_u32_e32 vcc_lo, 0, v61
	v_cndmask_b32_e32 v61, v63, v62, vcc_lo
; %bb.1581:                             ;   in Loop: Header=BB4_1568 Depth=2
	s_or_b32 exec_lo, exec_lo, s22
	v_and_b32_e32 v15, 0xffff0000, v15
	s_delay_alu instid0(VALU_DEP_1) | instskip(NEXT) | instid1(VALU_DEP_1)
	v_mul_f32_e32 v62, v59, v15
	v_and_b32_e32 v15, 0x7f800000, v62
	s_delay_alu instid0(VALU_DEP_1) | instskip(SKIP_1) | instid1(SALU_CYCLE_1)
	v_cmp_ne_u32_e32 vcc_lo, 0x7f800000, v15
                                        ; implicit-def: $vgpr15
	s_and_saveexec_b32 s22, vcc_lo
	s_xor_b32 s22, exec_lo, s22
; %bb.1582:                             ;   in Loop: Header=BB4_1568 Depth=2
	v_bfe_u32 v15, v62, 16, 1
	s_delay_alu instid0(VALU_DEP_1)
	v_add3_u32 v15, v62, v15, 0x7fff
                                        ; implicit-def: $vgpr62
; %bb.1583:                             ;   in Loop: Header=BB4_1568 Depth=2
	s_and_not1_saveexec_b32 s22, s22
; %bb.1584:                             ;   in Loop: Header=BB4_1568 Depth=2
	v_and_b32_e32 v15, 0xffff, v62
	v_or_b32_e32 v63, 0x10000, v62
	s_delay_alu instid0(VALU_DEP_2) | instskip(NEXT) | instid1(VALU_DEP_2)
	v_cmp_eq_u32_e32 vcc_lo, 0, v15
	v_cndmask_b32_e32 v15, v63, v62, vcc_lo
; %bb.1585:                             ;   in Loop: Header=BB4_1568 Depth=2
	s_or_b32 exec_lo, exec_lo, s22
	v_lshlrev_b32_e32 v62, 16, v16
	s_delay_alu instid0(VALU_DEP_1) | instskip(NEXT) | instid1(VALU_DEP_1)
	v_mul_f32_e32 v63, v59, v62
	v_and_b32_e32 v62, 0x7f800000, v63
	s_delay_alu instid0(VALU_DEP_1) | instskip(SKIP_1) | instid1(SALU_CYCLE_1)
	v_cmp_ne_u32_e32 vcc_lo, 0x7f800000, v62
                                        ; implicit-def: $vgpr62
	s_and_saveexec_b32 s22, vcc_lo
	s_xor_b32 s22, exec_lo, s22
; %bb.1586:                             ;   in Loop: Header=BB4_1568 Depth=2
	v_bfe_u32 v62, v63, 16, 1
	s_delay_alu instid0(VALU_DEP_1)
	v_add3_u32 v62, v63, v62, 0x7fff
                                        ; implicit-def: $vgpr63
; %bb.1587:                             ;   in Loop: Header=BB4_1568 Depth=2
	s_and_not1_saveexec_b32 s22, s22
; %bb.1588:                             ;   in Loop: Header=BB4_1568 Depth=2
	v_and_b32_e32 v62, 0xffff, v63
	v_or_b32_e32 v72, 0x10000, v63
	s_delay_alu instid0(VALU_DEP_2) | instskip(NEXT) | instid1(VALU_DEP_2)
	v_cmp_eq_u32_e32 vcc_lo, 0, v62
	v_cndmask_b32_e32 v62, v72, v63, vcc_lo
; %bb.1589:                             ;   in Loop: Header=BB4_1568 Depth=2
	s_or_b32 exec_lo, exec_lo, s22
	v_and_b32_e32 v16, 0xffff0000, v16
	s_delay_alu instid0(VALU_DEP_1) | instskip(NEXT) | instid1(VALU_DEP_1)
	v_mul_f32_e32 v63, v59, v16
	v_and_b32_e32 v16, 0x7f800000, v63
	s_delay_alu instid0(VALU_DEP_1) | instskip(SKIP_1) | instid1(SALU_CYCLE_1)
	v_cmp_ne_u32_e32 vcc_lo, 0x7f800000, v16
                                        ; implicit-def: $vgpr16
	s_and_saveexec_b32 s22, vcc_lo
	s_xor_b32 s22, exec_lo, s22
; %bb.1590:                             ;   in Loop: Header=BB4_1568 Depth=2
	v_bfe_u32 v16, v63, 16, 1
	s_delay_alu instid0(VALU_DEP_1)
	v_add3_u32 v16, v63, v16, 0x7fff
                                        ; implicit-def: $vgpr63
; %bb.1591:                             ;   in Loop: Header=BB4_1568 Depth=2
	s_and_not1_saveexec_b32 s22, s22
; %bb.1592:                             ;   in Loop: Header=BB4_1568 Depth=2
	v_and_b32_e32 v16, 0xffff, v63
	v_or_b32_e32 v72, 0x10000, v63
	s_delay_alu instid0(VALU_DEP_2) | instskip(NEXT) | instid1(VALU_DEP_2)
	v_cmp_eq_u32_e32 vcc_lo, 0, v16
	v_cndmask_b32_e32 v16, v72, v63, vcc_lo
; %bb.1593:                             ;   in Loop: Header=BB4_1568 Depth=2
	s_or_b32 exec_lo, exec_lo, s22
	v_lshlrev_b32_e32 v63, 16, v17
	s_delay_alu instid0(VALU_DEP_1) | instskip(NEXT) | instid1(VALU_DEP_1)
	v_mul_f32_e32 v72, v59, v63
	v_and_b32_e32 v63, 0x7f800000, v72
	s_delay_alu instid0(VALU_DEP_1) | instskip(SKIP_1) | instid1(SALU_CYCLE_1)
	v_cmp_ne_u32_e32 vcc_lo, 0x7f800000, v63
                                        ; implicit-def: $vgpr63
	s_and_saveexec_b32 s22, vcc_lo
	s_xor_b32 s22, exec_lo, s22
; %bb.1594:                             ;   in Loop: Header=BB4_1568 Depth=2
	v_bfe_u32 v63, v72, 16, 1
	s_delay_alu instid0(VALU_DEP_1)
	v_add3_u32 v63, v72, v63, 0x7fff
                                        ; implicit-def: $vgpr72
; %bb.1595:                             ;   in Loop: Header=BB4_1568 Depth=2
	s_and_not1_saveexec_b32 s22, s22
; %bb.1596:                             ;   in Loop: Header=BB4_1568 Depth=2
	v_and_b32_e32 v63, 0xffff, v72
	v_or_b32_e32 v73, 0x10000, v72
	s_delay_alu instid0(VALU_DEP_2) | instskip(NEXT) | instid1(VALU_DEP_2)
	v_cmp_eq_u32_e32 vcc_lo, 0, v63
	v_cndmask_b32_e32 v63, v73, v72, vcc_lo
; %bb.1597:                             ;   in Loop: Header=BB4_1568 Depth=2
	s_or_b32 exec_lo, exec_lo, s22
	v_and_b32_e32 v17, 0xffff0000, v17
	s_delay_alu instid0(VALU_DEP_1) | instskip(NEXT) | instid1(VALU_DEP_1)
	v_mul_f32_e32 v72, v59, v17
	v_and_b32_e32 v17, 0x7f800000, v72
	s_delay_alu instid0(VALU_DEP_1) | instskip(SKIP_1) | instid1(SALU_CYCLE_1)
	v_cmp_ne_u32_e32 vcc_lo, 0x7f800000, v17
                                        ; implicit-def: $vgpr17
	s_and_saveexec_b32 s22, vcc_lo
	s_xor_b32 s22, exec_lo, s22
; %bb.1598:                             ;   in Loop: Header=BB4_1568 Depth=2
	v_bfe_u32 v17, v72, 16, 1
	s_delay_alu instid0(VALU_DEP_1)
	v_add3_u32 v17, v72, v17, 0x7fff
                                        ; implicit-def: $vgpr72
; %bb.1599:                             ;   in Loop: Header=BB4_1568 Depth=2
	s_and_not1_saveexec_b32 s22, s22
; %bb.1600:                             ;   in Loop: Header=BB4_1568 Depth=2
	v_and_b32_e32 v17, 0xffff, v72
	v_or_b32_e32 v73, 0x10000, v72
	s_delay_alu instid0(VALU_DEP_2) | instskip(NEXT) | instid1(VALU_DEP_2)
	v_cmp_eq_u32_e32 vcc_lo, 0, v17
	v_cndmask_b32_e32 v17, v73, v72, vcc_lo
; %bb.1601:                             ;   in Loop: Header=BB4_1568 Depth=2
	s_or_b32 exec_lo, exec_lo, s22
	v_lshlrev_b32_e32 v72, 16, v10
	s_delay_alu instid0(VALU_DEP_1) | instskip(NEXT) | instid1(VALU_DEP_1)
	v_mul_f32_e32 v73, v59, v72
	v_and_b32_e32 v72, 0x7f800000, v73
	s_delay_alu instid0(VALU_DEP_1) | instskip(SKIP_1) | instid1(SALU_CYCLE_1)
	v_cmp_ne_u32_e32 vcc_lo, 0x7f800000, v72
                                        ; implicit-def: $vgpr72
	s_and_saveexec_b32 s22, vcc_lo
	s_xor_b32 s22, exec_lo, s22
; %bb.1602:                             ;   in Loop: Header=BB4_1568 Depth=2
	v_bfe_u32 v72, v73, 16, 1
	s_delay_alu instid0(VALU_DEP_1)
	v_add3_u32 v72, v73, v72, 0x7fff
                                        ; implicit-def: $vgpr73
; %bb.1603:                             ;   in Loop: Header=BB4_1568 Depth=2
	s_and_not1_saveexec_b32 s22, s22
; %bb.1604:                             ;   in Loop: Header=BB4_1568 Depth=2
	v_and_b32_e32 v72, 0xffff, v73
	v_or_b32_e32 v74, 0x10000, v73
	s_delay_alu instid0(VALU_DEP_2) | instskip(NEXT) | instid1(VALU_DEP_2)
	v_cmp_eq_u32_e32 vcc_lo, 0, v72
	v_cndmask_b32_e32 v72, v74, v73, vcc_lo
; %bb.1605:                             ;   in Loop: Header=BB4_1568 Depth=2
	s_or_b32 exec_lo, exec_lo, s22
	v_and_b32_e32 v10, 0xffff0000, v10
	s_delay_alu instid0(VALU_DEP_1) | instskip(NEXT) | instid1(VALU_DEP_1)
	v_mul_f32_e32 v73, v59, v10
	v_and_b32_e32 v10, 0x7f800000, v73
	s_delay_alu instid0(VALU_DEP_1) | instskip(SKIP_1) | instid1(SALU_CYCLE_1)
	v_cmp_ne_u32_e32 vcc_lo, 0x7f800000, v10
                                        ; implicit-def: $vgpr10
	s_and_saveexec_b32 s22, vcc_lo
	s_xor_b32 s22, exec_lo, s22
; %bb.1606:                             ;   in Loop: Header=BB4_1568 Depth=2
	v_bfe_u32 v10, v73, 16, 1
	s_delay_alu instid0(VALU_DEP_1)
	v_add3_u32 v10, v73, v10, 0x7fff
                                        ; implicit-def: $vgpr73
; %bb.1607:                             ;   in Loop: Header=BB4_1568 Depth=2
	s_and_not1_saveexec_b32 s22, s22
; %bb.1608:                             ;   in Loop: Header=BB4_1568 Depth=2
	v_and_b32_e32 v10, 0xffff, v73
	v_or_b32_e32 v74, 0x10000, v73
	s_delay_alu instid0(VALU_DEP_2) | instskip(NEXT) | instid1(VALU_DEP_2)
	v_cmp_eq_u32_e32 vcc_lo, 0, v10
	v_cndmask_b32_e32 v10, v74, v73, vcc_lo
; %bb.1609:                             ;   in Loop: Header=BB4_1568 Depth=2
	s_or_b32 exec_lo, exec_lo, s22
	v_lshlrev_b32_e32 v73, 16, v11
	s_delay_alu instid0(VALU_DEP_1) | instskip(NEXT) | instid1(VALU_DEP_1)
	v_mul_f32_e32 v74, v59, v73
	v_and_b32_e32 v73, 0x7f800000, v74
	s_delay_alu instid0(VALU_DEP_1) | instskip(SKIP_1) | instid1(SALU_CYCLE_1)
	v_cmp_ne_u32_e32 vcc_lo, 0x7f800000, v73
                                        ; implicit-def: $vgpr73
	s_and_saveexec_b32 s22, vcc_lo
	s_xor_b32 s22, exec_lo, s22
; %bb.1610:                             ;   in Loop: Header=BB4_1568 Depth=2
	v_bfe_u32 v73, v74, 16, 1
	s_delay_alu instid0(VALU_DEP_1)
	v_add3_u32 v73, v74, v73, 0x7fff
                                        ; implicit-def: $vgpr74
; %bb.1611:                             ;   in Loop: Header=BB4_1568 Depth=2
	s_and_not1_saveexec_b32 s22, s22
; %bb.1612:                             ;   in Loop: Header=BB4_1568 Depth=2
	v_and_b32_e32 v73, 0xffff, v74
	v_or_b32_e32 v75, 0x10000, v74
	s_delay_alu instid0(VALU_DEP_2) | instskip(NEXT) | instid1(VALU_DEP_2)
	v_cmp_eq_u32_e32 vcc_lo, 0, v73
	v_cndmask_b32_e32 v73, v75, v74, vcc_lo
; %bb.1613:                             ;   in Loop: Header=BB4_1568 Depth=2
	s_or_b32 exec_lo, exec_lo, s22
	v_and_b32_e32 v11, 0xffff0000, v11
	s_delay_alu instid0(VALU_DEP_1) | instskip(NEXT) | instid1(VALU_DEP_1)
	v_mul_f32_e32 v74, v59, v11
	v_and_b32_e32 v11, 0x7f800000, v74
	s_delay_alu instid0(VALU_DEP_1) | instskip(SKIP_1) | instid1(SALU_CYCLE_1)
	v_cmp_ne_u32_e32 vcc_lo, 0x7f800000, v11
                                        ; implicit-def: $vgpr11
	s_and_saveexec_b32 s22, vcc_lo
	s_xor_b32 s22, exec_lo, s22
; %bb.1614:                             ;   in Loop: Header=BB4_1568 Depth=2
	v_bfe_u32 v11, v74, 16, 1
	s_delay_alu instid0(VALU_DEP_1)
	v_add3_u32 v11, v74, v11, 0x7fff
                                        ; implicit-def: $vgpr74
; %bb.1615:                             ;   in Loop: Header=BB4_1568 Depth=2
	s_and_not1_saveexec_b32 s22, s22
; %bb.1616:                             ;   in Loop: Header=BB4_1568 Depth=2
	v_and_b32_e32 v11, 0xffff, v74
	v_or_b32_e32 v75, 0x10000, v74
	s_delay_alu instid0(VALU_DEP_2) | instskip(NEXT) | instid1(VALU_DEP_2)
	v_cmp_eq_u32_e32 vcc_lo, 0, v11
	v_cndmask_b32_e32 v11, v75, v74, vcc_lo
; %bb.1617:                             ;   in Loop: Header=BB4_1568 Depth=2
	s_or_b32 exec_lo, exec_lo, s22
	v_lshlrev_b32_e32 v74, 16, v12
	s_delay_alu instid0(VALU_DEP_1) | instskip(NEXT) | instid1(VALU_DEP_1)
	v_mul_f32_e32 v75, v59, v74
	v_and_b32_e32 v74, 0x7f800000, v75
	s_delay_alu instid0(VALU_DEP_1) | instskip(SKIP_1) | instid1(SALU_CYCLE_1)
	v_cmp_ne_u32_e32 vcc_lo, 0x7f800000, v74
                                        ; implicit-def: $vgpr74
	s_and_saveexec_b32 s22, vcc_lo
	s_xor_b32 s22, exec_lo, s22
; %bb.1618:                             ;   in Loop: Header=BB4_1568 Depth=2
	v_bfe_u32 v74, v75, 16, 1
	s_delay_alu instid0(VALU_DEP_1)
	v_add3_u32 v74, v75, v74, 0x7fff
                                        ; implicit-def: $vgpr75
; %bb.1619:                             ;   in Loop: Header=BB4_1568 Depth=2
	s_and_not1_saveexec_b32 s22, s22
; %bb.1620:                             ;   in Loop: Header=BB4_1568 Depth=2
	v_and_b32_e32 v74, 0xffff, v75
	v_or_b32_e32 v76, 0x10000, v75
	s_delay_alu instid0(VALU_DEP_2) | instskip(NEXT) | instid1(VALU_DEP_2)
	v_cmp_eq_u32_e32 vcc_lo, 0, v74
	v_cndmask_b32_e32 v74, v76, v75, vcc_lo
; %bb.1621:                             ;   in Loop: Header=BB4_1568 Depth=2
	s_or_b32 exec_lo, exec_lo, s22
	v_and_b32_e32 v12, 0xffff0000, v12
	s_delay_alu instid0(VALU_DEP_1) | instskip(NEXT) | instid1(VALU_DEP_1)
	v_mul_f32_e32 v75, v59, v12
	v_and_b32_e32 v12, 0x7f800000, v75
	s_delay_alu instid0(VALU_DEP_1) | instskip(SKIP_1) | instid1(SALU_CYCLE_1)
	v_cmp_ne_u32_e32 vcc_lo, 0x7f800000, v12
                                        ; implicit-def: $vgpr12
	s_and_saveexec_b32 s22, vcc_lo
	s_xor_b32 s22, exec_lo, s22
; %bb.1622:                             ;   in Loop: Header=BB4_1568 Depth=2
	v_bfe_u32 v12, v75, 16, 1
	s_delay_alu instid0(VALU_DEP_1)
	v_add3_u32 v12, v75, v12, 0x7fff
                                        ; implicit-def: $vgpr75
; %bb.1623:                             ;   in Loop: Header=BB4_1568 Depth=2
	s_and_not1_saveexec_b32 s22, s22
; %bb.1624:                             ;   in Loop: Header=BB4_1568 Depth=2
	v_and_b32_e32 v12, 0xffff, v75
	v_or_b32_e32 v76, 0x10000, v75
	s_delay_alu instid0(VALU_DEP_2) | instskip(NEXT) | instid1(VALU_DEP_2)
	v_cmp_eq_u32_e32 vcc_lo, 0, v12
	v_cndmask_b32_e32 v12, v76, v75, vcc_lo
; %bb.1625:                             ;   in Loop: Header=BB4_1568 Depth=2
	s_or_b32 exec_lo, exec_lo, s22
	v_lshlrev_b32_e32 v75, 16, v13
	s_delay_alu instid0(VALU_DEP_1) | instskip(NEXT) | instid1(VALU_DEP_1)
	v_mul_f32_e32 v76, v59, v75
	v_and_b32_e32 v75, 0x7f800000, v76
	s_delay_alu instid0(VALU_DEP_1) | instskip(SKIP_1) | instid1(SALU_CYCLE_1)
	v_cmp_ne_u32_e32 vcc_lo, 0x7f800000, v75
                                        ; implicit-def: $vgpr75
	s_and_saveexec_b32 s22, vcc_lo
	s_xor_b32 s22, exec_lo, s22
; %bb.1626:                             ;   in Loop: Header=BB4_1568 Depth=2
	v_bfe_u32 v75, v76, 16, 1
	s_delay_alu instid0(VALU_DEP_1)
	v_add3_u32 v75, v76, v75, 0x7fff
                                        ; implicit-def: $vgpr76
; %bb.1627:                             ;   in Loop: Header=BB4_1568 Depth=2
	s_and_not1_saveexec_b32 s22, s22
; %bb.1628:                             ;   in Loop: Header=BB4_1568 Depth=2
	v_and_b32_e32 v75, 0xffff, v76
	v_or_b32_e32 v77, 0x10000, v76
	s_delay_alu instid0(VALU_DEP_2) | instskip(NEXT) | instid1(VALU_DEP_2)
	v_cmp_eq_u32_e32 vcc_lo, 0, v75
	v_cndmask_b32_e32 v75, v77, v76, vcc_lo
; %bb.1629:                             ;   in Loop: Header=BB4_1568 Depth=2
	s_or_b32 exec_lo, exec_lo, s22
	v_and_b32_e32 v13, 0xffff0000, v13
	s_delay_alu instid0(VALU_DEP_1) | instskip(NEXT) | instid1(VALU_DEP_1)
	v_mul_f32_e32 v76, v59, v13
	v_and_b32_e32 v13, 0x7f800000, v76
	s_delay_alu instid0(VALU_DEP_1) | instskip(SKIP_1) | instid1(SALU_CYCLE_1)
	v_cmp_ne_u32_e32 vcc_lo, 0x7f800000, v13
                                        ; implicit-def: $vgpr13
	s_and_saveexec_b32 s22, vcc_lo
	s_xor_b32 s22, exec_lo, s22
; %bb.1630:                             ;   in Loop: Header=BB4_1568 Depth=2
	v_bfe_u32 v13, v76, 16, 1
	s_delay_alu instid0(VALU_DEP_1)
	v_add3_u32 v13, v76, v13, 0x7fff
                                        ; implicit-def: $vgpr76
; %bb.1631:                             ;   in Loop: Header=BB4_1568 Depth=2
	s_and_not1_saveexec_b32 s22, s22
; %bb.1632:                             ;   in Loop: Header=BB4_1568 Depth=2
	v_and_b32_e32 v13, 0xffff, v76
	v_or_b32_e32 v77, 0x10000, v76
	s_delay_alu instid0(VALU_DEP_2) | instskip(NEXT) | instid1(VALU_DEP_2)
	v_cmp_eq_u32_e32 vcc_lo, 0, v13
	v_cndmask_b32_e32 v13, v77, v76, vcc_lo
; %bb.1633:                             ;   in Loop: Header=BB4_1568 Depth=2
	s_or_b32 exec_lo, exec_lo, s22
	v_dual_lshrrev_b32 v61, 16, v61 :: v_dual_lshrrev_b32 v60, 16, v60
	v_lshrrev_b32_e32 v62, 16, v62
	s_delay_alu instid0(VALU_DEP_2) | instskip(NEXT) | instid1(VALU_DEP_3)
	v_and_or_b32 v15, 0xffff0000, v15, v61
	v_and_or_b32 v14, 0xffff0000, v14, v60
	v_lshrrev_b32_e32 v60, 16, v63
	s_delay_alu instid0(VALU_DEP_4) | instskip(SKIP_2) | instid1(VALU_DEP_4)
	v_and_or_b32 v16, 0xffff0000, v16, v62
	v_dual_lshrrev_b32 v61, 16, v73 :: v_dual_lshrrev_b32 v62, 16, v72
	v_dual_lshrrev_b32 v63, 16, v74 :: v_dual_lshrrev_b32 v72, 16, v75
	v_and_or_b32 v17, 0xffff0000, v17, v60
	s_delay_alu instid0(VALU_DEP_3) | instskip(NEXT) | instid1(VALU_DEP_4)
	v_and_or_b32 v11, 0xffff0000, v11, v61
	v_and_or_b32 v10, 0xffff0000, v10, v62
	s_delay_alu instid0(VALU_DEP_4)
	v_and_or_b32 v12, 0xffff0000, v12, v63
	v_and_or_b32 v13, 0xffff0000, v13, v72
	s_clause 0x1
	global_store_b128 v[118:119], v[14:17], off th:TH_STORE_NT
	global_store_b128 v[118:119], v[10:13], off offset:512 th:TH_STORE_NT
	s_wait_xcnt 0x0
	v_add_nc_u64_e32 v[118:119], v[118:119], v[84:85]
.LBB4_1634:                             ;   in Loop: Header=BB4_1568 Depth=2
	s_or_b32 exec_lo, exec_lo, s23
	v_sub_nc_u32_e32 v58, v58, v64
	v_add_nc_u64_e32 v[40:41], v[40:41], v[84:85]
	s_delay_alu instid0(VALU_DEP_2)
	v_cmp_lt_i32_e64 s22, 0, v58
	s_and_saveexec_b32 s23, s22
	s_cbranch_execz .LBB4_1636
; %bb.1635:                             ;   in Loop: Header=BB4_1568 Depth=2
	s_clause 0x1
	global_load_b128 v[14:17], v[40:41], off th:TH_LOAD_NT
	global_load_b128 v[10:13], v[40:41], off offset:512 th:TH_LOAD_NT
	s_wait_xcnt 0x0
	v_add_nc_u64_e32 v[40:41], 0x400, v[40:41]
.LBB4_1636:                             ;   in Loop: Header=BB4_1568 Depth=2
	s_or_b32 exec_lo, exec_lo, s23
	s_wait_loadcnt 0x1
	v_lshlrev_b32_e32 v60, 16, v22
	s_delay_alu instid0(VALU_DEP_1) | instskip(NEXT) | instid1(VALU_DEP_1)
	v_mul_f32_e32 v61, v59, v60
	v_and_b32_e32 v60, 0x7f800000, v61
	s_delay_alu instid0(VALU_DEP_1) | instskip(SKIP_1) | instid1(SALU_CYCLE_1)
	v_cmp_ne_u32_e32 vcc_lo, 0x7f800000, v60
                                        ; implicit-def: $vgpr60
	s_and_saveexec_b32 s23, vcc_lo
	s_xor_b32 s23, exec_lo, s23
; %bb.1637:                             ;   in Loop: Header=BB4_1568 Depth=2
	v_bfe_u32 v60, v61, 16, 1
	s_delay_alu instid0(VALU_DEP_1)
	v_add3_u32 v60, v61, v60, 0x7fff
                                        ; implicit-def: $vgpr61
; %bb.1638:                             ;   in Loop: Header=BB4_1568 Depth=2
	s_and_not1_saveexec_b32 s23, s23
; %bb.1639:                             ;   in Loop: Header=BB4_1568 Depth=2
	v_and_b32_e32 v60, 0xffff, v61
	v_or_b32_e32 v62, 0x10000, v61
	s_delay_alu instid0(VALU_DEP_2) | instskip(NEXT) | instid1(VALU_DEP_2)
	v_cmp_eq_u32_e32 vcc_lo, 0, v60
	v_cndmask_b32_e32 v60, v62, v61, vcc_lo
; %bb.1640:                             ;   in Loop: Header=BB4_1568 Depth=2
	s_or_b32 exec_lo, exec_lo, s23
	v_and_b32_e32 v22, 0xffff0000, v22
	s_delay_alu instid0(VALU_DEP_1) | instskip(NEXT) | instid1(VALU_DEP_1)
	v_mul_f32_e32 v61, v59, v22
	v_and_b32_e32 v22, 0x7f800000, v61
	s_delay_alu instid0(VALU_DEP_1) | instskip(SKIP_1) | instid1(SALU_CYCLE_1)
	v_cmp_ne_u32_e32 vcc_lo, 0x7f800000, v22
                                        ; implicit-def: $vgpr22
	s_and_saveexec_b32 s23, vcc_lo
	s_xor_b32 s23, exec_lo, s23
; %bb.1641:                             ;   in Loop: Header=BB4_1568 Depth=2
	v_bfe_u32 v22, v61, 16, 1
	s_delay_alu instid0(VALU_DEP_1)
	v_add3_u32 v22, v61, v22, 0x7fff
                                        ; implicit-def: $vgpr61
; %bb.1642:                             ;   in Loop: Header=BB4_1568 Depth=2
	s_and_not1_saveexec_b32 s23, s23
; %bb.1643:                             ;   in Loop: Header=BB4_1568 Depth=2
	v_and_b32_e32 v22, 0xffff, v61
	v_or_b32_e32 v62, 0x10000, v61
	s_delay_alu instid0(VALU_DEP_2) | instskip(NEXT) | instid1(VALU_DEP_2)
	v_cmp_eq_u32_e32 vcc_lo, 0, v22
	v_cndmask_b32_e32 v22, v62, v61, vcc_lo
; %bb.1644:                             ;   in Loop: Header=BB4_1568 Depth=2
	s_or_b32 exec_lo, exec_lo, s23
	v_lshlrev_b32_e32 v61, 16, v23
	s_delay_alu instid0(VALU_DEP_1) | instskip(NEXT) | instid1(VALU_DEP_1)
	v_mul_f32_e32 v62, v59, v61
	v_and_b32_e32 v61, 0x7f800000, v62
	s_delay_alu instid0(VALU_DEP_1) | instskip(SKIP_1) | instid1(SALU_CYCLE_1)
	v_cmp_ne_u32_e32 vcc_lo, 0x7f800000, v61
                                        ; implicit-def: $vgpr61
	s_and_saveexec_b32 s23, vcc_lo
	s_xor_b32 s23, exec_lo, s23
; %bb.1645:                             ;   in Loop: Header=BB4_1568 Depth=2
	v_bfe_u32 v61, v62, 16, 1
	s_delay_alu instid0(VALU_DEP_1)
	v_add3_u32 v61, v62, v61, 0x7fff
                                        ; implicit-def: $vgpr62
; %bb.1646:                             ;   in Loop: Header=BB4_1568 Depth=2
	s_and_not1_saveexec_b32 s23, s23
; %bb.1647:                             ;   in Loop: Header=BB4_1568 Depth=2
	v_and_b32_e32 v61, 0xffff, v62
	v_or_b32_e32 v63, 0x10000, v62
	s_delay_alu instid0(VALU_DEP_2) | instskip(NEXT) | instid1(VALU_DEP_2)
	v_cmp_eq_u32_e32 vcc_lo, 0, v61
	v_cndmask_b32_e32 v61, v63, v62, vcc_lo
; %bb.1648:                             ;   in Loop: Header=BB4_1568 Depth=2
	s_or_b32 exec_lo, exec_lo, s23
	v_and_b32_e32 v23, 0xffff0000, v23
	s_delay_alu instid0(VALU_DEP_1) | instskip(NEXT) | instid1(VALU_DEP_1)
	v_mul_f32_e32 v62, v59, v23
	v_and_b32_e32 v23, 0x7f800000, v62
	s_delay_alu instid0(VALU_DEP_1) | instskip(SKIP_1) | instid1(SALU_CYCLE_1)
	v_cmp_ne_u32_e32 vcc_lo, 0x7f800000, v23
                                        ; implicit-def: $vgpr23
	s_and_saveexec_b32 s23, vcc_lo
	s_xor_b32 s23, exec_lo, s23
; %bb.1649:                             ;   in Loop: Header=BB4_1568 Depth=2
	v_bfe_u32 v23, v62, 16, 1
	s_delay_alu instid0(VALU_DEP_1)
	v_add3_u32 v23, v62, v23, 0x7fff
                                        ; implicit-def: $vgpr62
; %bb.1650:                             ;   in Loop: Header=BB4_1568 Depth=2
	s_and_not1_saveexec_b32 s23, s23
; %bb.1651:                             ;   in Loop: Header=BB4_1568 Depth=2
	v_and_b32_e32 v23, 0xffff, v62
	v_or_b32_e32 v63, 0x10000, v62
	s_delay_alu instid0(VALU_DEP_2) | instskip(NEXT) | instid1(VALU_DEP_2)
	v_cmp_eq_u32_e32 vcc_lo, 0, v23
	v_cndmask_b32_e32 v23, v63, v62, vcc_lo
; %bb.1652:                             ;   in Loop: Header=BB4_1568 Depth=2
	s_or_b32 exec_lo, exec_lo, s23
	v_lshlrev_b32_e32 v62, 16, v24
	s_delay_alu instid0(VALU_DEP_1) | instskip(NEXT) | instid1(VALU_DEP_1)
	v_mul_f32_e32 v63, v59, v62
	v_and_b32_e32 v62, 0x7f800000, v63
	s_delay_alu instid0(VALU_DEP_1) | instskip(SKIP_1) | instid1(SALU_CYCLE_1)
	v_cmp_ne_u32_e32 vcc_lo, 0x7f800000, v62
                                        ; implicit-def: $vgpr62
	s_and_saveexec_b32 s23, vcc_lo
	s_xor_b32 s23, exec_lo, s23
; %bb.1653:                             ;   in Loop: Header=BB4_1568 Depth=2
	v_bfe_u32 v62, v63, 16, 1
	s_delay_alu instid0(VALU_DEP_1)
	v_add3_u32 v62, v63, v62, 0x7fff
                                        ; implicit-def: $vgpr63
; %bb.1654:                             ;   in Loop: Header=BB4_1568 Depth=2
	s_and_not1_saveexec_b32 s23, s23
; %bb.1655:                             ;   in Loop: Header=BB4_1568 Depth=2
	v_and_b32_e32 v62, 0xffff, v63
	v_or_b32_e32 v72, 0x10000, v63
	s_delay_alu instid0(VALU_DEP_2) | instskip(NEXT) | instid1(VALU_DEP_2)
	v_cmp_eq_u32_e32 vcc_lo, 0, v62
	v_cndmask_b32_e32 v62, v72, v63, vcc_lo
; %bb.1656:                             ;   in Loop: Header=BB4_1568 Depth=2
	s_or_b32 exec_lo, exec_lo, s23
	v_and_b32_e32 v24, 0xffff0000, v24
	s_delay_alu instid0(VALU_DEP_1) | instskip(NEXT) | instid1(VALU_DEP_1)
	v_mul_f32_e32 v63, v59, v24
	v_and_b32_e32 v24, 0x7f800000, v63
	s_delay_alu instid0(VALU_DEP_1) | instskip(SKIP_1) | instid1(SALU_CYCLE_1)
	v_cmp_ne_u32_e32 vcc_lo, 0x7f800000, v24
                                        ; implicit-def: $vgpr24
	s_and_saveexec_b32 s23, vcc_lo
	s_xor_b32 s23, exec_lo, s23
; %bb.1657:                             ;   in Loop: Header=BB4_1568 Depth=2
	v_bfe_u32 v24, v63, 16, 1
	s_delay_alu instid0(VALU_DEP_1)
	v_add3_u32 v24, v63, v24, 0x7fff
                                        ; implicit-def: $vgpr63
; %bb.1658:                             ;   in Loop: Header=BB4_1568 Depth=2
	s_and_not1_saveexec_b32 s23, s23
; %bb.1659:                             ;   in Loop: Header=BB4_1568 Depth=2
	v_and_b32_e32 v24, 0xffff, v63
	v_or_b32_e32 v72, 0x10000, v63
	s_delay_alu instid0(VALU_DEP_2) | instskip(NEXT) | instid1(VALU_DEP_2)
	v_cmp_eq_u32_e32 vcc_lo, 0, v24
	v_cndmask_b32_e32 v24, v72, v63, vcc_lo
; %bb.1660:                             ;   in Loop: Header=BB4_1568 Depth=2
	s_or_b32 exec_lo, exec_lo, s23
	v_lshlrev_b32_e32 v63, 16, v25
	s_delay_alu instid0(VALU_DEP_1) | instskip(NEXT) | instid1(VALU_DEP_1)
	v_mul_f32_e32 v72, v59, v63
	v_and_b32_e32 v63, 0x7f800000, v72
	s_delay_alu instid0(VALU_DEP_1) | instskip(SKIP_1) | instid1(SALU_CYCLE_1)
	v_cmp_ne_u32_e32 vcc_lo, 0x7f800000, v63
                                        ; implicit-def: $vgpr63
	s_and_saveexec_b32 s23, vcc_lo
	s_xor_b32 s23, exec_lo, s23
; %bb.1661:                             ;   in Loop: Header=BB4_1568 Depth=2
	v_bfe_u32 v63, v72, 16, 1
	s_delay_alu instid0(VALU_DEP_1)
	v_add3_u32 v63, v72, v63, 0x7fff
                                        ; implicit-def: $vgpr72
; %bb.1662:                             ;   in Loop: Header=BB4_1568 Depth=2
	s_and_not1_saveexec_b32 s23, s23
; %bb.1663:                             ;   in Loop: Header=BB4_1568 Depth=2
	v_and_b32_e32 v63, 0xffff, v72
	v_or_b32_e32 v73, 0x10000, v72
	s_delay_alu instid0(VALU_DEP_2) | instskip(NEXT) | instid1(VALU_DEP_2)
	v_cmp_eq_u32_e32 vcc_lo, 0, v63
	v_cndmask_b32_e32 v63, v73, v72, vcc_lo
; %bb.1664:                             ;   in Loop: Header=BB4_1568 Depth=2
	s_or_b32 exec_lo, exec_lo, s23
	v_and_b32_e32 v25, 0xffff0000, v25
	s_delay_alu instid0(VALU_DEP_1) | instskip(NEXT) | instid1(VALU_DEP_1)
	v_mul_f32_e32 v72, v59, v25
	v_and_b32_e32 v25, 0x7f800000, v72
	s_delay_alu instid0(VALU_DEP_1) | instskip(SKIP_1) | instid1(SALU_CYCLE_1)
	v_cmp_ne_u32_e32 vcc_lo, 0x7f800000, v25
                                        ; implicit-def: $vgpr25
	s_and_saveexec_b32 s23, vcc_lo
	s_xor_b32 s23, exec_lo, s23
; %bb.1665:                             ;   in Loop: Header=BB4_1568 Depth=2
	v_bfe_u32 v25, v72, 16, 1
	s_delay_alu instid0(VALU_DEP_1)
	v_add3_u32 v25, v72, v25, 0x7fff
                                        ; implicit-def: $vgpr72
; %bb.1666:                             ;   in Loop: Header=BB4_1568 Depth=2
	s_and_not1_saveexec_b32 s23, s23
; %bb.1667:                             ;   in Loop: Header=BB4_1568 Depth=2
	v_and_b32_e32 v25, 0xffff, v72
	v_or_b32_e32 v73, 0x10000, v72
	s_delay_alu instid0(VALU_DEP_2) | instskip(NEXT) | instid1(VALU_DEP_2)
	v_cmp_eq_u32_e32 vcc_lo, 0, v25
	v_cndmask_b32_e32 v25, v73, v72, vcc_lo
; %bb.1668:                             ;   in Loop: Header=BB4_1568 Depth=2
	s_or_b32 exec_lo, exec_lo, s23
	s_wait_loadcnt 0x0
	v_lshlrev_b32_e32 v72, 16, v18
	s_delay_alu instid0(VALU_DEP_1) | instskip(NEXT) | instid1(VALU_DEP_1)
	v_mul_f32_e32 v73, v59, v72
	v_and_b32_e32 v72, 0x7f800000, v73
	s_delay_alu instid0(VALU_DEP_1) | instskip(SKIP_1) | instid1(SALU_CYCLE_1)
	v_cmp_ne_u32_e32 vcc_lo, 0x7f800000, v72
                                        ; implicit-def: $vgpr72
	s_and_saveexec_b32 s23, vcc_lo
	s_xor_b32 s23, exec_lo, s23
; %bb.1669:                             ;   in Loop: Header=BB4_1568 Depth=2
	v_bfe_u32 v72, v73, 16, 1
	s_delay_alu instid0(VALU_DEP_1)
	v_add3_u32 v72, v73, v72, 0x7fff
                                        ; implicit-def: $vgpr73
; %bb.1670:                             ;   in Loop: Header=BB4_1568 Depth=2
	s_and_not1_saveexec_b32 s23, s23
; %bb.1671:                             ;   in Loop: Header=BB4_1568 Depth=2
	v_and_b32_e32 v72, 0xffff, v73
	v_or_b32_e32 v74, 0x10000, v73
	s_delay_alu instid0(VALU_DEP_2) | instskip(NEXT) | instid1(VALU_DEP_2)
	v_cmp_eq_u32_e32 vcc_lo, 0, v72
	v_cndmask_b32_e32 v72, v74, v73, vcc_lo
; %bb.1672:                             ;   in Loop: Header=BB4_1568 Depth=2
	s_or_b32 exec_lo, exec_lo, s23
	v_and_b32_e32 v18, 0xffff0000, v18
	s_delay_alu instid0(VALU_DEP_1) | instskip(NEXT) | instid1(VALU_DEP_1)
	v_mul_f32_e32 v73, v59, v18
	v_and_b32_e32 v18, 0x7f800000, v73
	s_delay_alu instid0(VALU_DEP_1) | instskip(SKIP_1) | instid1(SALU_CYCLE_1)
	v_cmp_ne_u32_e32 vcc_lo, 0x7f800000, v18
                                        ; implicit-def: $vgpr18
	s_and_saveexec_b32 s23, vcc_lo
	s_xor_b32 s23, exec_lo, s23
; %bb.1673:                             ;   in Loop: Header=BB4_1568 Depth=2
	v_bfe_u32 v18, v73, 16, 1
	s_delay_alu instid0(VALU_DEP_1)
	v_add3_u32 v18, v73, v18, 0x7fff
                                        ; implicit-def: $vgpr73
; %bb.1674:                             ;   in Loop: Header=BB4_1568 Depth=2
	s_and_not1_saveexec_b32 s23, s23
; %bb.1675:                             ;   in Loop: Header=BB4_1568 Depth=2
	v_and_b32_e32 v18, 0xffff, v73
	v_or_b32_e32 v74, 0x10000, v73
	s_delay_alu instid0(VALU_DEP_2) | instskip(NEXT) | instid1(VALU_DEP_2)
	v_cmp_eq_u32_e32 vcc_lo, 0, v18
	v_cndmask_b32_e32 v18, v74, v73, vcc_lo
; %bb.1676:                             ;   in Loop: Header=BB4_1568 Depth=2
	s_or_b32 exec_lo, exec_lo, s23
	v_lshlrev_b32_e32 v73, 16, v19
	s_delay_alu instid0(VALU_DEP_1) | instskip(NEXT) | instid1(VALU_DEP_1)
	v_mul_f32_e32 v74, v59, v73
	v_and_b32_e32 v73, 0x7f800000, v74
	s_delay_alu instid0(VALU_DEP_1) | instskip(SKIP_1) | instid1(SALU_CYCLE_1)
	v_cmp_ne_u32_e32 vcc_lo, 0x7f800000, v73
                                        ; implicit-def: $vgpr73
	s_and_saveexec_b32 s23, vcc_lo
	s_xor_b32 s23, exec_lo, s23
; %bb.1677:                             ;   in Loop: Header=BB4_1568 Depth=2
	v_bfe_u32 v73, v74, 16, 1
	s_delay_alu instid0(VALU_DEP_1)
	v_add3_u32 v73, v74, v73, 0x7fff
                                        ; implicit-def: $vgpr74
; %bb.1678:                             ;   in Loop: Header=BB4_1568 Depth=2
	s_and_not1_saveexec_b32 s23, s23
; %bb.1679:                             ;   in Loop: Header=BB4_1568 Depth=2
	v_and_b32_e32 v73, 0xffff, v74
	v_or_b32_e32 v75, 0x10000, v74
	s_delay_alu instid0(VALU_DEP_2) | instskip(NEXT) | instid1(VALU_DEP_2)
	v_cmp_eq_u32_e32 vcc_lo, 0, v73
	v_cndmask_b32_e32 v73, v75, v74, vcc_lo
; %bb.1680:                             ;   in Loop: Header=BB4_1568 Depth=2
	s_or_b32 exec_lo, exec_lo, s23
	v_and_b32_e32 v19, 0xffff0000, v19
	s_delay_alu instid0(VALU_DEP_1) | instskip(NEXT) | instid1(VALU_DEP_1)
	v_mul_f32_e32 v74, v59, v19
	v_and_b32_e32 v19, 0x7f800000, v74
	s_delay_alu instid0(VALU_DEP_1) | instskip(SKIP_1) | instid1(SALU_CYCLE_1)
	v_cmp_ne_u32_e32 vcc_lo, 0x7f800000, v19
                                        ; implicit-def: $vgpr19
	s_and_saveexec_b32 s23, vcc_lo
	s_xor_b32 s23, exec_lo, s23
; %bb.1681:                             ;   in Loop: Header=BB4_1568 Depth=2
	v_bfe_u32 v19, v74, 16, 1
	s_delay_alu instid0(VALU_DEP_1)
	v_add3_u32 v19, v74, v19, 0x7fff
                                        ; implicit-def: $vgpr74
; %bb.1682:                             ;   in Loop: Header=BB4_1568 Depth=2
	s_and_not1_saveexec_b32 s23, s23
; %bb.1683:                             ;   in Loop: Header=BB4_1568 Depth=2
	v_and_b32_e32 v19, 0xffff, v74
	v_or_b32_e32 v75, 0x10000, v74
	s_delay_alu instid0(VALU_DEP_2) | instskip(NEXT) | instid1(VALU_DEP_2)
	v_cmp_eq_u32_e32 vcc_lo, 0, v19
	v_cndmask_b32_e32 v19, v75, v74, vcc_lo
; %bb.1684:                             ;   in Loop: Header=BB4_1568 Depth=2
	s_or_b32 exec_lo, exec_lo, s23
	v_lshlrev_b32_e32 v74, 16, v20
	s_delay_alu instid0(VALU_DEP_1) | instskip(NEXT) | instid1(VALU_DEP_1)
	v_mul_f32_e32 v75, v59, v74
	v_and_b32_e32 v74, 0x7f800000, v75
	s_delay_alu instid0(VALU_DEP_1) | instskip(SKIP_1) | instid1(SALU_CYCLE_1)
	v_cmp_ne_u32_e32 vcc_lo, 0x7f800000, v74
                                        ; implicit-def: $vgpr74
	s_and_saveexec_b32 s23, vcc_lo
	s_xor_b32 s23, exec_lo, s23
; %bb.1685:                             ;   in Loop: Header=BB4_1568 Depth=2
	v_bfe_u32 v74, v75, 16, 1
	s_delay_alu instid0(VALU_DEP_1)
	v_add3_u32 v74, v75, v74, 0x7fff
                                        ; implicit-def: $vgpr75
; %bb.1686:                             ;   in Loop: Header=BB4_1568 Depth=2
	s_and_not1_saveexec_b32 s23, s23
; %bb.1687:                             ;   in Loop: Header=BB4_1568 Depth=2
	v_and_b32_e32 v74, 0xffff, v75
	v_or_b32_e32 v76, 0x10000, v75
	s_delay_alu instid0(VALU_DEP_2) | instskip(NEXT) | instid1(VALU_DEP_2)
	v_cmp_eq_u32_e32 vcc_lo, 0, v74
	v_cndmask_b32_e32 v74, v76, v75, vcc_lo
; %bb.1688:                             ;   in Loop: Header=BB4_1568 Depth=2
	s_or_b32 exec_lo, exec_lo, s23
	v_and_b32_e32 v20, 0xffff0000, v20
	s_delay_alu instid0(VALU_DEP_1) | instskip(NEXT) | instid1(VALU_DEP_1)
	v_mul_f32_e32 v75, v59, v20
	v_and_b32_e32 v20, 0x7f800000, v75
	s_delay_alu instid0(VALU_DEP_1) | instskip(SKIP_1) | instid1(SALU_CYCLE_1)
	v_cmp_ne_u32_e32 vcc_lo, 0x7f800000, v20
                                        ; implicit-def: $vgpr20
	s_and_saveexec_b32 s23, vcc_lo
	s_xor_b32 s23, exec_lo, s23
; %bb.1689:                             ;   in Loop: Header=BB4_1568 Depth=2
	v_bfe_u32 v20, v75, 16, 1
	s_delay_alu instid0(VALU_DEP_1)
	v_add3_u32 v20, v75, v20, 0x7fff
                                        ; implicit-def: $vgpr75
; %bb.1690:                             ;   in Loop: Header=BB4_1568 Depth=2
	s_and_not1_saveexec_b32 s23, s23
; %bb.1691:                             ;   in Loop: Header=BB4_1568 Depth=2
	v_and_b32_e32 v20, 0xffff, v75
	v_or_b32_e32 v76, 0x10000, v75
	s_delay_alu instid0(VALU_DEP_2) | instskip(NEXT) | instid1(VALU_DEP_2)
	v_cmp_eq_u32_e32 vcc_lo, 0, v20
	v_cndmask_b32_e32 v20, v76, v75, vcc_lo
; %bb.1692:                             ;   in Loop: Header=BB4_1568 Depth=2
	s_or_b32 exec_lo, exec_lo, s23
	v_lshlrev_b32_e32 v75, 16, v21
	s_delay_alu instid0(VALU_DEP_1) | instskip(NEXT) | instid1(VALU_DEP_1)
	v_mul_f32_e32 v76, v59, v75
	v_and_b32_e32 v75, 0x7f800000, v76
	s_delay_alu instid0(VALU_DEP_1) | instskip(SKIP_1) | instid1(SALU_CYCLE_1)
	v_cmp_ne_u32_e32 vcc_lo, 0x7f800000, v75
                                        ; implicit-def: $vgpr75
	s_and_saveexec_b32 s23, vcc_lo
	s_xor_b32 s23, exec_lo, s23
; %bb.1693:                             ;   in Loop: Header=BB4_1568 Depth=2
	v_bfe_u32 v75, v76, 16, 1
	s_delay_alu instid0(VALU_DEP_1)
	v_add3_u32 v75, v76, v75, 0x7fff
                                        ; implicit-def: $vgpr76
; %bb.1694:                             ;   in Loop: Header=BB4_1568 Depth=2
	s_and_not1_saveexec_b32 s23, s23
; %bb.1695:                             ;   in Loop: Header=BB4_1568 Depth=2
	v_and_b32_e32 v75, 0xffff, v76
	v_or_b32_e32 v77, 0x10000, v76
	s_delay_alu instid0(VALU_DEP_2) | instskip(NEXT) | instid1(VALU_DEP_2)
	v_cmp_eq_u32_e32 vcc_lo, 0, v75
	v_cndmask_b32_e32 v75, v77, v76, vcc_lo
; %bb.1696:                             ;   in Loop: Header=BB4_1568 Depth=2
	s_or_b32 exec_lo, exec_lo, s23
	v_and_b32_e32 v21, 0xffff0000, v21
	s_delay_alu instid0(VALU_DEP_1) | instskip(NEXT) | instid1(VALU_DEP_1)
	v_mul_f32_e32 v76, v59, v21
	v_and_b32_e32 v21, 0x7f800000, v76
	s_delay_alu instid0(VALU_DEP_1) | instskip(SKIP_1) | instid1(SALU_CYCLE_1)
	v_cmp_ne_u32_e32 vcc_lo, 0x7f800000, v21
                                        ; implicit-def: $vgpr21
	s_and_saveexec_b32 s23, vcc_lo
	s_xor_b32 s23, exec_lo, s23
; %bb.1697:                             ;   in Loop: Header=BB4_1568 Depth=2
	v_bfe_u32 v21, v76, 16, 1
	s_delay_alu instid0(VALU_DEP_1)
	v_add3_u32 v21, v76, v21, 0x7fff
                                        ; implicit-def: $vgpr76
; %bb.1698:                             ;   in Loop: Header=BB4_1568 Depth=2
	s_and_not1_saveexec_b32 s23, s23
	s_cbranch_execz .LBB4_1567
; %bb.1699:                             ;   in Loop: Header=BB4_1568 Depth=2
	v_and_b32_e32 v21, 0xffff, v76
	v_or_b32_e32 v77, 0x10000, v76
	s_delay_alu instid0(VALU_DEP_2) | instskip(NEXT) | instid1(VALU_DEP_2)
	v_cmp_eq_u32_e32 vcc_lo, 0, v21
	v_cndmask_b32_e32 v21, v77, v76, vcc_lo
	s_branch .LBB4_1567
.LBB4_1700:                             ;   in Loop: Header=BB4_1491 Depth=1
	v_dual_mov_b32 v10, v0 :: v_dual_mov_b32 v15, v43
	s_and_saveexec_b32 s10, s19
	s_cbranch_execnz .LBB4_1881
	s_branch .LBB4_1961
.LBB4_1701:                             ;   in Loop: Header=BB4_1491 Depth=1
	s_or_b32 exec_lo, exec_lo, s20
	s_delay_alu instid0(SALU_CYCLE_1)
	s_and_b32 s20, s21, exec_lo
.LBB4_1702:                             ;   in Loop: Header=BB4_1491 Depth=1
	s_or_b32 exec_lo, exec_lo, s10
	s_and_saveexec_b32 s10, s20
	s_cbranch_execz .LBB4_1768
; %bb.1703:                             ;   in Loop: Header=BB4_1491 Depth=1
	s_trap 2
	ds_load_b32 v18, v0
	s_wait_dscnt 0x0
	v_lshlrev_b32_e32 v19, 16, v18
	s_delay_alu instid0(VALU_DEP_1) | instskip(NEXT) | instid1(VALU_DEP_1)
	v_dual_lshlrev_b32 v18, 16, v14 :: v_dual_mov_b32 v20, v19
	v_pk_mul_f32 v[20:21], v[20:21], v[18:19]
	s_delay_alu instid0(VALU_DEP_1) | instskip(NEXT) | instid1(VALU_DEP_1)
	v_and_b32_e32 v18, 0x7f800000, v20
	v_cmp_ne_u32_e32 vcc_lo, 0x7f800000, v18
                                        ; implicit-def: $vgpr18
	s_and_saveexec_b32 s20, vcc_lo
	s_delay_alu instid0(SALU_CYCLE_1)
	s_xor_b32 s20, exec_lo, s20
; %bb.1704:                             ;   in Loop: Header=BB4_1491 Depth=1
	v_bfe_u32 v18, v20, 16, 1
	s_delay_alu instid0(VALU_DEP_1)
	v_add3_u32 v18, v20, v18, 0x7fff
                                        ; implicit-def: $vgpr20_vgpr21
; %bb.1705:                             ;   in Loop: Header=BB4_1491 Depth=1
	s_and_not1_saveexec_b32 s20, s20
; %bb.1706:                             ;   in Loop: Header=BB4_1491 Depth=1
	v_and_b32_e32 v18, 0xffff, v20
	v_or_b32_e32 v21, 0x10000, v20
	s_delay_alu instid0(VALU_DEP_2) | instskip(NEXT) | instid1(VALU_DEP_2)
	v_cmp_eq_u32_e32 vcc_lo, 0, v18
	v_cndmask_b32_e32 v18, v21, v20, vcc_lo
; %bb.1707:                             ;   in Loop: Header=BB4_1491 Depth=1
	s_or_b32 exec_lo, exec_lo, s20
	v_and_b32_e32 v14, 0xffff0000, v14
	s_delay_alu instid0(VALU_DEP_1) | instskip(NEXT) | instid1(VALU_DEP_1)
	v_mul_f32_e32 v20, v19, v14
	v_and_b32_e32 v14, 0x7f800000, v20
	s_delay_alu instid0(VALU_DEP_1) | instskip(SKIP_1) | instid1(SALU_CYCLE_1)
	v_cmp_ne_u32_e32 vcc_lo, 0x7f800000, v14
                                        ; implicit-def: $vgpr14
	s_and_saveexec_b32 s20, vcc_lo
	s_xor_b32 s20, exec_lo, s20
; %bb.1708:                             ;   in Loop: Header=BB4_1491 Depth=1
	v_bfe_u32 v14, v20, 16, 1
	s_delay_alu instid0(VALU_DEP_1)
	v_add3_u32 v14, v20, v14, 0x7fff
                                        ; implicit-def: $vgpr20
; %bb.1709:                             ;   in Loop: Header=BB4_1491 Depth=1
	s_and_not1_saveexec_b32 s20, s20
; %bb.1710:                             ;   in Loop: Header=BB4_1491 Depth=1
	v_and_b32_e32 v14, 0xffff, v20
	v_or_b32_e32 v21, 0x10000, v20
	s_delay_alu instid0(VALU_DEP_2) | instskip(NEXT) | instid1(VALU_DEP_2)
	v_cmp_eq_u32_e32 vcc_lo, 0, v14
	v_cndmask_b32_e32 v14, v21, v20, vcc_lo
; %bb.1711:                             ;   in Loop: Header=BB4_1491 Depth=1
	s_or_b32 exec_lo, exec_lo, s20
	v_lshlrev_b32_e32 v20, 16, v15
	s_delay_alu instid0(VALU_DEP_1) | instskip(NEXT) | instid1(VALU_DEP_1)
	v_mul_f32_e32 v21, v19, v20
	v_and_b32_e32 v20, 0x7f800000, v21
	s_delay_alu instid0(VALU_DEP_1) | instskip(SKIP_1) | instid1(SALU_CYCLE_1)
	v_cmp_ne_u32_e32 vcc_lo, 0x7f800000, v20
                                        ; implicit-def: $vgpr20
	s_and_saveexec_b32 s20, vcc_lo
	s_xor_b32 s20, exec_lo, s20
; %bb.1712:                             ;   in Loop: Header=BB4_1491 Depth=1
	v_bfe_u32 v20, v21, 16, 1
	s_delay_alu instid0(VALU_DEP_1)
	v_add3_u32 v20, v21, v20, 0x7fff
                                        ; implicit-def: $vgpr21
; %bb.1713:                             ;   in Loop: Header=BB4_1491 Depth=1
	s_and_not1_saveexec_b32 s20, s20
; %bb.1714:                             ;   in Loop: Header=BB4_1491 Depth=1
	v_and_b32_e32 v20, 0xffff, v21
	v_or_b32_e32 v22, 0x10000, v21
	s_delay_alu instid0(VALU_DEP_2) | instskip(NEXT) | instid1(VALU_DEP_2)
	v_cmp_eq_u32_e32 vcc_lo, 0, v20
	v_cndmask_b32_e32 v20, v22, v21, vcc_lo
; %bb.1715:                             ;   in Loop: Header=BB4_1491 Depth=1
	s_or_b32 exec_lo, exec_lo, s20
	v_and_b32_e32 v15, 0xffff0000, v15
	s_delay_alu instid0(VALU_DEP_1) | instskip(NEXT) | instid1(VALU_DEP_1)
	v_mul_f32_e32 v21, v19, v15
	v_and_b32_e32 v15, 0x7f800000, v21
	s_delay_alu instid0(VALU_DEP_1) | instskip(SKIP_1) | instid1(SALU_CYCLE_1)
	v_cmp_ne_u32_e32 vcc_lo, 0x7f800000, v15
                                        ; implicit-def: $vgpr15
	s_and_saveexec_b32 s20, vcc_lo
	s_xor_b32 s20, exec_lo, s20
; %bb.1716:                             ;   in Loop: Header=BB4_1491 Depth=1
	v_bfe_u32 v15, v21, 16, 1
	s_delay_alu instid0(VALU_DEP_1)
	v_add3_u32 v15, v21, v15, 0x7fff
                                        ; implicit-def: $vgpr21
; %bb.1717:                             ;   in Loop: Header=BB4_1491 Depth=1
	s_and_not1_saveexec_b32 s20, s20
; %bb.1718:                             ;   in Loop: Header=BB4_1491 Depth=1
	v_and_b32_e32 v15, 0xffff, v21
	v_or_b32_e32 v22, 0x10000, v21
	s_delay_alu instid0(VALU_DEP_2) | instskip(NEXT) | instid1(VALU_DEP_2)
	v_cmp_eq_u32_e32 vcc_lo, 0, v15
	v_cndmask_b32_e32 v15, v22, v21, vcc_lo
; %bb.1719:                             ;   in Loop: Header=BB4_1491 Depth=1
	s_or_b32 exec_lo, exec_lo, s20
	v_lshlrev_b32_e32 v21, 16, v16
	s_delay_alu instid0(VALU_DEP_1) | instskip(NEXT) | instid1(VALU_DEP_1)
	v_mul_f32_e32 v22, v19, v21
	v_and_b32_e32 v21, 0x7f800000, v22
	s_delay_alu instid0(VALU_DEP_1) | instskip(SKIP_1) | instid1(SALU_CYCLE_1)
	v_cmp_ne_u32_e32 vcc_lo, 0x7f800000, v21
                                        ; implicit-def: $vgpr21
	s_and_saveexec_b32 s20, vcc_lo
	s_xor_b32 s20, exec_lo, s20
; %bb.1720:                             ;   in Loop: Header=BB4_1491 Depth=1
	v_bfe_u32 v21, v22, 16, 1
	s_delay_alu instid0(VALU_DEP_1)
	v_add3_u32 v21, v22, v21, 0x7fff
                                        ; implicit-def: $vgpr22
; %bb.1721:                             ;   in Loop: Header=BB4_1491 Depth=1
	s_and_not1_saveexec_b32 s20, s20
; %bb.1722:                             ;   in Loop: Header=BB4_1491 Depth=1
	v_and_b32_e32 v21, 0xffff, v22
	v_or_b32_e32 v23, 0x10000, v22
	s_delay_alu instid0(VALU_DEP_2) | instskip(NEXT) | instid1(VALU_DEP_2)
	v_cmp_eq_u32_e32 vcc_lo, 0, v21
	v_cndmask_b32_e32 v21, v23, v22, vcc_lo
; %bb.1723:                             ;   in Loop: Header=BB4_1491 Depth=1
	s_or_b32 exec_lo, exec_lo, s20
	v_and_b32_e32 v16, 0xffff0000, v16
	s_delay_alu instid0(VALU_DEP_1) | instskip(NEXT) | instid1(VALU_DEP_1)
	v_mul_f32_e32 v22, v19, v16
	v_and_b32_e32 v16, 0x7f800000, v22
	s_delay_alu instid0(VALU_DEP_1) | instskip(SKIP_1) | instid1(SALU_CYCLE_1)
	v_cmp_ne_u32_e32 vcc_lo, 0x7f800000, v16
                                        ; implicit-def: $vgpr16
	s_and_saveexec_b32 s20, vcc_lo
	s_xor_b32 s20, exec_lo, s20
; %bb.1724:                             ;   in Loop: Header=BB4_1491 Depth=1
	v_bfe_u32 v16, v22, 16, 1
	s_delay_alu instid0(VALU_DEP_1)
	v_add3_u32 v16, v22, v16, 0x7fff
                                        ; implicit-def: $vgpr22
; %bb.1725:                             ;   in Loop: Header=BB4_1491 Depth=1
	s_and_not1_saveexec_b32 s20, s20
; %bb.1726:                             ;   in Loop: Header=BB4_1491 Depth=1
	v_and_b32_e32 v16, 0xffff, v22
	v_or_b32_e32 v23, 0x10000, v22
	s_delay_alu instid0(VALU_DEP_2) | instskip(NEXT) | instid1(VALU_DEP_2)
	v_cmp_eq_u32_e32 vcc_lo, 0, v16
	v_cndmask_b32_e32 v16, v23, v22, vcc_lo
; %bb.1727:                             ;   in Loop: Header=BB4_1491 Depth=1
	s_or_b32 exec_lo, exec_lo, s20
	v_lshlrev_b32_e32 v22, 16, v17
	s_delay_alu instid0(VALU_DEP_1) | instskip(NEXT) | instid1(VALU_DEP_1)
	v_mul_f32_e32 v23, v19, v22
	v_and_b32_e32 v22, 0x7f800000, v23
	s_delay_alu instid0(VALU_DEP_1) | instskip(SKIP_1) | instid1(SALU_CYCLE_1)
	v_cmp_ne_u32_e32 vcc_lo, 0x7f800000, v22
                                        ; implicit-def: $vgpr22
	s_and_saveexec_b32 s20, vcc_lo
	s_xor_b32 s20, exec_lo, s20
; %bb.1728:                             ;   in Loop: Header=BB4_1491 Depth=1
	v_bfe_u32 v22, v23, 16, 1
	s_delay_alu instid0(VALU_DEP_1)
	v_add3_u32 v22, v23, v22, 0x7fff
                                        ; implicit-def: $vgpr23
; %bb.1729:                             ;   in Loop: Header=BB4_1491 Depth=1
	s_and_not1_saveexec_b32 s20, s20
; %bb.1730:                             ;   in Loop: Header=BB4_1491 Depth=1
	v_and_b32_e32 v22, 0xffff, v23
	v_or_b32_e32 v24, 0x10000, v23
	s_delay_alu instid0(VALU_DEP_2) | instskip(NEXT) | instid1(VALU_DEP_2)
	v_cmp_eq_u32_e32 vcc_lo, 0, v22
	v_cndmask_b32_e32 v22, v24, v23, vcc_lo
; %bb.1731:                             ;   in Loop: Header=BB4_1491 Depth=1
	s_or_b32 exec_lo, exec_lo, s20
	v_and_b32_e32 v17, 0xffff0000, v17
	s_delay_alu instid0(VALU_DEP_1) | instskip(NEXT) | instid1(VALU_DEP_1)
	v_mul_f32_e32 v23, v19, v17
	v_and_b32_e32 v17, 0x7f800000, v23
	s_delay_alu instid0(VALU_DEP_1) | instskip(SKIP_1) | instid1(SALU_CYCLE_1)
	v_cmp_ne_u32_e32 vcc_lo, 0x7f800000, v17
                                        ; implicit-def: $vgpr17
	s_and_saveexec_b32 s20, vcc_lo
	s_xor_b32 s20, exec_lo, s20
; %bb.1732:                             ;   in Loop: Header=BB4_1491 Depth=1
	v_bfe_u32 v17, v23, 16, 1
	s_delay_alu instid0(VALU_DEP_1)
	v_add3_u32 v17, v23, v17, 0x7fff
                                        ; implicit-def: $vgpr23
; %bb.1733:                             ;   in Loop: Header=BB4_1491 Depth=1
	s_and_not1_saveexec_b32 s20, s20
; %bb.1734:                             ;   in Loop: Header=BB4_1491 Depth=1
	v_and_b32_e32 v17, 0xffff, v23
	v_or_b32_e32 v24, 0x10000, v23
	s_delay_alu instid0(VALU_DEP_2) | instskip(NEXT) | instid1(VALU_DEP_2)
	v_cmp_eq_u32_e32 vcc_lo, 0, v17
	v_cndmask_b32_e32 v17, v24, v23, vcc_lo
; %bb.1735:                             ;   in Loop: Header=BB4_1491 Depth=1
	s_or_b32 exec_lo, exec_lo, s20
	v_lshlrev_b32_e32 v23, 16, v10
	s_delay_alu instid0(VALU_DEP_1) | instskip(NEXT) | instid1(VALU_DEP_1)
	v_mul_f32_e32 v24, v19, v23
	v_and_b32_e32 v23, 0x7f800000, v24
	s_delay_alu instid0(VALU_DEP_1) | instskip(SKIP_1) | instid1(SALU_CYCLE_1)
	v_cmp_ne_u32_e32 vcc_lo, 0x7f800000, v23
                                        ; implicit-def: $vgpr23
	s_and_saveexec_b32 s20, vcc_lo
	s_xor_b32 s20, exec_lo, s20
; %bb.1736:                             ;   in Loop: Header=BB4_1491 Depth=1
	v_bfe_u32 v23, v24, 16, 1
	s_delay_alu instid0(VALU_DEP_1)
	v_add3_u32 v23, v24, v23, 0x7fff
                                        ; implicit-def: $vgpr24
; %bb.1737:                             ;   in Loop: Header=BB4_1491 Depth=1
	s_and_not1_saveexec_b32 s20, s20
; %bb.1738:                             ;   in Loop: Header=BB4_1491 Depth=1
	v_and_b32_e32 v23, 0xffff, v24
	v_or_b32_e32 v25, 0x10000, v24
	s_delay_alu instid0(VALU_DEP_2) | instskip(NEXT) | instid1(VALU_DEP_2)
	v_cmp_eq_u32_e32 vcc_lo, 0, v23
	v_cndmask_b32_e32 v23, v25, v24, vcc_lo
; %bb.1739:                             ;   in Loop: Header=BB4_1491 Depth=1
	s_or_b32 exec_lo, exec_lo, s20
	v_and_b32_e32 v10, 0xffff0000, v10
	s_delay_alu instid0(VALU_DEP_1) | instskip(NEXT) | instid1(VALU_DEP_1)
	v_mul_f32_e32 v24, v19, v10
	v_and_b32_e32 v10, 0x7f800000, v24
	s_delay_alu instid0(VALU_DEP_1) | instskip(SKIP_1) | instid1(SALU_CYCLE_1)
	v_cmp_ne_u32_e32 vcc_lo, 0x7f800000, v10
                                        ; implicit-def: $vgpr10
	s_and_saveexec_b32 s20, vcc_lo
	s_xor_b32 s20, exec_lo, s20
; %bb.1740:                             ;   in Loop: Header=BB4_1491 Depth=1
	v_bfe_u32 v10, v24, 16, 1
	s_delay_alu instid0(VALU_DEP_1)
	v_add3_u32 v10, v24, v10, 0x7fff
                                        ; implicit-def: $vgpr24
; %bb.1741:                             ;   in Loop: Header=BB4_1491 Depth=1
	s_and_not1_saveexec_b32 s20, s20
; %bb.1742:                             ;   in Loop: Header=BB4_1491 Depth=1
	v_and_b32_e32 v10, 0xffff, v24
	v_or_b32_e32 v25, 0x10000, v24
	s_delay_alu instid0(VALU_DEP_2) | instskip(NEXT) | instid1(VALU_DEP_2)
	v_cmp_eq_u32_e32 vcc_lo, 0, v10
	v_cndmask_b32_e32 v10, v25, v24, vcc_lo
; %bb.1743:                             ;   in Loop: Header=BB4_1491 Depth=1
	s_or_b32 exec_lo, exec_lo, s20
	v_lshlrev_b32_e32 v24, 16, v11
	s_delay_alu instid0(VALU_DEP_1) | instskip(NEXT) | instid1(VALU_DEP_1)
	v_mul_f32_e32 v25, v19, v24
	v_and_b32_e32 v24, 0x7f800000, v25
	s_delay_alu instid0(VALU_DEP_1) | instskip(SKIP_1) | instid1(SALU_CYCLE_1)
	v_cmp_ne_u32_e32 vcc_lo, 0x7f800000, v24
                                        ; implicit-def: $vgpr24
	s_and_saveexec_b32 s20, vcc_lo
	s_xor_b32 s20, exec_lo, s20
; %bb.1744:                             ;   in Loop: Header=BB4_1491 Depth=1
	v_bfe_u32 v24, v25, 16, 1
	s_delay_alu instid0(VALU_DEP_1)
	v_add3_u32 v24, v25, v24, 0x7fff
                                        ; implicit-def: $vgpr25
; %bb.1745:                             ;   in Loop: Header=BB4_1491 Depth=1
	s_and_not1_saveexec_b32 s20, s20
; %bb.1746:                             ;   in Loop: Header=BB4_1491 Depth=1
	v_and_b32_e32 v24, 0xffff, v25
	v_or_b32_e32 v40, 0x10000, v25
	s_delay_alu instid0(VALU_DEP_2) | instskip(NEXT) | instid1(VALU_DEP_2)
	v_cmp_eq_u32_e32 vcc_lo, 0, v24
	v_cndmask_b32_e32 v24, v40, v25, vcc_lo
; %bb.1747:                             ;   in Loop: Header=BB4_1491 Depth=1
	s_or_b32 exec_lo, exec_lo, s20
	v_and_b32_e32 v11, 0xffff0000, v11
	s_delay_alu instid0(VALU_DEP_1) | instskip(NEXT) | instid1(VALU_DEP_1)
	v_mul_f32_e32 v25, v19, v11
	v_and_b32_e32 v11, 0x7f800000, v25
	s_delay_alu instid0(VALU_DEP_1) | instskip(SKIP_1) | instid1(SALU_CYCLE_1)
	v_cmp_ne_u32_e32 vcc_lo, 0x7f800000, v11
                                        ; implicit-def: $vgpr11
	s_and_saveexec_b32 s20, vcc_lo
	s_xor_b32 s20, exec_lo, s20
; %bb.1748:                             ;   in Loop: Header=BB4_1491 Depth=1
	v_bfe_u32 v11, v25, 16, 1
	s_delay_alu instid0(VALU_DEP_1)
	v_add3_u32 v11, v25, v11, 0x7fff
                                        ; implicit-def: $vgpr25
; %bb.1749:                             ;   in Loop: Header=BB4_1491 Depth=1
	s_and_not1_saveexec_b32 s20, s20
; %bb.1750:                             ;   in Loop: Header=BB4_1491 Depth=1
	v_and_b32_e32 v11, 0xffff, v25
	v_or_b32_e32 v40, 0x10000, v25
	s_delay_alu instid0(VALU_DEP_2) | instskip(NEXT) | instid1(VALU_DEP_2)
	v_cmp_eq_u32_e32 vcc_lo, 0, v11
	v_cndmask_b32_e32 v11, v40, v25, vcc_lo
; %bb.1751:                             ;   in Loop: Header=BB4_1491 Depth=1
	s_or_b32 exec_lo, exec_lo, s20
	v_lshlrev_b32_e32 v25, 16, v12
	s_delay_alu instid0(VALU_DEP_1) | instskip(NEXT) | instid1(VALU_DEP_1)
	v_mul_f32_e32 v40, v19, v25
	v_and_b32_e32 v25, 0x7f800000, v40
	s_delay_alu instid0(VALU_DEP_1) | instskip(SKIP_1) | instid1(SALU_CYCLE_1)
	v_cmp_ne_u32_e32 vcc_lo, 0x7f800000, v25
                                        ; implicit-def: $vgpr25
	s_and_saveexec_b32 s20, vcc_lo
	s_xor_b32 s20, exec_lo, s20
; %bb.1752:                             ;   in Loop: Header=BB4_1491 Depth=1
	v_bfe_u32 v25, v40, 16, 1
	s_delay_alu instid0(VALU_DEP_1)
	v_add3_u32 v25, v40, v25, 0x7fff
                                        ; implicit-def: $vgpr40
; %bb.1753:                             ;   in Loop: Header=BB4_1491 Depth=1
	s_and_not1_saveexec_b32 s20, s20
; %bb.1754:                             ;   in Loop: Header=BB4_1491 Depth=1
	v_and_b32_e32 v25, 0xffff, v40
	v_or_b32_e32 v41, 0x10000, v40
	s_delay_alu instid0(VALU_DEP_2) | instskip(NEXT) | instid1(VALU_DEP_2)
	v_cmp_eq_u32_e32 vcc_lo, 0, v25
	v_cndmask_b32_e32 v25, v41, v40, vcc_lo
; %bb.1755:                             ;   in Loop: Header=BB4_1491 Depth=1
	s_or_b32 exec_lo, exec_lo, s20
	v_and_b32_e32 v12, 0xffff0000, v12
	s_delay_alu instid0(VALU_DEP_1) | instskip(NEXT) | instid1(VALU_DEP_1)
	v_mul_f32_e32 v40, v19, v12
	v_and_b32_e32 v12, 0x7f800000, v40
	s_delay_alu instid0(VALU_DEP_1) | instskip(SKIP_1) | instid1(SALU_CYCLE_1)
	v_cmp_ne_u32_e32 vcc_lo, 0x7f800000, v12
                                        ; implicit-def: $vgpr12
	s_and_saveexec_b32 s20, vcc_lo
	s_xor_b32 s20, exec_lo, s20
; %bb.1756:                             ;   in Loop: Header=BB4_1491 Depth=1
	v_bfe_u32 v12, v40, 16, 1
	s_delay_alu instid0(VALU_DEP_1)
	v_add3_u32 v12, v40, v12, 0x7fff
                                        ; implicit-def: $vgpr40
; %bb.1757:                             ;   in Loop: Header=BB4_1491 Depth=1
	s_and_not1_saveexec_b32 s20, s20
; %bb.1758:                             ;   in Loop: Header=BB4_1491 Depth=1
	v_and_b32_e32 v12, 0xffff, v40
	v_or_b32_e32 v41, 0x10000, v40
	s_delay_alu instid0(VALU_DEP_2) | instskip(NEXT) | instid1(VALU_DEP_2)
	v_cmp_eq_u32_e32 vcc_lo, 0, v12
	v_cndmask_b32_e32 v12, v41, v40, vcc_lo
; %bb.1759:                             ;   in Loop: Header=BB4_1491 Depth=1
	s_or_b32 exec_lo, exec_lo, s20
	v_lshlrev_b32_e32 v40, 16, v13
	s_delay_alu instid0(VALU_DEP_1) | instskip(NEXT) | instid1(VALU_DEP_1)
	v_mul_f32_e32 v41, v19, v40
	v_and_b32_e32 v40, 0x7f800000, v41
	s_delay_alu instid0(VALU_DEP_1) | instskip(SKIP_1) | instid1(SALU_CYCLE_1)
	v_cmp_ne_u32_e32 vcc_lo, 0x7f800000, v40
                                        ; implicit-def: $vgpr40
	s_and_saveexec_b32 s20, vcc_lo
	s_xor_b32 s20, exec_lo, s20
; %bb.1760:                             ;   in Loop: Header=BB4_1491 Depth=1
	v_bfe_u32 v40, v41, 16, 1
	s_delay_alu instid0(VALU_DEP_1)
	v_add3_u32 v40, v41, v40, 0x7fff
                                        ; implicit-def: $vgpr41
; %bb.1761:                             ;   in Loop: Header=BB4_1491 Depth=1
	s_and_not1_saveexec_b32 s20, s20
; %bb.1762:                             ;   in Loop: Header=BB4_1491 Depth=1
	v_and_b32_e32 v40, 0xffff, v41
	v_or_b32_e32 v59, 0x10000, v41
	s_delay_alu instid0(VALU_DEP_2) | instskip(NEXT) | instid1(VALU_DEP_2)
	v_cmp_eq_u32_e32 vcc_lo, 0, v40
	v_cndmask_b32_e32 v40, v59, v41, vcc_lo
; %bb.1763:                             ;   in Loop: Header=BB4_1491 Depth=1
	s_or_b32 exec_lo, exec_lo, s20
	v_and_b32_e32 v13, 0xffff0000, v13
	s_delay_alu instid0(VALU_DEP_1) | instskip(NEXT) | instid1(VALU_DEP_1)
	v_mul_f32_e32 v19, v19, v13
	v_and_b32_e32 v13, 0x7f800000, v19
	s_delay_alu instid0(VALU_DEP_1) | instskip(SKIP_1) | instid1(SALU_CYCLE_1)
	v_cmp_ne_u32_e32 vcc_lo, 0x7f800000, v13
                                        ; implicit-def: $vgpr13
	s_and_saveexec_b32 s20, vcc_lo
	s_xor_b32 s20, exec_lo, s20
; %bb.1764:                             ;   in Loop: Header=BB4_1491 Depth=1
	v_bfe_u32 v13, v19, 16, 1
	s_delay_alu instid0(VALU_DEP_1)
	v_add3_u32 v13, v19, v13, 0x7fff
                                        ; implicit-def: $vgpr19
; %bb.1765:                             ;   in Loop: Header=BB4_1491 Depth=1
	s_and_not1_saveexec_b32 s20, s20
; %bb.1766:                             ;   in Loop: Header=BB4_1491 Depth=1
	v_and_b32_e32 v13, 0xffff, v19
	v_or_b32_e32 v41, 0x10000, v19
	s_delay_alu instid0(VALU_DEP_2) | instskip(NEXT) | instid1(VALU_DEP_2)
	v_cmp_eq_u32_e32 vcc_lo, 0, v13
	v_cndmask_b32_e32 v13, v41, v19, vcc_lo
; %bb.1767:                             ;   in Loop: Header=BB4_1491 Depth=1
	s_or_b32 exec_lo, exec_lo, s20
	v_dual_lshrrev_b32 v19, 16, v20 :: v_dual_lshrrev_b32 v18, 16, v18
	v_lshrrev_b32_e32 v20, 16, v21
	v_lshrrev_b32_e32 v21, 16, v25
	s_delay_alu instid0(VALU_DEP_3) | instskip(NEXT) | instid1(VALU_DEP_4)
	v_and_or_b32 v15, 0xffff0000, v15, v19
	v_and_or_b32 v14, 0xffff0000, v14, v18
	v_lshrrev_b32_e32 v18, 16, v22
	v_and_or_b32 v16, 0xffff0000, v16, v20
	v_dual_lshrrev_b32 v19, 16, v24 :: v_dual_lshrrev_b32 v20, 16, v23
	v_lshrrev_b32_e32 v22, 16, v40
	s_delay_alu instid0(VALU_DEP_4) | instskip(SKIP_1) | instid1(VALU_DEP_4)
	v_and_or_b32 v17, 0xffff0000, v17, v18
	v_and_or_b32 v12, 0xffff0000, v12, v21
	v_and_or_b32 v11, 0xffff0000, v11, v19
	v_and_or_b32 v10, 0xffff0000, v10, v20
	v_and_or_b32 v13, 0xffff0000, v13, v22
	s_clause 0x1
	global_store_b128 v[118:119], v[14:17], off th:TH_STORE_NT
	global_store_b128 v[118:119], v[10:13], off offset:512 th:TH_STORE_NT
.LBB4_1768:                             ;   in Loop: Header=BB4_1491 Depth=1
	s_wait_xcnt 0x0
	s_or_b32 exec_lo, exec_lo, s10
	v_lshlrev_b32_e32 v22, 10, v57
	s_mov_b32 s20, exec_lo
                                        ; implicit-def: $vgpr14
                                        ; implicit-def: $vgpr10
                                        ; implicit-def: $vgpr15
	s_delay_alu instid0(VALU_DEP_1)
	v_cmpx_ne_u32_e64 v56, v22
	s_cbranch_execz .LBB4_1880
; %bb.1769:                             ;   in Loop: Header=BB4_1491 Depth=1
	v_lshlrev_b32_e32 v10, 5, v58
	s_mov_b32 s22, 0
	s_mov_b32 s21, exec_lo
	v_sub_nc_u32_e32 v14, v56, v22
	s_delay_alu instid0(VALU_DEP_2) | instskip(NEXT) | instid1(VALU_DEP_1)
	v_sub_nc_u32_e32 v10, v43, v10
	v_ashrrev_i32_e32 v11, 31, v10
	s_delay_alu instid0(VALU_DEP_1) | instskip(NEXT) | instid1(VALU_DEP_1)
	v_lshrrev_b32_e32 v11, 27, v11
	v_add_nc_u32_e32 v11, v10, v11
	s_delay_alu instid0(VALU_DEP_1) | instskip(NEXT) | instid1(VALU_DEP_1)
	v_and_b32_e32 v12, 0xffffffe0, v11
	v_dual_ashrrev_i32 v11, 5, v11 :: v_dual_sub_nc_u32 v23, v10, v12
	s_delay_alu instid0(VALU_DEP_1) | instskip(NEXT) | instid1(VALU_DEP_1)
	v_dual_ashrrev_i32 v13, 31, v14 :: v_dual_lshlrev_b32 v12, 4, v23
	v_lshl_add_u32 v15, v11, 9, v12
	s_delay_alu instid0(VALU_DEP_1) | instskip(NEXT) | instid1(VALU_DEP_1)
	v_dual_lshrrev_b32 v10, 23, v13 :: v_dual_add_nc_u32 v12, v15, v22
	v_dual_add_nc_u32 v10, v14, v10 :: v_dual_sub_nc_u32 v119, v14, v15
	s_delay_alu instid0(VALU_DEP_2) | instskip(NEXT) | instid1(VALU_DEP_2)
	v_ashrrev_i32_e32 v13, 31, v12
	v_and_b32_e32 v24, 0xfffffe00, v10
	s_delay_alu instid0(VALU_DEP_2) | instskip(NEXT) | instid1(VALU_DEP_2)
	v_add_nc_u64_e32 v[18:19], v[12:13], v[116:117]
	v_dual_sub_nc_u32 v25, v14, v24 :: v_dual_ashrrev_i32 v10, 9, v10
	s_delay_alu instid0(VALU_DEP_1) | instskip(NEXT) | instid1(VALU_DEP_2)
	v_cmp_lt_i32_e32 vcc_lo, 15, v25
	v_add_co_ci_u32_e64 v10, null, 0, v10, vcc_lo
	s_delay_alu instid0(VALU_DEP_1)
	v_sub_nc_u32_e32 v118, v10, v11
                                        ; implicit-def: $vgpr10_vgpr11
	v_cmpx_lt_i32_e32 15, v119
	s_cbranch_execz .LBB4_1843
; %bb.1770:                             ;   in Loop: Header=BB4_1491 Depth=1
	s_trap 2
	ds_load_b32 v10, v0
	v_add_nc_u64_e32 v[20:21], v[12:13], v[114:115]
	s_mov_b32 s24, 0
                                        ; implicit-def: $sgpr23
	s_wait_dscnt 0x0
	v_lshlrev_b32_e32 v40, 16, v10
                                        ; implicit-def: $vgpr10_vgpr11
	s_branch .LBB4_1772
.LBB4_1771:                             ;   in Loop: Header=BB4_1772 Depth=2
	s_or_b32 exec_lo, exec_lo, s10
	s_delay_alu instid0(VALU_DEP_1) | instskip(SKIP_3) | instid1(SALU_CYCLE_1)
	v_cmp_gt_i32_e64 s10, 16, v119
	s_or_b32 s22, s10, s22
	s_and_not1_b32 s10, s23, exec_lo
	s_and_b32 s23, s24, exec_lo
	s_or_b32 s23, s10, s23
	s_and_not1_b32 exec_lo, exec_lo, s22
	s_cbranch_execz .LBB4_1842
.LBB4_1772:                             ;   Parent Loop BB4_1491 Depth=1
                                        ; =>  This Inner Loop Header: Depth=2
	global_load_b128 v[14:17], v[20:21], off th:TH_LOAD_NT
	s_wait_xcnt 0x0
	s_and_saveexec_b32 s25, s24
	s_cbranch_execz .LBB4_1806
; %bb.1773:                             ;   in Loop: Header=BB4_1772 Depth=2
	v_lshlrev_b32_e32 v41, 16, v10
	s_delay_alu instid0(VALU_DEP_1) | instskip(NEXT) | instid1(VALU_DEP_1)
	v_mul_f32_e32 v57, v40, v41
	v_and_b32_e32 v41, 0x7f800000, v57
	s_delay_alu instid0(VALU_DEP_1) | instskip(SKIP_1) | instid1(SALU_CYCLE_1)
	v_cmp_ne_u32_e64 s10, 0x7f800000, v41
                                        ; implicit-def: $vgpr41
	s_and_saveexec_b32 s24, s10
	s_xor_b32 s10, exec_lo, s24
; %bb.1774:                             ;   in Loop: Header=BB4_1772 Depth=2
	v_bfe_u32 v41, v57, 16, 1
	s_delay_alu instid0(VALU_DEP_1)
	v_add3_u32 v41, v57, v41, 0x7fff
                                        ; implicit-def: $vgpr57
; %bb.1775:                             ;   in Loop: Header=BB4_1772 Depth=2
	s_and_not1_saveexec_b32 s24, s10
; %bb.1776:                             ;   in Loop: Header=BB4_1772 Depth=2
	v_and_b32_e32 v41, 0xffff, v57
	v_or_b32_e32 v58, 0x10000, v57
	s_delay_alu instid0(VALU_DEP_2) | instskip(NEXT) | instid1(VALU_DEP_1)
	v_cmp_eq_u32_e64 s10, 0, v41
	v_cndmask_b32_e64 v41, v58, v57, s10
; %bb.1777:                             ;   in Loop: Header=BB4_1772 Depth=2
	s_or_b32 exec_lo, exec_lo, s24
	v_and_b32_e32 v10, 0xffff0000, v10
	s_delay_alu instid0(VALU_DEP_1) | instskip(NEXT) | instid1(VALU_DEP_1)
	v_mul_f32_e32 v57, v40, v10
	v_and_b32_e32 v10, 0x7f800000, v57
	s_delay_alu instid0(VALU_DEP_1) | instskip(SKIP_1) | instid1(SALU_CYCLE_1)
	v_cmp_ne_u32_e64 s10, 0x7f800000, v10
                                        ; implicit-def: $vgpr10
	s_and_saveexec_b32 s24, s10
	s_xor_b32 s10, exec_lo, s24
; %bb.1778:                             ;   in Loop: Header=BB4_1772 Depth=2
	v_bfe_u32 v10, v57, 16, 1
	s_delay_alu instid0(VALU_DEP_1)
	v_add3_u32 v10, v57, v10, 0x7fff
                                        ; implicit-def: $vgpr57
; %bb.1779:                             ;   in Loop: Header=BB4_1772 Depth=2
	s_and_not1_saveexec_b32 s24, s10
; %bb.1780:                             ;   in Loop: Header=BB4_1772 Depth=2
	v_and_b32_e32 v10, 0xffff, v57
	v_or_b32_e32 v58, 0x10000, v57
	s_delay_alu instid0(VALU_DEP_2) | instskip(NEXT) | instid1(VALU_DEP_1)
	v_cmp_eq_u32_e64 s10, 0, v10
	v_cndmask_b32_e64 v10, v58, v57, s10
; %bb.1781:                             ;   in Loop: Header=BB4_1772 Depth=2
	s_or_b32 exec_lo, exec_lo, s24
	v_lshlrev_b32_e32 v57, 16, v11
	s_delay_alu instid0(VALU_DEP_1) | instskip(NEXT) | instid1(VALU_DEP_1)
	v_mul_f32_e32 v58, v40, v57
	v_and_b32_e32 v57, 0x7f800000, v58
	s_delay_alu instid0(VALU_DEP_1) | instskip(SKIP_1) | instid1(SALU_CYCLE_1)
	v_cmp_ne_u32_e64 s10, 0x7f800000, v57
                                        ; implicit-def: $vgpr57
	s_and_saveexec_b32 s24, s10
	s_xor_b32 s10, exec_lo, s24
; %bb.1782:                             ;   in Loop: Header=BB4_1772 Depth=2
	v_bfe_u32 v57, v58, 16, 1
	s_delay_alu instid0(VALU_DEP_1)
	v_add3_u32 v57, v58, v57, 0x7fff
                                        ; implicit-def: $vgpr58
; %bb.1783:                             ;   in Loop: Header=BB4_1772 Depth=2
	s_and_not1_saveexec_b32 s24, s10
; %bb.1784:                             ;   in Loop: Header=BB4_1772 Depth=2
	v_and_b32_e32 v57, 0xffff, v58
	v_or_b32_e32 v59, 0x10000, v58
	s_delay_alu instid0(VALU_DEP_2) | instskip(NEXT) | instid1(VALU_DEP_1)
	v_cmp_eq_u32_e64 s10, 0, v57
	v_cndmask_b32_e64 v57, v59, v58, s10
; %bb.1785:                             ;   in Loop: Header=BB4_1772 Depth=2
	s_or_b32 exec_lo, exec_lo, s24
	v_and_b32_e32 v11, 0xffff0000, v11
	s_delay_alu instid0(VALU_DEP_1) | instskip(NEXT) | instid1(VALU_DEP_1)
	v_mul_f32_e32 v58, v40, v11
	v_and_b32_e32 v11, 0x7f800000, v58
	s_delay_alu instid0(VALU_DEP_1) | instskip(SKIP_1) | instid1(SALU_CYCLE_1)
	v_cmp_ne_u32_e64 s10, 0x7f800000, v11
                                        ; implicit-def: $vgpr11
	s_and_saveexec_b32 s24, s10
	s_xor_b32 s10, exec_lo, s24
; %bb.1786:                             ;   in Loop: Header=BB4_1772 Depth=2
	v_bfe_u32 v11, v58, 16, 1
	s_delay_alu instid0(VALU_DEP_1)
	v_add3_u32 v11, v58, v11, 0x7fff
                                        ; implicit-def: $vgpr58
; %bb.1787:                             ;   in Loop: Header=BB4_1772 Depth=2
	s_and_not1_saveexec_b32 s24, s10
; %bb.1788:                             ;   in Loop: Header=BB4_1772 Depth=2
	v_and_b32_e32 v11, 0xffff, v58
	v_or_b32_e32 v59, 0x10000, v58
	s_delay_alu instid0(VALU_DEP_2) | instskip(NEXT) | instid1(VALU_DEP_1)
	v_cmp_eq_u32_e64 s10, 0, v11
	v_cndmask_b32_e64 v11, v59, v58, s10
; %bb.1789:                             ;   in Loop: Header=BB4_1772 Depth=2
	s_or_b32 exec_lo, exec_lo, s24
	v_lshlrev_b32_e32 v58, 16, v12
	s_delay_alu instid0(VALU_DEP_1) | instskip(NEXT) | instid1(VALU_DEP_1)
	v_mul_f32_e32 v59, v40, v58
	v_and_b32_e32 v58, 0x7f800000, v59
	s_delay_alu instid0(VALU_DEP_1) | instskip(SKIP_1) | instid1(SALU_CYCLE_1)
	v_cmp_ne_u32_e64 s10, 0x7f800000, v58
                                        ; implicit-def: $vgpr58
	s_and_saveexec_b32 s24, s10
	s_xor_b32 s10, exec_lo, s24
; %bb.1790:                             ;   in Loop: Header=BB4_1772 Depth=2
	v_bfe_u32 v58, v59, 16, 1
	s_delay_alu instid0(VALU_DEP_1)
	v_add3_u32 v58, v59, v58, 0x7fff
                                        ; implicit-def: $vgpr59
; %bb.1791:                             ;   in Loop: Header=BB4_1772 Depth=2
	s_and_not1_saveexec_b32 s24, s10
; %bb.1792:                             ;   in Loop: Header=BB4_1772 Depth=2
	v_and_b32_e32 v58, 0xffff, v59
	v_or_b32_e32 v60, 0x10000, v59
	s_delay_alu instid0(VALU_DEP_2) | instskip(NEXT) | instid1(VALU_DEP_1)
	v_cmp_eq_u32_e64 s10, 0, v58
	v_cndmask_b32_e64 v58, v60, v59, s10
; %bb.1793:                             ;   in Loop: Header=BB4_1772 Depth=2
	s_or_b32 exec_lo, exec_lo, s24
	v_and_b32_e32 v12, 0xffff0000, v12
	s_delay_alu instid0(VALU_DEP_1) | instskip(NEXT) | instid1(VALU_DEP_1)
	v_mul_f32_e32 v59, v40, v12
	v_and_b32_e32 v12, 0x7f800000, v59
	s_delay_alu instid0(VALU_DEP_1) | instskip(SKIP_1) | instid1(SALU_CYCLE_1)
	v_cmp_ne_u32_e64 s10, 0x7f800000, v12
                                        ; implicit-def: $vgpr12
	s_and_saveexec_b32 s24, s10
	s_xor_b32 s10, exec_lo, s24
; %bb.1794:                             ;   in Loop: Header=BB4_1772 Depth=2
	v_bfe_u32 v12, v59, 16, 1
	s_delay_alu instid0(VALU_DEP_1)
	v_add3_u32 v12, v59, v12, 0x7fff
                                        ; implicit-def: $vgpr59
; %bb.1795:                             ;   in Loop: Header=BB4_1772 Depth=2
	s_and_not1_saveexec_b32 s24, s10
; %bb.1796:                             ;   in Loop: Header=BB4_1772 Depth=2
	v_and_b32_e32 v12, 0xffff, v59
	v_or_b32_e32 v60, 0x10000, v59
	s_delay_alu instid0(VALU_DEP_2) | instskip(NEXT) | instid1(VALU_DEP_1)
	v_cmp_eq_u32_e64 s10, 0, v12
	v_cndmask_b32_e64 v12, v60, v59, s10
; %bb.1797:                             ;   in Loop: Header=BB4_1772 Depth=2
	s_or_b32 exec_lo, exec_lo, s24
	v_lshlrev_b32_e32 v59, 16, v13
	s_delay_alu instid0(VALU_DEP_1) | instskip(NEXT) | instid1(VALU_DEP_1)
	v_mul_f32_e32 v60, v40, v59
	v_and_b32_e32 v59, 0x7f800000, v60
	s_delay_alu instid0(VALU_DEP_1) | instskip(SKIP_1) | instid1(SALU_CYCLE_1)
	v_cmp_ne_u32_e64 s10, 0x7f800000, v59
                                        ; implicit-def: $vgpr59
	s_and_saveexec_b32 s24, s10
	s_xor_b32 s10, exec_lo, s24
; %bb.1798:                             ;   in Loop: Header=BB4_1772 Depth=2
	v_bfe_u32 v59, v60, 16, 1
	s_delay_alu instid0(VALU_DEP_1)
	v_add3_u32 v59, v60, v59, 0x7fff
                                        ; implicit-def: $vgpr60
; %bb.1799:                             ;   in Loop: Header=BB4_1772 Depth=2
	s_and_not1_saveexec_b32 s24, s10
; %bb.1800:                             ;   in Loop: Header=BB4_1772 Depth=2
	v_and_b32_e32 v59, 0xffff, v60
	v_or_b32_e32 v61, 0x10000, v60
	s_delay_alu instid0(VALU_DEP_2) | instskip(NEXT) | instid1(VALU_DEP_1)
	v_cmp_eq_u32_e64 s10, 0, v59
	v_cndmask_b32_e64 v59, v61, v60, s10
; %bb.1801:                             ;   in Loop: Header=BB4_1772 Depth=2
	s_or_b32 exec_lo, exec_lo, s24
	v_and_b32_e32 v13, 0xffff0000, v13
	s_delay_alu instid0(VALU_DEP_1) | instskip(NEXT) | instid1(VALU_DEP_1)
	v_mul_f32_e32 v60, v40, v13
	v_and_b32_e32 v13, 0x7f800000, v60
	s_delay_alu instid0(VALU_DEP_1) | instskip(SKIP_1) | instid1(SALU_CYCLE_1)
	v_cmp_ne_u32_e64 s10, 0x7f800000, v13
                                        ; implicit-def: $vgpr13
	s_and_saveexec_b32 s24, s10
	s_xor_b32 s10, exec_lo, s24
; %bb.1802:                             ;   in Loop: Header=BB4_1772 Depth=2
	v_bfe_u32 v13, v60, 16, 1
	s_delay_alu instid0(VALU_DEP_1)
	v_add3_u32 v13, v60, v13, 0x7fff
                                        ; implicit-def: $vgpr60
; %bb.1803:                             ;   in Loop: Header=BB4_1772 Depth=2
	s_and_not1_saveexec_b32 s24, s10
; %bb.1804:                             ;   in Loop: Header=BB4_1772 Depth=2
	v_and_b32_e32 v13, 0xffff, v60
	v_or_b32_e32 v61, 0x10000, v60
	s_delay_alu instid0(VALU_DEP_2) | instskip(NEXT) | instid1(VALU_DEP_1)
	v_cmp_eq_u32_e64 s10, 0, v13
	v_cndmask_b32_e64 v13, v61, v60, s10
; %bb.1805:                             ;   in Loop: Header=BB4_1772 Depth=2
	s_or_b32 exec_lo, exec_lo, s24
	v_dual_lshrrev_b32 v57, 16, v57 :: v_dual_lshrrev_b32 v58, 16, v58
	v_dual_lshrrev_b32 v41, 16, v41 :: v_dual_lshrrev_b32 v59, 16, v59
	s_delay_alu instid0(VALU_DEP_2) | instskip(NEXT) | instid1(VALU_DEP_3)
	v_and_or_b32 v11, 0xffff0000, v11, v57
	v_and_or_b32 v12, 0xffff0000, v12, v58
	s_delay_alu instid0(VALU_DEP_3) | instskip(NEXT) | instid1(VALU_DEP_4)
	v_and_or_b32 v10, 0xffff0000, v10, v41
	v_and_or_b32 v13, 0xffff0000, v13, v59
	global_store_b128 v[18:19], v[10:13], off th:TH_STORE_NT
	s_wait_xcnt 0x0
	v_add_nc_u64_e32 v[18:19], v[18:19], v[86:87]
.LBB4_1806:                             ;   in Loop: Header=BB4_1772 Depth=2
	s_or_b32 exec_lo, exec_lo, s25
	v_sub_nc_u32_e32 v119, v119, v44
	v_add_nc_u64_e32 v[20:21], v[20:21], v[86:87]
	s_delay_alu instid0(VALU_DEP_2)
	v_cmp_lt_i32_e64 s24, 15, v119
	s_and_saveexec_b32 s10, s24
	s_cbranch_execz .LBB4_1808
; %bb.1807:                             ;   in Loop: Header=BB4_1772 Depth=2
	global_load_b128 v[10:13], v[20:21], off th:TH_LOAD_NT
	s_wait_xcnt 0x0
	v_add_nc_u64_e32 v[20:21], 0x200, v[20:21]
.LBB4_1808:                             ;   in Loop: Header=BB4_1772 Depth=2
	s_or_b32 exec_lo, exec_lo, s10
	s_wait_loadcnt 0x0
	v_lshlrev_b32_e32 v41, 16, v14
	s_delay_alu instid0(VALU_DEP_1) | instskip(NEXT) | instid1(VALU_DEP_1)
	v_mul_f32_e32 v57, v40, v41
	v_and_b32_e32 v41, 0x7f800000, v57
	s_delay_alu instid0(VALU_DEP_1) | instskip(SKIP_1) | instid1(SALU_CYCLE_1)
	v_cmp_ne_u32_e64 s10, 0x7f800000, v41
                                        ; implicit-def: $vgpr41
	s_and_saveexec_b32 s25, s10
	s_xor_b32 s10, exec_lo, s25
; %bb.1809:                             ;   in Loop: Header=BB4_1772 Depth=2
	v_bfe_u32 v41, v57, 16, 1
	s_delay_alu instid0(VALU_DEP_1)
	v_add3_u32 v41, v57, v41, 0x7fff
                                        ; implicit-def: $vgpr57
; %bb.1810:                             ;   in Loop: Header=BB4_1772 Depth=2
	s_and_not1_saveexec_b32 s25, s10
; %bb.1811:                             ;   in Loop: Header=BB4_1772 Depth=2
	v_and_b32_e32 v41, 0xffff, v57
	v_or_b32_e32 v58, 0x10000, v57
	s_delay_alu instid0(VALU_DEP_2) | instskip(NEXT) | instid1(VALU_DEP_1)
	v_cmp_eq_u32_e64 s10, 0, v41
	v_cndmask_b32_e64 v41, v58, v57, s10
; %bb.1812:                             ;   in Loop: Header=BB4_1772 Depth=2
	s_or_b32 exec_lo, exec_lo, s25
	v_and_b32_e32 v14, 0xffff0000, v14
	s_delay_alu instid0(VALU_DEP_1) | instskip(NEXT) | instid1(VALU_DEP_1)
	v_mul_f32_e32 v57, v40, v14
	v_and_b32_e32 v14, 0x7f800000, v57
	s_delay_alu instid0(VALU_DEP_1) | instskip(SKIP_1) | instid1(SALU_CYCLE_1)
	v_cmp_ne_u32_e64 s10, 0x7f800000, v14
                                        ; implicit-def: $vgpr14
	s_and_saveexec_b32 s25, s10
	s_xor_b32 s10, exec_lo, s25
; %bb.1813:                             ;   in Loop: Header=BB4_1772 Depth=2
	v_bfe_u32 v14, v57, 16, 1
	s_delay_alu instid0(VALU_DEP_1)
	v_add3_u32 v14, v57, v14, 0x7fff
                                        ; implicit-def: $vgpr57
; %bb.1814:                             ;   in Loop: Header=BB4_1772 Depth=2
	s_and_not1_saveexec_b32 s25, s10
; %bb.1815:                             ;   in Loop: Header=BB4_1772 Depth=2
	v_and_b32_e32 v14, 0xffff, v57
	v_or_b32_e32 v58, 0x10000, v57
	s_delay_alu instid0(VALU_DEP_2) | instskip(NEXT) | instid1(VALU_DEP_1)
	v_cmp_eq_u32_e64 s10, 0, v14
	v_cndmask_b32_e64 v14, v58, v57, s10
; %bb.1816:                             ;   in Loop: Header=BB4_1772 Depth=2
	s_or_b32 exec_lo, exec_lo, s25
	v_lshlrev_b32_e32 v57, 16, v15
	s_delay_alu instid0(VALU_DEP_1) | instskip(NEXT) | instid1(VALU_DEP_1)
	v_mul_f32_e32 v58, v40, v57
	v_and_b32_e32 v57, 0x7f800000, v58
	s_delay_alu instid0(VALU_DEP_1) | instskip(SKIP_1) | instid1(SALU_CYCLE_1)
	v_cmp_ne_u32_e64 s10, 0x7f800000, v57
                                        ; implicit-def: $vgpr57
	s_and_saveexec_b32 s25, s10
	s_xor_b32 s10, exec_lo, s25
; %bb.1817:                             ;   in Loop: Header=BB4_1772 Depth=2
	v_bfe_u32 v57, v58, 16, 1
	s_delay_alu instid0(VALU_DEP_1)
	v_add3_u32 v57, v58, v57, 0x7fff
                                        ; implicit-def: $vgpr58
; %bb.1818:                             ;   in Loop: Header=BB4_1772 Depth=2
	s_and_not1_saveexec_b32 s25, s10
; %bb.1819:                             ;   in Loop: Header=BB4_1772 Depth=2
	v_and_b32_e32 v57, 0xffff, v58
	v_or_b32_e32 v59, 0x10000, v58
	s_delay_alu instid0(VALU_DEP_2) | instskip(NEXT) | instid1(VALU_DEP_1)
	v_cmp_eq_u32_e64 s10, 0, v57
	v_cndmask_b32_e64 v57, v59, v58, s10
; %bb.1820:                             ;   in Loop: Header=BB4_1772 Depth=2
	s_or_b32 exec_lo, exec_lo, s25
	v_and_b32_e32 v15, 0xffff0000, v15
	s_delay_alu instid0(VALU_DEP_1) | instskip(NEXT) | instid1(VALU_DEP_1)
	v_mul_f32_e32 v58, v40, v15
	v_and_b32_e32 v15, 0x7f800000, v58
	s_delay_alu instid0(VALU_DEP_1) | instskip(SKIP_1) | instid1(SALU_CYCLE_1)
	v_cmp_ne_u32_e64 s10, 0x7f800000, v15
                                        ; implicit-def: $vgpr15
	s_and_saveexec_b32 s25, s10
	s_xor_b32 s10, exec_lo, s25
; %bb.1821:                             ;   in Loop: Header=BB4_1772 Depth=2
	v_bfe_u32 v15, v58, 16, 1
	s_delay_alu instid0(VALU_DEP_1)
	v_add3_u32 v15, v58, v15, 0x7fff
                                        ; implicit-def: $vgpr58
; %bb.1822:                             ;   in Loop: Header=BB4_1772 Depth=2
	s_and_not1_saveexec_b32 s25, s10
; %bb.1823:                             ;   in Loop: Header=BB4_1772 Depth=2
	v_and_b32_e32 v15, 0xffff, v58
	v_or_b32_e32 v59, 0x10000, v58
	s_delay_alu instid0(VALU_DEP_2) | instskip(NEXT) | instid1(VALU_DEP_1)
	v_cmp_eq_u32_e64 s10, 0, v15
	v_cndmask_b32_e64 v15, v59, v58, s10
; %bb.1824:                             ;   in Loop: Header=BB4_1772 Depth=2
	s_or_b32 exec_lo, exec_lo, s25
	v_lshlrev_b32_e32 v58, 16, v16
	s_delay_alu instid0(VALU_DEP_1) | instskip(NEXT) | instid1(VALU_DEP_1)
	v_mul_f32_e32 v59, v40, v58
	v_and_b32_e32 v58, 0x7f800000, v59
	s_delay_alu instid0(VALU_DEP_1) | instskip(SKIP_1) | instid1(SALU_CYCLE_1)
	v_cmp_ne_u32_e64 s10, 0x7f800000, v58
                                        ; implicit-def: $vgpr58
	s_and_saveexec_b32 s25, s10
	s_xor_b32 s10, exec_lo, s25
; %bb.1825:                             ;   in Loop: Header=BB4_1772 Depth=2
	v_bfe_u32 v58, v59, 16, 1
	s_delay_alu instid0(VALU_DEP_1)
	v_add3_u32 v58, v59, v58, 0x7fff
                                        ; implicit-def: $vgpr59
; %bb.1826:                             ;   in Loop: Header=BB4_1772 Depth=2
	s_and_not1_saveexec_b32 s25, s10
; %bb.1827:                             ;   in Loop: Header=BB4_1772 Depth=2
	v_and_b32_e32 v58, 0xffff, v59
	v_or_b32_e32 v60, 0x10000, v59
	s_delay_alu instid0(VALU_DEP_2) | instskip(NEXT) | instid1(VALU_DEP_1)
	v_cmp_eq_u32_e64 s10, 0, v58
	v_cndmask_b32_e64 v58, v60, v59, s10
; %bb.1828:                             ;   in Loop: Header=BB4_1772 Depth=2
	s_or_b32 exec_lo, exec_lo, s25
	v_and_b32_e32 v16, 0xffff0000, v16
	s_delay_alu instid0(VALU_DEP_1) | instskip(NEXT) | instid1(VALU_DEP_1)
	v_mul_f32_e32 v59, v40, v16
	v_and_b32_e32 v16, 0x7f800000, v59
	s_delay_alu instid0(VALU_DEP_1) | instskip(SKIP_1) | instid1(SALU_CYCLE_1)
	v_cmp_ne_u32_e64 s10, 0x7f800000, v16
                                        ; implicit-def: $vgpr16
	s_and_saveexec_b32 s25, s10
	s_xor_b32 s10, exec_lo, s25
; %bb.1829:                             ;   in Loop: Header=BB4_1772 Depth=2
	v_bfe_u32 v16, v59, 16, 1
	s_delay_alu instid0(VALU_DEP_1)
	v_add3_u32 v16, v59, v16, 0x7fff
                                        ; implicit-def: $vgpr59
; %bb.1830:                             ;   in Loop: Header=BB4_1772 Depth=2
	s_and_not1_saveexec_b32 s25, s10
; %bb.1831:                             ;   in Loop: Header=BB4_1772 Depth=2
	v_and_b32_e32 v16, 0xffff, v59
	v_or_b32_e32 v60, 0x10000, v59
	s_delay_alu instid0(VALU_DEP_2) | instskip(NEXT) | instid1(VALU_DEP_1)
	v_cmp_eq_u32_e64 s10, 0, v16
	v_cndmask_b32_e64 v16, v60, v59, s10
; %bb.1832:                             ;   in Loop: Header=BB4_1772 Depth=2
	s_or_b32 exec_lo, exec_lo, s25
	v_lshlrev_b32_e32 v59, 16, v17
	s_delay_alu instid0(VALU_DEP_1) | instskip(NEXT) | instid1(VALU_DEP_1)
	v_mul_f32_e32 v60, v40, v59
	v_and_b32_e32 v59, 0x7f800000, v60
	s_delay_alu instid0(VALU_DEP_1) | instskip(SKIP_1) | instid1(SALU_CYCLE_1)
	v_cmp_ne_u32_e64 s10, 0x7f800000, v59
                                        ; implicit-def: $vgpr59
	s_and_saveexec_b32 s25, s10
	s_xor_b32 s10, exec_lo, s25
; %bb.1833:                             ;   in Loop: Header=BB4_1772 Depth=2
	v_bfe_u32 v59, v60, 16, 1
	s_delay_alu instid0(VALU_DEP_1)
	v_add3_u32 v59, v60, v59, 0x7fff
                                        ; implicit-def: $vgpr60
; %bb.1834:                             ;   in Loop: Header=BB4_1772 Depth=2
	s_and_not1_saveexec_b32 s25, s10
; %bb.1835:                             ;   in Loop: Header=BB4_1772 Depth=2
	v_and_b32_e32 v59, 0xffff, v60
	v_or_b32_e32 v61, 0x10000, v60
	s_delay_alu instid0(VALU_DEP_2) | instskip(NEXT) | instid1(VALU_DEP_1)
	v_cmp_eq_u32_e64 s10, 0, v59
	v_cndmask_b32_e64 v59, v61, v60, s10
; %bb.1836:                             ;   in Loop: Header=BB4_1772 Depth=2
	s_or_b32 exec_lo, exec_lo, s25
	v_and_b32_e32 v17, 0xffff0000, v17
	s_delay_alu instid0(VALU_DEP_1) | instskip(NEXT) | instid1(VALU_DEP_1)
	v_mul_f32_e32 v60, v40, v17
	v_and_b32_e32 v17, 0x7f800000, v60
	s_delay_alu instid0(VALU_DEP_1) | instskip(SKIP_1) | instid1(SALU_CYCLE_1)
	v_cmp_ne_u32_e64 s10, 0x7f800000, v17
                                        ; implicit-def: $vgpr17
	s_and_saveexec_b32 s25, s10
	s_xor_b32 s10, exec_lo, s25
; %bb.1837:                             ;   in Loop: Header=BB4_1772 Depth=2
	v_bfe_u32 v17, v60, 16, 1
	s_delay_alu instid0(VALU_DEP_1)
	v_add3_u32 v17, v60, v17, 0x7fff
                                        ; implicit-def: $vgpr60
; %bb.1838:                             ;   in Loop: Header=BB4_1772 Depth=2
	s_and_not1_saveexec_b32 s25, s10
; %bb.1839:                             ;   in Loop: Header=BB4_1772 Depth=2
	v_and_b32_e32 v17, 0xffff, v60
	v_or_b32_e32 v61, 0x10000, v60
	s_delay_alu instid0(VALU_DEP_2) | instskip(NEXT) | instid1(VALU_DEP_1)
	v_cmp_eq_u32_e64 s10, 0, v17
	v_cndmask_b32_e64 v17, v61, v60, s10
; %bb.1840:                             ;   in Loop: Header=BB4_1772 Depth=2
	s_or_b32 exec_lo, exec_lo, s25
	v_dual_lshrrev_b32 v57, 16, v57 :: v_dual_lshrrev_b32 v58, 16, v58
	v_dual_lshrrev_b32 v41, 16, v41 :: v_dual_lshrrev_b32 v59, 16, v59
	v_sub_nc_u32_e32 v118, v118, v64
	s_delay_alu instid0(VALU_DEP_3) | instskip(NEXT) | instid1(VALU_DEP_4)
	v_and_or_b32 v15, 0xffff0000, v15, v57
	v_and_or_b32 v16, 0xffff0000, v16, v58
	s_delay_alu instid0(VALU_DEP_4)
	v_and_or_b32 v14, 0xffff0000, v14, v41
	v_and_or_b32 v17, 0xffff0000, v17, v59
	global_store_b128 v[18:19], v[14:17], off th:TH_STORE_NT
	s_wait_xcnt 0x0
	v_add_nc_u64_e32 v[18:19], 0x200, v[18:19]
	s_and_saveexec_b32 s10, s24
	s_cbranch_execz .LBB4_1771
; %bb.1841:                             ;   in Loop: Header=BB4_1772 Depth=2
	v_add_nc_u64_e32 v[20:21], v[20:21], v[68:69]
	s_delay_alu instid0(VALU_DEP_2)
	v_add_nc_u64_e32 v[18:19], v[18:19], v[68:69]
	v_sub_nc_u32_e32 v118, v118, v64
	v_sub_nc_u32_e32 v119, v119, v44
	s_branch .LBB4_1771
.LBB4_1842:                             ;   in Loop: Header=BB4_1491 Depth=1
	s_or_b32 exec_lo, exec_lo, s22
	s_delay_alu instid0(SALU_CYCLE_1)
	s_and_b32 s22, s23, exec_lo
.LBB4_1843:                             ;   in Loop: Header=BB4_1491 Depth=1
	s_or_b32 exec_lo, exec_lo, s21
	s_and_saveexec_b32 s21, s22
	s_cbranch_execz .LBB4_1877
; %bb.1844:                             ;   in Loop: Header=BB4_1491 Depth=1
	s_trap 2
	ds_load_b32 v14, v0
	s_wait_dscnt 0x0
	v_lshlrev_b32_e32 v15, 16, v14
	s_delay_alu instid0(VALU_DEP_1) | instskip(NEXT) | instid1(VALU_DEP_1)
	v_dual_lshlrev_b32 v14, 16, v10 :: v_dual_mov_b32 v16, v15
	v_pk_mul_f32 v[16:17], v[16:17], v[14:15]
	s_delay_alu instid0(VALU_DEP_1) | instskip(NEXT) | instid1(VALU_DEP_1)
	v_and_b32_e32 v14, 0x7f800000, v16
	v_cmp_ne_u32_e64 s10, 0x7f800000, v14
                                        ; implicit-def: $vgpr14
	s_and_saveexec_b32 s22, s10
	s_delay_alu instid0(SALU_CYCLE_1)
	s_xor_b32 s10, exec_lo, s22
; %bb.1845:                             ;   in Loop: Header=BB4_1491 Depth=1
	v_bfe_u32 v14, v16, 16, 1
	s_delay_alu instid0(VALU_DEP_1)
	v_add3_u32 v14, v16, v14, 0x7fff
                                        ; implicit-def: $vgpr16_vgpr17
; %bb.1846:                             ;   in Loop: Header=BB4_1491 Depth=1
	s_and_not1_saveexec_b32 s22, s10
; %bb.1847:                             ;   in Loop: Header=BB4_1491 Depth=1
	v_and_b32_e32 v14, 0xffff, v16
	v_or_b32_e32 v17, 0x10000, v16
	s_delay_alu instid0(VALU_DEP_2) | instskip(NEXT) | instid1(VALU_DEP_1)
	v_cmp_eq_u32_e64 s10, 0, v14
	v_cndmask_b32_e64 v14, v17, v16, s10
; %bb.1848:                             ;   in Loop: Header=BB4_1491 Depth=1
	s_or_b32 exec_lo, exec_lo, s22
	v_and_b32_e32 v10, 0xffff0000, v10
	s_delay_alu instid0(VALU_DEP_1) | instskip(NEXT) | instid1(VALU_DEP_1)
	v_mul_f32_e32 v16, v15, v10
	v_and_b32_e32 v10, 0x7f800000, v16
	s_delay_alu instid0(VALU_DEP_1) | instskip(SKIP_1) | instid1(SALU_CYCLE_1)
	v_cmp_ne_u32_e64 s10, 0x7f800000, v10
                                        ; implicit-def: $vgpr10
	s_and_saveexec_b32 s22, s10
	s_xor_b32 s10, exec_lo, s22
; %bb.1849:                             ;   in Loop: Header=BB4_1491 Depth=1
	v_bfe_u32 v10, v16, 16, 1
	s_delay_alu instid0(VALU_DEP_1)
	v_add3_u32 v10, v16, v10, 0x7fff
                                        ; implicit-def: $vgpr16
; %bb.1850:                             ;   in Loop: Header=BB4_1491 Depth=1
	s_and_not1_saveexec_b32 s22, s10
; %bb.1851:                             ;   in Loop: Header=BB4_1491 Depth=1
	v_and_b32_e32 v10, 0xffff, v16
	v_or_b32_e32 v17, 0x10000, v16
	s_delay_alu instid0(VALU_DEP_2) | instskip(NEXT) | instid1(VALU_DEP_1)
	v_cmp_eq_u32_e64 s10, 0, v10
	v_cndmask_b32_e64 v10, v17, v16, s10
; %bb.1852:                             ;   in Loop: Header=BB4_1491 Depth=1
	s_or_b32 exec_lo, exec_lo, s22
	v_lshlrev_b32_e32 v16, 16, v11
	s_delay_alu instid0(VALU_DEP_1) | instskip(NEXT) | instid1(VALU_DEP_1)
	v_mul_f32_e32 v17, v15, v16
	v_and_b32_e32 v16, 0x7f800000, v17
	s_delay_alu instid0(VALU_DEP_1) | instskip(SKIP_1) | instid1(SALU_CYCLE_1)
	v_cmp_ne_u32_e64 s10, 0x7f800000, v16
                                        ; implicit-def: $vgpr16
	s_and_saveexec_b32 s22, s10
	s_xor_b32 s10, exec_lo, s22
; %bb.1853:                             ;   in Loop: Header=BB4_1491 Depth=1
	v_bfe_u32 v16, v17, 16, 1
	s_delay_alu instid0(VALU_DEP_1)
	v_add3_u32 v16, v17, v16, 0x7fff
                                        ; implicit-def: $vgpr17
; %bb.1854:                             ;   in Loop: Header=BB4_1491 Depth=1
	s_and_not1_saveexec_b32 s22, s10
; %bb.1855:                             ;   in Loop: Header=BB4_1491 Depth=1
	v_and_b32_e32 v16, 0xffff, v17
	v_or_b32_e32 v20, 0x10000, v17
	s_delay_alu instid0(VALU_DEP_2) | instskip(NEXT) | instid1(VALU_DEP_1)
	v_cmp_eq_u32_e64 s10, 0, v16
	v_cndmask_b32_e64 v16, v20, v17, s10
; %bb.1856:                             ;   in Loop: Header=BB4_1491 Depth=1
	s_or_b32 exec_lo, exec_lo, s22
	v_and_b32_e32 v11, 0xffff0000, v11
	s_delay_alu instid0(VALU_DEP_1) | instskip(NEXT) | instid1(VALU_DEP_1)
	v_mul_f32_e32 v17, v15, v11
	v_and_b32_e32 v11, 0x7f800000, v17
	s_delay_alu instid0(VALU_DEP_1) | instskip(SKIP_1) | instid1(SALU_CYCLE_1)
	v_cmp_ne_u32_e64 s10, 0x7f800000, v11
                                        ; implicit-def: $vgpr11
	s_and_saveexec_b32 s22, s10
	s_xor_b32 s10, exec_lo, s22
; %bb.1857:                             ;   in Loop: Header=BB4_1491 Depth=1
	v_bfe_u32 v11, v17, 16, 1
	s_delay_alu instid0(VALU_DEP_1)
	v_add3_u32 v11, v17, v11, 0x7fff
                                        ; implicit-def: $vgpr17
; %bb.1858:                             ;   in Loop: Header=BB4_1491 Depth=1
	s_and_not1_saveexec_b32 s22, s10
; %bb.1859:                             ;   in Loop: Header=BB4_1491 Depth=1
	v_and_b32_e32 v11, 0xffff, v17
	v_or_b32_e32 v20, 0x10000, v17
	s_delay_alu instid0(VALU_DEP_2) | instskip(NEXT) | instid1(VALU_DEP_1)
	v_cmp_eq_u32_e64 s10, 0, v11
	v_cndmask_b32_e64 v11, v20, v17, s10
; %bb.1860:                             ;   in Loop: Header=BB4_1491 Depth=1
	s_or_b32 exec_lo, exec_lo, s22
	v_lshlrev_b32_e32 v17, 16, v12
	s_delay_alu instid0(VALU_DEP_1) | instskip(NEXT) | instid1(VALU_DEP_1)
	v_mul_f32_e32 v20, v15, v17
	v_and_b32_e32 v17, 0x7f800000, v20
	s_delay_alu instid0(VALU_DEP_1) | instskip(SKIP_1) | instid1(SALU_CYCLE_1)
	v_cmp_ne_u32_e64 s10, 0x7f800000, v17
                                        ; implicit-def: $vgpr17
	s_and_saveexec_b32 s22, s10
	s_xor_b32 s10, exec_lo, s22
; %bb.1861:                             ;   in Loop: Header=BB4_1491 Depth=1
	v_bfe_u32 v17, v20, 16, 1
	s_delay_alu instid0(VALU_DEP_1)
	v_add3_u32 v17, v20, v17, 0x7fff
                                        ; implicit-def: $vgpr20
; %bb.1862:                             ;   in Loop: Header=BB4_1491 Depth=1
	s_and_not1_saveexec_b32 s22, s10
; %bb.1863:                             ;   in Loop: Header=BB4_1491 Depth=1
	v_and_b32_e32 v17, 0xffff, v20
	v_or_b32_e32 v21, 0x10000, v20
	s_delay_alu instid0(VALU_DEP_2) | instskip(NEXT) | instid1(VALU_DEP_1)
	v_cmp_eq_u32_e64 s10, 0, v17
	v_cndmask_b32_e64 v17, v21, v20, s10
; %bb.1864:                             ;   in Loop: Header=BB4_1491 Depth=1
	s_or_b32 exec_lo, exec_lo, s22
	v_and_b32_e32 v12, 0xffff0000, v12
	s_delay_alu instid0(VALU_DEP_1) | instskip(NEXT) | instid1(VALU_DEP_1)
	v_mul_f32_e32 v20, v15, v12
	v_and_b32_e32 v12, 0x7f800000, v20
	s_delay_alu instid0(VALU_DEP_1) | instskip(SKIP_1) | instid1(SALU_CYCLE_1)
	v_cmp_ne_u32_e64 s10, 0x7f800000, v12
                                        ; implicit-def: $vgpr12
	s_and_saveexec_b32 s22, s10
	s_xor_b32 s10, exec_lo, s22
; %bb.1865:                             ;   in Loop: Header=BB4_1491 Depth=1
	v_bfe_u32 v12, v20, 16, 1
	s_delay_alu instid0(VALU_DEP_1)
	v_add3_u32 v12, v20, v12, 0x7fff
                                        ; implicit-def: $vgpr20
; %bb.1866:                             ;   in Loop: Header=BB4_1491 Depth=1
	s_and_not1_saveexec_b32 s22, s10
; %bb.1867:                             ;   in Loop: Header=BB4_1491 Depth=1
	v_and_b32_e32 v12, 0xffff, v20
	v_or_b32_e32 v21, 0x10000, v20
	s_delay_alu instid0(VALU_DEP_2) | instskip(NEXT) | instid1(VALU_DEP_1)
	v_cmp_eq_u32_e64 s10, 0, v12
	v_cndmask_b32_e64 v12, v21, v20, s10
; %bb.1868:                             ;   in Loop: Header=BB4_1491 Depth=1
	s_or_b32 exec_lo, exec_lo, s22
	v_lshlrev_b32_e32 v20, 16, v13
	s_delay_alu instid0(VALU_DEP_1) | instskip(NEXT) | instid1(VALU_DEP_1)
	v_mul_f32_e32 v21, v15, v20
	v_and_b32_e32 v20, 0x7f800000, v21
	s_delay_alu instid0(VALU_DEP_1) | instskip(SKIP_1) | instid1(SALU_CYCLE_1)
	v_cmp_ne_u32_e64 s10, 0x7f800000, v20
                                        ; implicit-def: $vgpr20
	s_and_saveexec_b32 s22, s10
	s_xor_b32 s10, exec_lo, s22
; %bb.1869:                             ;   in Loop: Header=BB4_1491 Depth=1
	v_bfe_u32 v20, v21, 16, 1
	s_delay_alu instid0(VALU_DEP_1)
	v_add3_u32 v20, v21, v20, 0x7fff
                                        ; implicit-def: $vgpr21
; %bb.1870:                             ;   in Loop: Header=BB4_1491 Depth=1
	s_and_not1_saveexec_b32 s22, s10
; %bb.1871:                             ;   in Loop: Header=BB4_1491 Depth=1
	v_and_b32_e32 v20, 0xffff, v21
	v_or_b32_e32 v119, 0x10000, v21
	s_delay_alu instid0(VALU_DEP_2) | instskip(NEXT) | instid1(VALU_DEP_1)
	v_cmp_eq_u32_e64 s10, 0, v20
	v_cndmask_b32_e64 v20, v119, v21, s10
; %bb.1872:                             ;   in Loop: Header=BB4_1491 Depth=1
	s_or_b32 exec_lo, exec_lo, s22
	v_and_b32_e32 v13, 0xffff0000, v13
	s_delay_alu instid0(VALU_DEP_1) | instskip(NEXT) | instid1(VALU_DEP_1)
	v_mul_f32_e32 v15, v15, v13
	v_and_b32_e32 v13, 0x7f800000, v15
	s_delay_alu instid0(VALU_DEP_1) | instskip(SKIP_1) | instid1(SALU_CYCLE_1)
	v_cmp_ne_u32_e64 s10, 0x7f800000, v13
                                        ; implicit-def: $vgpr13
	s_and_saveexec_b32 s22, s10
	s_xor_b32 s10, exec_lo, s22
; %bb.1873:                             ;   in Loop: Header=BB4_1491 Depth=1
	v_bfe_u32 v13, v15, 16, 1
	s_delay_alu instid0(VALU_DEP_1)
	v_add3_u32 v13, v15, v13, 0x7fff
                                        ; implicit-def: $vgpr15
; %bb.1874:                             ;   in Loop: Header=BB4_1491 Depth=1
	s_and_not1_saveexec_b32 s22, s10
; %bb.1875:                             ;   in Loop: Header=BB4_1491 Depth=1
	v_and_b32_e32 v13, 0xffff, v15
	v_or_b32_e32 v21, 0x10000, v15
	s_delay_alu instid0(VALU_DEP_2) | instskip(NEXT) | instid1(VALU_DEP_1)
	v_cmp_eq_u32_e64 s10, 0, v13
	v_cndmask_b32_e64 v13, v21, v15, s10
; %bb.1876:                             ;   in Loop: Header=BB4_1491 Depth=1
	s_or_b32 exec_lo, exec_lo, s22
	v_dual_lshrrev_b32 v15, 16, v16 :: v_dual_lshrrev_b32 v14, 16, v14
	v_dual_lshrrev_b32 v16, 16, v17 :: v_dual_lshrrev_b32 v17, 16, v20
	s_delay_alu instid0(VALU_DEP_2) | instskip(NEXT) | instid1(VALU_DEP_3)
	v_and_or_b32 v11, 0xffff0000, v11, v15
	v_and_or_b32 v10, 0xffff0000, v10, v14
	s_delay_alu instid0(VALU_DEP_3) | instskip(NEXT) | instid1(VALU_DEP_4)
	v_and_or_b32 v12, 0xffff0000, v12, v16
	v_and_or_b32 v13, 0xffff0000, v13, v17
	global_store_b128 v[18:19], v[10:13], off th:TH_STORE_NT
.LBB4_1877:                             ;   in Loop: Header=BB4_1491 Depth=1
	s_wait_xcnt 0x0
	s_or_b32 exec_lo, exec_lo, s21
	v_and_b32_e32 v11, 14, v56
	s_mov_b32 s22, s19
	s_mov_b32 s21, exec_lo
                                        ; implicit-def: $vgpr14
                                        ; implicit-def: $vgpr10
                                        ; implicit-def: $vgpr15
	s_delay_alu instid0(VALU_DEP_1) | instskip(NEXT) | instid1(VALU_DEP_1)
	v_cndmask_b32_e32 v56, v25, v11, vcc_lo
	v_cmpx_ne_u32_e32 0, v56
	s_cbranch_execz .LBB4_1879
; %bb.1878:                             ;   in Loop: Header=BB4_1491 Depth=1
	v_cmp_lt_i32_e64 s10, 0, v118
	s_or_b32 s22, s19, exec_lo
	v_dual_sub_nc_u32 v11, v25, v11 :: v_dual_cndmask_b32 v10, 0, v64, s10
	s_delay_alu instid0(VALU_DEP_1) | instskip(NEXT) | instid1(VALU_DEP_1)
	v_dual_cndmask_b32 v11, 0, v11 :: v_dual_sub_nc_u32 v10, v10, v118
	v_add3_u32 v14, v24, v22, v11
	s_delay_alu instid0(VALU_DEP_2) | instskip(NEXT) | instid1(VALU_DEP_1)
	v_lshl_add_u32 v10, v10, 5, v23
	v_ashrrev_i32_e32 v12, 31, v10
	s_delay_alu instid0(VALU_DEP_1) | instskip(NEXT) | instid1(VALU_DEP_1)
	v_lshrrev_b32_e32 v12, 27, v12
	v_add_nc_u32_e32 v12, v10, v12
	s_delay_alu instid0(VALU_DEP_1) | instskip(NEXT) | instid1(VALU_DEP_1)
	v_and_b32_e32 v12, 0xffffffe0, v12
	v_sub_nc_u32_e32 v15, v10, v12
.LBB4_1879:                             ;   in Loop: Header=BB4_1491 Depth=1
	s_or_b32 exec_lo, exec_lo, s21
	s_delay_alu instid0(SALU_CYCLE_1) | instskip(SKIP_1) | instid1(SALU_CYCLE_1)
	s_and_not1_b32 s10, s19, exec_lo
	s_and_b32 s19, s22, exec_lo
	s_or_b32 s19, s10, s19
.LBB4_1880:                             ;   in Loop: Header=BB4_1491 Depth=1
	s_or_b32 exec_lo, exec_lo, s20
	s_and_saveexec_b32 s10, s19
	s_cbranch_execz .LBB4_1961
.LBB4_1881:                             ;   in Loop: Header=BB4_1491 Depth=1
	s_delay_alu instid0(VALU_DEP_1) | instskip(SKIP_2) | instid1(VALU_DEP_2)
	v_dual_ashrrev_i32 v11, 31, v10 :: v_dual_ashrrev_i32 v12, 31, v56
	v_dual_mov_b32 v20, 0 :: v_dual_mov_b32 v18, 0
	s_mov_b32 s20, 0
	v_lshrrev_b32_e32 v11, 27, v11
	s_mov_b32 s19, exec_lo
	v_dual_mov_b32 v23, 0 :: v_dual_mov_b32 v21, 0
	s_delay_alu instid0(VALU_DEP_2) | instskip(NEXT) | instid1(VALU_DEP_1)
	v_dual_add_nc_u32 v10, v10, v11 :: v_dual_lshrrev_b32 v11, 24, v12
	v_dual_ashrrev_i32 v10, 5, v10 :: v_dual_lshlrev_b32 v12, 1, v15
	s_delay_alu instid0(VALU_DEP_1) | instskip(NEXT) | instid1(VALU_DEP_1)
	v_lshlrev_b32_e32 v13, 8, v10
	v_add3_u32 v12, v14, v12, v13
	s_delay_alu instid0(VALU_DEP_1) | instskip(NEXT) | instid1(VALU_DEP_1)
	v_dual_add_nc_u32 v11, v56, v11 :: v_dual_ashrrev_i32 v13, 31, v12
	v_ashrrev_i32_e32 v16, 8, v11
	s_delay_alu instid0(VALU_DEP_1) | instskip(NEXT) | instid1(VALU_DEP_3)
	v_sub_nc_u32_e32 v17, v16, v10
	v_add_nc_u64_e32 v[10:11], v[116:117], v[12:13]
	s_delay_alu instid0(VALU_DEP_2)
	v_cmpx_lt_i32_e32 0, v17
	s_cbranch_execz .LBB4_1921
; %bb.1882:                             ;   in Loop: Header=BB4_1491 Depth=1
	s_trap 2
	ds_load_b32 v18, v0
	v_add_nc_u64_e32 v[12:13], v[12:13], v[114:115]
	s_mov_b32 s22, 0
	s_mov_b32 s21, 0
                                        ; implicit-def: $sgpr20
                                        ; implicit-def: $vgpr24
                                        ; implicit-def: $vgpr22
                                        ; implicit-def: $vgpr20
                                        ; implicit-def: $vgpr19
	s_wait_dscnt 0x0
	v_lshlrev_b32_e32 v18, 16, v18
	s_branch .LBB4_1884
.LBB4_1883:                             ;   in Loop: Header=BB4_1884 Depth=2
	s_or_b32 exec_lo, exec_lo, s23
	v_dual_cndmask_b32 v119, 0, v64, s22 :: v_dual_cndmask_b32 v41, 0, v71, s22
	v_cndmask_b32_e64 v59, 0, v97, s22
	v_cndmask_b32_e64 v58, 0x100, v96, s22
	s_clause 0x3
	flat_store_d16_hi_b16 v[10:11], v118 th:TH_STORE_NT
	flat_store_d16_hi_b16 v[10:11], v25 offset:64 th:TH_STORE_NT
	flat_store_d16_hi_b16 v[10:11], v23 offset:128 th:TH_STORE_NT
	flat_store_d16_hi_b16 v[10:11], v21 offset:192 th:TH_STORE_NT
	v_dual_sub_nc_u32 v17, v17, v119 :: v_dual_cndmask_b32 v40, 0, v70, s22
	s_wait_xcnt 0x0
	v_add_nc_u64_e32 v[10:11], v[10:11], v[58:59]
	s_delay_alu instid0(VALU_DEP_2) | instskip(NEXT) | instid1(VALU_DEP_3)
	v_cmp_gt_i32_e32 vcc_lo, 1, v17
	v_add_nc_u64_e32 v[12:13], v[12:13], v[40:41]
	s_or_b32 s21, vcc_lo, s21
	s_and_not1_b32 s20, s20, exec_lo
	s_and_b32 s23, s22, exec_lo
	s_delay_alu instid0(SALU_CYCLE_1)
	s_or_b32 s20, s20, s23
	s_and_not1_b32 exec_lo, exec_lo, s21
	s_cbranch_execz .LBB4_1920
.LBB4_1884:                             ;   Parent Loop BB4_1491 Depth=1
                                        ; =>  This Inner Loop Header: Depth=2
	s_clause 0x3
	flat_load_u16 v118, v[12:13] th:TH_LOAD_NT
	flat_load_u16 v25, v[12:13] offset:64 th:TH_LOAD_NT
	flat_load_u16 v23, v[12:13] offset:128 th:TH_LOAD_NT
	flat_load_u16 v21, v[12:13] offset:192 th:TH_LOAD_NT
	s_wait_xcnt 0x0
	s_and_saveexec_b32 s23, s22
	s_cbranch_execz .LBB4_1902
; %bb.1885:                             ;   in Loop: Header=BB4_1884 Depth=2
	v_lshlrev_b32_e32 v24, 16, v24
	s_delay_alu instid0(VALU_DEP_1) | instskip(NEXT) | instid1(VALU_DEP_1)
	v_mul_f32_e32 v119, v18, v24
	v_and_b32_e32 v24, 0x7f800000, v119
	s_delay_alu instid0(VALU_DEP_1) | instskip(SKIP_1) | instid1(SALU_CYCLE_1)
	v_cmp_ne_u32_e32 vcc_lo, 0x7f800000, v24
                                        ; implicit-def: $vgpr24
	s_and_saveexec_b32 s22, vcc_lo
	s_xor_b32 s22, exec_lo, s22
; %bb.1886:                             ;   in Loop: Header=BB4_1884 Depth=2
	v_bfe_u32 v24, v119, 16, 1
	s_delay_alu instid0(VALU_DEP_1)
	v_add3_u32 v24, v119, v24, 0x7fff
                                        ; implicit-def: $vgpr119
; %bb.1887:                             ;   in Loop: Header=BB4_1884 Depth=2
	s_and_not1_saveexec_b32 s22, s22
; %bb.1888:                             ;   in Loop: Header=BB4_1884 Depth=2
	v_and_b32_e32 v24, 0xffff, v119
	v_or_b32_e32 v40, 0x10000, v119
	s_delay_alu instid0(VALU_DEP_2) | instskip(NEXT) | instid1(VALU_DEP_2)
	v_cmp_eq_u32_e32 vcc_lo, 0, v24
	v_cndmask_b32_e32 v24, v40, v119, vcc_lo
; %bb.1889:                             ;   in Loop: Header=BB4_1884 Depth=2
	s_or_b32 exec_lo, exec_lo, s22
	v_lshlrev_b32_e32 v22, 16, v22
	s_delay_alu instid0(VALU_DEP_1) | instskip(NEXT) | instid1(VALU_DEP_1)
	v_mul_f32_e32 v119, v18, v22
	v_and_b32_e32 v22, 0x7f800000, v119
	s_delay_alu instid0(VALU_DEP_1) | instskip(SKIP_1) | instid1(SALU_CYCLE_1)
	v_cmp_ne_u32_e32 vcc_lo, 0x7f800000, v22
                                        ; implicit-def: $vgpr22
	s_and_saveexec_b32 s22, vcc_lo
	s_xor_b32 s22, exec_lo, s22
; %bb.1890:                             ;   in Loop: Header=BB4_1884 Depth=2
	v_bfe_u32 v22, v119, 16, 1
	s_delay_alu instid0(VALU_DEP_1)
	v_add3_u32 v22, v119, v22, 0x7fff
                                        ; implicit-def: $vgpr119
; %bb.1891:                             ;   in Loop: Header=BB4_1884 Depth=2
	s_and_not1_saveexec_b32 s22, s22
; %bb.1892:                             ;   in Loop: Header=BB4_1884 Depth=2
	v_and_b32_e32 v22, 0xffff, v119
	v_or_b32_e32 v40, 0x10000, v119
	s_delay_alu instid0(VALU_DEP_2) | instskip(NEXT) | instid1(VALU_DEP_2)
	v_cmp_eq_u32_e32 vcc_lo, 0, v22
	v_cndmask_b32_e32 v22, v40, v119, vcc_lo
; %bb.1893:                             ;   in Loop: Header=BB4_1884 Depth=2
	s_or_b32 exec_lo, exec_lo, s22
	v_lshlrev_b32_e32 v20, 16, v20
	s_delay_alu instid0(VALU_DEP_1) | instskip(NEXT) | instid1(VALU_DEP_1)
	v_mul_f32_e32 v119, v18, v20
	v_and_b32_e32 v20, 0x7f800000, v119
	s_delay_alu instid0(VALU_DEP_1) | instskip(SKIP_1) | instid1(SALU_CYCLE_1)
	v_cmp_ne_u32_e32 vcc_lo, 0x7f800000, v20
                                        ; implicit-def: $vgpr20
	s_and_saveexec_b32 s22, vcc_lo
	s_xor_b32 s22, exec_lo, s22
; %bb.1894:                             ;   in Loop: Header=BB4_1884 Depth=2
	v_bfe_u32 v20, v119, 16, 1
	s_delay_alu instid0(VALU_DEP_1)
	v_add3_u32 v20, v119, v20, 0x7fff
                                        ; implicit-def: $vgpr119
; %bb.1895:                             ;   in Loop: Header=BB4_1884 Depth=2
	s_and_not1_saveexec_b32 s22, s22
; %bb.1896:                             ;   in Loop: Header=BB4_1884 Depth=2
	v_and_b32_e32 v20, 0xffff, v119
	v_or_b32_e32 v40, 0x10000, v119
	s_delay_alu instid0(VALU_DEP_2) | instskip(NEXT) | instid1(VALU_DEP_2)
	v_cmp_eq_u32_e32 vcc_lo, 0, v20
	v_cndmask_b32_e32 v20, v40, v119, vcc_lo
; %bb.1897:                             ;   in Loop: Header=BB4_1884 Depth=2
	s_or_b32 exec_lo, exec_lo, s22
	v_lshlrev_b32_e32 v19, 16, v19
	s_delay_alu instid0(VALU_DEP_1) | instskip(NEXT) | instid1(VALU_DEP_1)
	v_mul_f32_e32 v119, v18, v19
	v_and_b32_e32 v19, 0x7f800000, v119
	s_delay_alu instid0(VALU_DEP_1) | instskip(SKIP_1) | instid1(SALU_CYCLE_1)
	v_cmp_ne_u32_e32 vcc_lo, 0x7f800000, v19
                                        ; implicit-def: $vgpr19
	s_and_saveexec_b32 s22, vcc_lo
	s_xor_b32 s22, exec_lo, s22
; %bb.1898:                             ;   in Loop: Header=BB4_1884 Depth=2
	v_bfe_u32 v19, v119, 16, 1
	s_delay_alu instid0(VALU_DEP_1)
	v_add3_u32 v19, v119, v19, 0x7fff
                                        ; implicit-def: $vgpr119
; %bb.1899:                             ;   in Loop: Header=BB4_1884 Depth=2
	s_and_not1_saveexec_b32 s22, s22
; %bb.1900:                             ;   in Loop: Header=BB4_1884 Depth=2
	v_and_b32_e32 v19, 0xffff, v119
	v_or_b32_e32 v40, 0x10000, v119
	s_delay_alu instid0(VALU_DEP_2) | instskip(NEXT) | instid1(VALU_DEP_2)
	v_cmp_eq_u32_e32 vcc_lo, 0, v19
	v_cndmask_b32_e32 v19, v40, v119, vcc_lo
; %bb.1901:                             ;   in Loop: Header=BB4_1884 Depth=2
	s_or_b32 exec_lo, exec_lo, s22
	v_dual_lshrrev_b32 v24, 16, v24 :: v_dual_lshrrev_b32 v22, 16, v22
	s_delay_alu instid0(VALU_DEP_2)
	v_dual_lshrrev_b32 v20, 16, v20 :: v_dual_lshrrev_b32 v19, 16, v19
	s_clause 0x3
	flat_store_b16 v[10:11], v24 th:TH_STORE_NT
	flat_store_b16 v[10:11], v22 offset:64 th:TH_STORE_NT
	flat_store_b16 v[10:11], v20 offset:128 th:TH_STORE_NT
	;; [unrolled: 1-line block ×3, first 2 shown]
	s_wait_xcnt 0x0
	v_add_nc_u64_e32 v[10:11], v[10:11], v[96:97]
.LBB4_1902:                             ;   in Loop: Header=BB4_1884 Depth=2
	s_or_b32 exec_lo, exec_lo, s23
	v_sub_nc_u32_e32 v17, v17, v64
	v_add_nc_u64_e32 v[12:13], v[12:13], v[96:97]
	s_delay_alu instid0(VALU_DEP_2)
	v_cmp_lt_i32_e64 s22, 0, v17
	s_and_saveexec_b32 s23, s22
	s_cbranch_execz .LBB4_1904
; %bb.1903:                             ;   in Loop: Header=BB4_1884 Depth=2
	s_clause 0x3
	flat_load_u16 v24, v[12:13] th:TH_LOAD_NT
	flat_load_u16 v22, v[12:13] offset:64 th:TH_LOAD_NT
	flat_load_u16 v20, v[12:13] offset:128 th:TH_LOAD_NT
	;; [unrolled: 1-line block ×3, first 2 shown]
	s_wait_xcnt 0x0
	v_add_nc_u64_e32 v[12:13], 0x100, v[12:13]
.LBB4_1904:                             ;   in Loop: Header=BB4_1884 Depth=2
	s_or_b32 exec_lo, exec_lo, s23
	s_wait_loadcnt_dscnt 0x303
	v_lshlrev_b32_e32 v118, 16, v118
	s_delay_alu instid0(VALU_DEP_1) | instskip(NEXT) | instid1(VALU_DEP_1)
	v_mul_f32_e32 v119, v18, v118
	v_and_b32_e32 v118, 0x7f800000, v119
	s_delay_alu instid0(VALU_DEP_1) | instskip(SKIP_1) | instid1(SALU_CYCLE_1)
	v_cmp_ne_u32_e32 vcc_lo, 0x7f800000, v118
                                        ; implicit-def: $vgpr118
	s_and_saveexec_b32 s23, vcc_lo
	s_xor_b32 s23, exec_lo, s23
; %bb.1905:                             ;   in Loop: Header=BB4_1884 Depth=2
	v_bfe_u32 v118, v119, 16, 1
	s_delay_alu instid0(VALU_DEP_1)
	v_add3_u32 v118, v119, v118, 0x7fff
                                        ; implicit-def: $vgpr119
; %bb.1906:                             ;   in Loop: Header=BB4_1884 Depth=2
	s_and_not1_saveexec_b32 s23, s23
; %bb.1907:                             ;   in Loop: Header=BB4_1884 Depth=2
	v_and_b32_e32 v118, 0xffff, v119
	v_or_b32_e32 v40, 0x10000, v119
	s_delay_alu instid0(VALU_DEP_2) | instskip(NEXT) | instid1(VALU_DEP_2)
	v_cmp_eq_u32_e32 vcc_lo, 0, v118
	v_cndmask_b32_e32 v118, v40, v119, vcc_lo
; %bb.1908:                             ;   in Loop: Header=BB4_1884 Depth=2
	s_or_b32 exec_lo, exec_lo, s23
	s_wait_loadcnt_dscnt 0x202
	v_lshlrev_b32_e32 v25, 16, v25
	s_delay_alu instid0(VALU_DEP_1) | instskip(NEXT) | instid1(VALU_DEP_1)
	v_mul_f32_e32 v119, v18, v25
	v_and_b32_e32 v25, 0x7f800000, v119
	s_delay_alu instid0(VALU_DEP_1) | instskip(SKIP_1) | instid1(SALU_CYCLE_1)
	v_cmp_ne_u32_e32 vcc_lo, 0x7f800000, v25
                                        ; implicit-def: $vgpr25
	s_and_saveexec_b32 s23, vcc_lo
	s_xor_b32 s23, exec_lo, s23
; %bb.1909:                             ;   in Loop: Header=BB4_1884 Depth=2
	v_bfe_u32 v25, v119, 16, 1
	s_delay_alu instid0(VALU_DEP_1)
	v_add3_u32 v25, v119, v25, 0x7fff
                                        ; implicit-def: $vgpr119
; %bb.1910:                             ;   in Loop: Header=BB4_1884 Depth=2
	s_and_not1_saveexec_b32 s23, s23
; %bb.1911:                             ;   in Loop: Header=BB4_1884 Depth=2
	v_and_b32_e32 v25, 0xffff, v119
	v_or_b32_e32 v40, 0x10000, v119
	s_delay_alu instid0(VALU_DEP_2) | instskip(NEXT) | instid1(VALU_DEP_2)
	v_cmp_eq_u32_e32 vcc_lo, 0, v25
	v_cndmask_b32_e32 v25, v40, v119, vcc_lo
; %bb.1912:                             ;   in Loop: Header=BB4_1884 Depth=2
	s_or_b32 exec_lo, exec_lo, s23
	s_wait_loadcnt_dscnt 0x101
	v_lshlrev_b32_e32 v23, 16, v23
	s_delay_alu instid0(VALU_DEP_1) | instskip(NEXT) | instid1(VALU_DEP_1)
	v_mul_f32_e32 v119, v18, v23
	v_and_b32_e32 v23, 0x7f800000, v119
	s_delay_alu instid0(VALU_DEP_1) | instskip(SKIP_1) | instid1(SALU_CYCLE_1)
	v_cmp_ne_u32_e32 vcc_lo, 0x7f800000, v23
                                        ; implicit-def: $vgpr23
	s_and_saveexec_b32 s23, vcc_lo
	s_xor_b32 s23, exec_lo, s23
; %bb.1913:                             ;   in Loop: Header=BB4_1884 Depth=2
	v_bfe_u32 v23, v119, 16, 1
	s_delay_alu instid0(VALU_DEP_1)
	v_add3_u32 v23, v119, v23, 0x7fff
                                        ; implicit-def: $vgpr119
; %bb.1914:                             ;   in Loop: Header=BB4_1884 Depth=2
	s_and_not1_saveexec_b32 s23, s23
; %bb.1915:                             ;   in Loop: Header=BB4_1884 Depth=2
	v_and_b32_e32 v23, 0xffff, v119
	v_or_b32_e32 v40, 0x10000, v119
	s_delay_alu instid0(VALU_DEP_2) | instskip(NEXT) | instid1(VALU_DEP_2)
	v_cmp_eq_u32_e32 vcc_lo, 0, v23
	v_cndmask_b32_e32 v23, v40, v119, vcc_lo
; %bb.1916:                             ;   in Loop: Header=BB4_1884 Depth=2
	s_or_b32 exec_lo, exec_lo, s23
	s_wait_loadcnt_dscnt 0x0
	v_lshlrev_b32_e32 v21, 16, v21
	s_delay_alu instid0(VALU_DEP_1) | instskip(NEXT) | instid1(VALU_DEP_1)
	v_mul_f32_e32 v119, v18, v21
	v_and_b32_e32 v21, 0x7f800000, v119
	s_delay_alu instid0(VALU_DEP_1) | instskip(SKIP_1) | instid1(SALU_CYCLE_1)
	v_cmp_ne_u32_e32 vcc_lo, 0x7f800000, v21
                                        ; implicit-def: $vgpr21
	s_and_saveexec_b32 s23, vcc_lo
	s_xor_b32 s23, exec_lo, s23
; %bb.1917:                             ;   in Loop: Header=BB4_1884 Depth=2
	v_bfe_u32 v21, v119, 16, 1
	s_delay_alu instid0(VALU_DEP_1)
	v_add3_u32 v21, v119, v21, 0x7fff
                                        ; implicit-def: $vgpr119
; %bb.1918:                             ;   in Loop: Header=BB4_1884 Depth=2
	s_and_not1_saveexec_b32 s23, s23
	s_cbranch_execz .LBB4_1883
; %bb.1919:                             ;   in Loop: Header=BB4_1884 Depth=2
	v_and_b32_e32 v21, 0xffff, v119
	v_or_b32_e32 v40, 0x10000, v119
	s_delay_alu instid0(VALU_DEP_2) | instskip(NEXT) | instid1(VALU_DEP_2)
	v_cmp_eq_u32_e32 vcc_lo, 0, v21
	v_cndmask_b32_e32 v21, v40, v119, vcc_lo
	s_branch .LBB4_1883
.LBB4_1920:                             ;   in Loop: Header=BB4_1491 Depth=1
	s_or_b32 exec_lo, exec_lo, s21
	v_dual_lshlrev_b32 v23, 16, v24 :: v_dual_lshlrev_b32 v21, 16, v22
	v_dual_lshlrev_b32 v20, 16, v20 :: v_dual_lshlrev_b32 v18, 16, v19
	s_and_b32 s20, s20, exec_lo
.LBB4_1921:                             ;   in Loop: Header=BB4_1491 Depth=1
	s_or_b32 exec_lo, exec_lo, s19
	s_and_saveexec_b32 s19, s20
	s_cbranch_execz .LBB4_1939
; %bb.1922:                             ;   in Loop: Header=BB4_1491 Depth=1
	s_trap 2
	ds_load_b32 v12, v0
	s_wait_dscnt 0x0
	v_lshlrev_b32_e32 v13, 16, v12
	s_delay_alu instid0(VALU_DEP_1) | instskip(NEXT) | instid1(VALU_DEP_1)
	v_mul_f32_e32 v19, v23, v13
	v_and_b32_e32 v12, 0x7f800000, v19
	s_delay_alu instid0(VALU_DEP_1) | instskip(SKIP_1) | instid1(SALU_CYCLE_1)
	v_cmp_ne_u32_e32 vcc_lo, 0x7f800000, v12
                                        ; implicit-def: $vgpr12
	s_and_saveexec_b32 s20, vcc_lo
	s_xor_b32 s20, exec_lo, s20
; %bb.1923:                             ;   in Loop: Header=BB4_1491 Depth=1
	v_bfe_u32 v12, v19, 16, 1
	s_delay_alu instid0(VALU_DEP_1)
	v_add3_u32 v12, v19, v12, 0x7fff
                                        ; implicit-def: $vgpr19
; %bb.1924:                             ;   in Loop: Header=BB4_1491 Depth=1
	s_and_not1_saveexec_b32 s20, s20
; %bb.1925:                             ;   in Loop: Header=BB4_1491 Depth=1
	v_and_b32_e32 v12, 0xffff, v19
	v_or_b32_e32 v22, 0x10000, v19
	s_delay_alu instid0(VALU_DEP_2) | instskip(NEXT) | instid1(VALU_DEP_2)
	v_cmp_eq_u32_e32 vcc_lo, 0, v12
	v_cndmask_b32_e32 v12, v22, v19, vcc_lo
; %bb.1926:                             ;   in Loop: Header=BB4_1491 Depth=1
	s_or_b32 exec_lo, exec_lo, s20
	v_mul_f32_e32 v21, v21, v13
	s_delay_alu instid0(VALU_DEP_1) | instskip(NEXT) | instid1(VALU_DEP_1)
	v_and_b32_e32 v19, 0x7f800000, v21
	v_cmp_ne_u32_e32 vcc_lo, 0x7f800000, v19
                                        ; implicit-def: $vgpr19
	s_and_saveexec_b32 s20, vcc_lo
	s_delay_alu instid0(SALU_CYCLE_1)
	s_xor_b32 s20, exec_lo, s20
; %bb.1927:                             ;   in Loop: Header=BB4_1491 Depth=1
	v_bfe_u32 v19, v21, 16, 1
	s_delay_alu instid0(VALU_DEP_1)
	v_add3_u32 v19, v21, v19, 0x7fff
                                        ; implicit-def: $vgpr21
; %bb.1928:                             ;   in Loop: Header=BB4_1491 Depth=1
	s_and_not1_saveexec_b32 s20, s20
; %bb.1929:                             ;   in Loop: Header=BB4_1491 Depth=1
	v_and_b32_e32 v19, 0xffff, v21
	v_or_b32_e32 v22, 0x10000, v21
	s_delay_alu instid0(VALU_DEP_2) | instskip(NEXT) | instid1(VALU_DEP_2)
	v_cmp_eq_u32_e32 vcc_lo, 0, v19
	v_cndmask_b32_e32 v19, v22, v21, vcc_lo
; %bb.1930:                             ;   in Loop: Header=BB4_1491 Depth=1
	s_or_b32 exec_lo, exec_lo, s20
	v_mul_f32_e32 v21, v20, v13
	s_delay_alu instid0(VALU_DEP_1) | instskip(NEXT) | instid1(VALU_DEP_1)
	v_and_b32_e32 v20, 0x7f800000, v21
	v_cmp_ne_u32_e32 vcc_lo, 0x7f800000, v20
                                        ; implicit-def: $vgpr20
	s_and_saveexec_b32 s20, vcc_lo
	s_delay_alu instid0(SALU_CYCLE_1)
	s_xor_b32 s20, exec_lo, s20
; %bb.1931:                             ;   in Loop: Header=BB4_1491 Depth=1
	v_bfe_u32 v20, v21, 16, 1
	s_delay_alu instid0(VALU_DEP_1)
	v_add3_u32 v20, v21, v20, 0x7fff
                                        ; implicit-def: $vgpr21
; %bb.1932:                             ;   in Loop: Header=BB4_1491 Depth=1
	s_and_not1_saveexec_b32 s20, s20
; %bb.1933:                             ;   in Loop: Header=BB4_1491 Depth=1
	v_and_b32_e32 v20, 0xffff, v21
	v_or_b32_e32 v22, 0x10000, v21
	s_delay_alu instid0(VALU_DEP_2) | instskip(NEXT) | instid1(VALU_DEP_2)
	v_cmp_eq_u32_e32 vcc_lo, 0, v20
	v_cndmask_b32_e32 v20, v22, v21, vcc_lo
; %bb.1934:                             ;   in Loop: Header=BB4_1491 Depth=1
	s_or_b32 exec_lo, exec_lo, s20
	v_mul_f32_e32 v13, v18, v13
	s_delay_alu instid0(VALU_DEP_1) | instskip(NEXT) | instid1(VALU_DEP_1)
	v_and_b32_e32 v18, 0x7f800000, v13
	v_cmp_ne_u32_e32 vcc_lo, 0x7f800000, v18
                                        ; implicit-def: $vgpr18
	s_and_saveexec_b32 s20, vcc_lo
	s_delay_alu instid0(SALU_CYCLE_1)
	s_xor_b32 s20, exec_lo, s20
; %bb.1935:                             ;   in Loop: Header=BB4_1491 Depth=1
	v_bfe_u32 v18, v13, 16, 1
	s_delay_alu instid0(VALU_DEP_1)
	v_add3_u32 v18, v13, v18, 0x7fff
                                        ; implicit-def: $vgpr13
; %bb.1936:                             ;   in Loop: Header=BB4_1491 Depth=1
	s_and_not1_saveexec_b32 s20, s20
; %bb.1937:                             ;   in Loop: Header=BB4_1491 Depth=1
	v_and_b32_e32 v18, 0xffff, v13
	v_or_b32_e32 v21, 0x10000, v13
	s_delay_alu instid0(VALU_DEP_2) | instskip(NEXT) | instid1(VALU_DEP_2)
	v_cmp_eq_u32_e32 vcc_lo, 0, v18
	v_cndmask_b32_e32 v18, v21, v13, vcc_lo
; %bb.1938:                             ;   in Loop: Header=BB4_1491 Depth=1
	s_or_b32 exec_lo, exec_lo, s20
	s_clause 0x3
	flat_store_d16_hi_b16 v[10:11], v12 th:TH_STORE_NT
	flat_store_d16_hi_b16 v[10:11], v19 offset:64 th:TH_STORE_NT
	flat_store_d16_hi_b16 v[10:11], v20 offset:128 th:TH_STORE_NT
	;; [unrolled: 1-line block ×3, first 2 shown]
.LBB4_1939:                             ;   in Loop: Header=BB4_1491 Depth=1
	s_wait_xcnt 0x0
	s_or_b32 exec_lo, exec_lo, s19
	v_lshlrev_b32_e32 v10, 8, v16
	s_delay_alu instid0(VALU_DEP_1)
	v_cmp_ne_u32_e32 vcc_lo, v56, v10
	s_and_b32 exec_lo, exec_lo, vcc_lo
	s_cbranch_execz .LBB4_1961
; %bb.1940:                             ;   in Loop: Header=BB4_1491 Depth=1
	v_lshlrev_b32_e32 v11, 5, v17
	s_delay_alu instid0(VALU_DEP_1) | instskip(NEXT) | instid1(VALU_DEP_1)
	v_sub_nc_u32_e32 v11, v15, v11
	v_ashrrev_i32_e32 v12, 31, v11
	s_delay_alu instid0(VALU_DEP_1) | instskip(NEXT) | instid1(VALU_DEP_1)
	v_lshrrev_b32_e32 v12, 27, v12
	v_add_nc_u32_e32 v12, v11, v12
	s_delay_alu instid0(VALU_DEP_1) | instskip(NEXT) | instid1(VALU_DEP_1)
	v_and_b32_e32 v13, 0x7fffffe0, v12
	v_dual_lshlrev_b32 v12, 1, v12 :: v_dual_sub_nc_u32 v11, v11, v13
	s_delay_alu instid0(VALU_DEP_1) | instskip(NEXT) | instid1(VALU_DEP_2)
	v_and_b32_e32 v12, 0xffffffc0, v12
	v_lshlrev_b32_e32 v11, 1, v11
	s_delay_alu instid0(VALU_DEP_1) | instskip(NEXT) | instid1(VALU_DEP_1)
	v_add3_u32 v10, v12, v11, v10
	v_sub_nc_u32_e32 v16, v56, v10
	s_delay_alu instid0(VALU_DEP_1)
	v_cmp_lt_i32_e32 vcc_lo, 1, v16
	s_and_b32 exec_lo, exec_lo, vcc_lo
	s_cbranch_execz .LBB4_1961
; %bb.1941:                             ;   in Loop: Header=BB4_1491 Depth=1
	s_trap 2
	ds_load_b32 v15, v0
	v_add_nc_u32_e32 v12, v10, v14
	s_mov_b32 s21, 0
	s_mov_b32 s19, 0
                                        ; implicit-def: $sgpr20
	s_wait_dscnt 0x0
	s_delay_alu instid0(VALU_DEP_1) | instskip(NEXT) | instid1(VALU_DEP_1)
	v_dual_lshlrev_b32 v14, 16, v15 :: v_dual_ashrrev_i32 v13, 31, v12
                                        ; implicit-def: $vgpr15
	v_add_nc_u64_e32 v[10:11], v[116:117], v[12:13]
	v_add_nc_u64_e32 v[12:13], v[12:13], v[114:115]
	s_branch .LBB4_1943
.LBB4_1942:                             ;   in Loop: Header=BB4_1943 Depth=2
	s_or_b32 exec_lo, exec_lo, s22
	v_dual_cndmask_b32 v18, 0, v45, s21 :: v_dual_cndmask_b32 v21, 0, v99, s21
	flat_store_d16_hi_b16 v[10:11], v17 th:TH_STORE_NT
	v_dual_cndmask_b32 v19, 0, v81, s21 :: v_dual_cndmask_b32 v20, 64, v98, s21
	v_dual_sub_nc_u32 v16, v16, v18 :: v_dual_cndmask_b32 v18, 0, v80, s21
	s_wait_xcnt 0x0
	s_delay_alu instid0(VALU_DEP_2) | instskip(NEXT) | instid1(VALU_DEP_2)
	v_add_nc_u64_e32 v[10:11], v[10:11], v[20:21]
	v_cmp_gt_i32_e32 vcc_lo, 2, v16
	s_delay_alu instid0(VALU_DEP_3) | instskip(SKIP_3) | instid1(SALU_CYCLE_1)
	v_add_nc_u64_e32 v[12:13], v[12:13], v[18:19]
	s_or_b32 s19, vcc_lo, s19
	s_and_not1_b32 s20, s20, exec_lo
	s_and_b32 s22, s21, exec_lo
	s_or_b32 s20, s20, s22
	s_and_not1_b32 exec_lo, exec_lo, s19
	s_cbranch_execz .LBB4_1955
.LBB4_1943:                             ;   Parent Loop BB4_1491 Depth=1
                                        ; =>  This Inner Loop Header: Depth=2
	flat_load_u16 v17, v[12:13] th:TH_LOAD_NT
	s_wait_xcnt 0x0
	s_and_saveexec_b32 s22, s21
	s_cbranch_execz .LBB4_1949
; %bb.1944:                             ;   in Loop: Header=BB4_1943 Depth=2
	v_lshlrev_b32_e32 v15, 16, v15
	s_delay_alu instid0(VALU_DEP_1) | instskip(NEXT) | instid1(VALU_DEP_1)
	v_mul_f32_e32 v15, v14, v15
	v_and_b32_e32 v18, 0x7f800000, v15
	s_delay_alu instid0(VALU_DEP_1) | instskip(SKIP_1) | instid1(SALU_CYCLE_1)
	v_cmp_ne_u32_e32 vcc_lo, 0x7f800000, v18
                                        ; implicit-def: $vgpr18
	s_and_saveexec_b32 s21, vcc_lo
	s_xor_b32 s21, exec_lo, s21
; %bb.1945:                             ;   in Loop: Header=BB4_1943 Depth=2
	v_bfe_u32 v18, v15, 16, 1
	s_delay_alu instid0(VALU_DEP_1)
	v_add3_u32 v18, v15, v18, 0x7fff
                                        ; implicit-def: $vgpr15
; %bb.1946:                             ;   in Loop: Header=BB4_1943 Depth=2
	s_and_not1_saveexec_b32 s21, s21
; %bb.1947:                             ;   in Loop: Header=BB4_1943 Depth=2
	v_and_b32_e32 v18, 0xffff, v15
	v_or_b32_e32 v19, 0x10000, v15
	s_delay_alu instid0(VALU_DEP_2) | instskip(NEXT) | instid1(VALU_DEP_2)
	v_cmp_eq_u32_e32 vcc_lo, 0, v18
	v_cndmask_b32_e32 v18, v19, v15, vcc_lo
; %bb.1948:                             ;   in Loop: Header=BB4_1943 Depth=2
	s_or_b32 exec_lo, exec_lo, s21
	s_delay_alu instid0(VALU_DEP_1)
	v_lshrrev_b32_e32 v15, 16, v18
	flat_store_b16 v[10:11], v15 th:TH_STORE_NT
	s_wait_xcnt 0x0
	v_add_nc_u64_e32 v[10:11], v[10:11], v[98:99]
.LBB4_1949:                             ;   in Loop: Header=BB4_1943 Depth=2
	s_or_b32 exec_lo, exec_lo, s22
	v_sub_nc_u32_e32 v16, v16, v45
	v_add_nc_u64_e32 v[12:13], v[12:13], v[98:99]
	s_delay_alu instid0(VALU_DEP_2)
	v_cmp_lt_i32_e64 s21, 1, v16
	s_and_saveexec_b32 s22, s21
	s_cbranch_execz .LBB4_1951
; %bb.1950:                             ;   in Loop: Header=BB4_1943 Depth=2
	flat_load_u16 v15, v[12:13] th:TH_LOAD_NT
	s_wait_xcnt 0x0
	v_add_nc_u64_e32 v[12:13], 64, v[12:13]
.LBB4_1951:                             ;   in Loop: Header=BB4_1943 Depth=2
	s_or_b32 exec_lo, exec_lo, s22
	s_wait_loadcnt_dscnt 0x0
	v_lshlrev_b32_e32 v17, 16, v17
	s_delay_alu instid0(VALU_DEP_1) | instskip(NEXT) | instid1(VALU_DEP_1)
	v_mul_f32_e32 v18, v14, v17
	v_and_b32_e32 v17, 0x7f800000, v18
	s_delay_alu instid0(VALU_DEP_1) | instskip(SKIP_1) | instid1(SALU_CYCLE_1)
	v_cmp_ne_u32_e32 vcc_lo, 0x7f800000, v17
                                        ; implicit-def: $vgpr17
	s_and_saveexec_b32 s22, vcc_lo
	s_xor_b32 s22, exec_lo, s22
; %bb.1952:                             ;   in Loop: Header=BB4_1943 Depth=2
	v_bfe_u32 v17, v18, 16, 1
	s_delay_alu instid0(VALU_DEP_1)
	v_add3_u32 v17, v18, v17, 0x7fff
                                        ; implicit-def: $vgpr18
; %bb.1953:                             ;   in Loop: Header=BB4_1943 Depth=2
	s_and_not1_saveexec_b32 s22, s22
	s_cbranch_execz .LBB4_1942
; %bb.1954:                             ;   in Loop: Header=BB4_1943 Depth=2
	v_and_b32_e32 v17, 0xffff, v18
	v_or_b32_e32 v19, 0x10000, v18
	s_delay_alu instid0(VALU_DEP_2) | instskip(NEXT) | instid1(VALU_DEP_2)
	v_cmp_eq_u32_e32 vcc_lo, 0, v17
	v_cndmask_b32_e32 v17, v19, v18, vcc_lo
	s_branch .LBB4_1942
.LBB4_1955:                             ;   in Loop: Header=BB4_1491 Depth=1
	s_or_b32 exec_lo, exec_lo, s19
	s_delay_alu instid0(SALU_CYCLE_1)
	s_and_b32 exec_lo, exec_lo, s20
	s_cbranch_execz .LBB4_1961
; %bb.1956:                             ;   in Loop: Header=BB4_1491 Depth=1
	v_lshlrev_b32_e32 v12, 16, v15
	s_delay_alu instid0(VALU_DEP_1) | instskip(NEXT) | instid1(VALU_DEP_1)
	v_mul_f32_e32 v12, v14, v12
	v_and_b32_e32 v13, 0x7f800000, v12
	s_delay_alu instid0(VALU_DEP_1) | instskip(SKIP_1) | instid1(SALU_CYCLE_1)
	v_cmp_ne_u32_e32 vcc_lo, 0x7f800000, v13
                                        ; implicit-def: $vgpr13
	s_and_saveexec_b32 s19, vcc_lo
	s_xor_b32 s19, exec_lo, s19
; %bb.1957:                             ;   in Loop: Header=BB4_1491 Depth=1
	v_bfe_u32 v13, v12, 16, 1
	s_delay_alu instid0(VALU_DEP_1)
	v_add3_u32 v13, v12, v13, 0x7fff
                                        ; implicit-def: $vgpr12
; %bb.1958:                             ;   in Loop: Header=BB4_1491 Depth=1
	s_and_not1_saveexec_b32 s19, s19
; %bb.1959:                             ;   in Loop: Header=BB4_1491 Depth=1
	v_and_b32_e32 v13, 0xffff, v12
	v_or_b32_e32 v14, 0x10000, v12
	s_delay_alu instid0(VALU_DEP_2) | instskip(NEXT) | instid1(VALU_DEP_2)
	v_cmp_eq_u32_e32 vcc_lo, 0, v13
	v_cndmask_b32_e32 v13, v14, v12, vcc_lo
; %bb.1960:                             ;   in Loop: Header=BB4_1491 Depth=1
	s_or_b32 exec_lo, exec_lo, s19
	flat_store_d16_hi_b16 v[10:11], v13 th:TH_STORE_NT
.LBB4_1961:                             ;   in Loop: Header=BB4_1491 Depth=1
	s_wait_xcnt 0x0
	s_or_b32 exec_lo, exec_lo, s10
	v_cmp_ne_u32_e64 s10, 0, v54
	s_and_saveexec_b32 s19, s2
	s_cbranch_execz .LBB4_1980
.LBB4_1962:                             ;   in Loop: Header=BB4_1491 Depth=1
	s_and_saveexec_b32 s20, s3
	s_delay_alu instid0(SALU_CYCLE_1)
	s_xor_b32 s20, exec_lo, s20
	s_cbranch_execz .LBB4_1977
; %bb.1963:                             ;   in Loop: Header=BB4_1491 Depth=1
	s_and_saveexec_b32 s21, s4
	s_cbranch_execz .LBB4_1976
; %bb.1964:                             ;   in Loop: Header=BB4_1491 Depth=1
	s_mov_b32 s23, exec_lo
	s_mov_b32 s22, exec_lo
	v_mbcnt_lo_u32_b32 v10, s23, 0
	global_wb scope:SCOPE_DEV
	s_wait_storecnt 0x0
	s_wait_loadcnt_dscnt 0x0
	global_inv scope:SCOPE_DEV
	v_cmpx_eq_u32_e32 0, v10
	s_cbranch_execz .LBB4_1966
; %bb.1965:                             ;   in Loop: Header=BB4_1491 Depth=1
	s_bcnt1_i32_b32 s23, s23
	s_delay_alu instid0(SALU_CYCLE_1)
	v_mov_b32_e32 v54, s23
	s_wait_loadcnt 0x0
	ds_add_u64 v0, v[54:55]
	s_trap 2
.LBB4_1966:                             ;   in Loop: Header=BB4_1491 Depth=1
	s_or_b32 exec_lo, exec_lo, s22
	s_trap 2
	ds_load_b64 v[10:11], v0
	s_wait_dscnt 0x0
	v_add_nc_u64_e32 v[48:49], v[48:49], v[64:65]
	s_mov_b32 s22, exec_lo
	s_delay_alu instid0(VALU_DEP_1)
	v_cmpx_lt_u64_e64 v[10:11], v[48:49]
	s_cbranch_execz .LBB4_1975
; %bb.1967:                             ;   in Loop: Header=BB4_1491 Depth=1
	s_mov_b32 s23, 0
	s_mov_b32 s26, 0
                                        ; implicit-def: $sgpr24
                                        ; implicit-def: $sgpr25
	s_branch .LBB4_1969
.LBB4_1968:                             ;   in Loop: Header=BB4_1969 Depth=2
	s_or_b32 exec_lo, exec_lo, s28
	s_delay_alu instid0(SALU_CYCLE_1) | instskip(NEXT) | instid1(SALU_CYCLE_1)
	s_and_b32 s27, exec_lo, s29
	s_or_b32 s23, s27, s23
	s_and_not1_b32 s24, s24, exec_lo
	s_and_b32 s27, s25, exec_lo
	s_delay_alu instid0(SALU_CYCLE_1)
	s_or_b32 s24, s24, s27
	s_and_not1_b32 exec_lo, exec_lo, s23
	s_cbranch_execz .LBB4_1973
.LBB4_1969:                             ;   Parent Loop BB4_1491 Depth=1
                                        ; =>  This Inner Loop Header: Depth=2
	s_add_co_i32 s26, s26, 1
	s_delay_alu instid0(SALU_CYCLE_1) | instskip(SKIP_1) | instid1(SALU_CYCLE_1)
	s_cmp_lg_u32 s26, 0x2710
	s_cselect_b32 s27, -1, 0
	s_and_b32 vcc_lo, exec_lo, s27
	s_cbranch_vccz .LBB4_1971
; %bb.1970:                             ;   in Loop: Header=BB4_1969 Depth=2
	s_mov_b32 s29, -1
	s_or_b32 s25, s25, exec_lo
	s_and_saveexec_b32 s28, s27
	s_cbranch_execz .LBB4_1968
	s_branch .LBB4_1972
.LBB4_1971:                             ;   in Loop: Header=BB4_1969 Depth=2
	s_trap 2
	ds_load_b64 v[10:11], v0
	s_and_not1_b32 s27, s27, exec_lo
	s_mov_b32 s26, 0
	s_wait_loadcnt_dscnt 0x0
	flat_load_b32 v10, v[10:11] scope:SCOPE_SYS
	s_wait_loadcnt_dscnt 0x0
	global_inv scope:SCOPE_SYS
	v_cmp_eq_u32_e32 vcc_lo, 0, v10
	s_and_b32 s28, vcc_lo, exec_lo
	s_delay_alu instid0(SALU_CYCLE_1)
	s_or_b32 s27, s27, s28
	s_mov_b32 s29, -1
	s_or_b32 s25, s25, exec_lo
	s_and_saveexec_b32 s28, s27
	s_cbranch_execz .LBB4_1968
.LBB4_1972:                             ;   in Loop: Header=BB4_1969 Depth=2
	s_sleep 1
	s_trap 2
	ds_load_b64 v[10:11], v0
	s_wait_dscnt 0x0
	s_and_not1_b32 s25, s25, exec_lo
	v_cmp_ge_u64_e32 vcc_lo, v[10:11], v[48:49]
	s_or_not1_b32 s29, vcc_lo, exec_lo
	s_branch .LBB4_1968
.LBB4_1973:                             ;   in Loop: Header=BB4_1491 Depth=1
	s_or_b32 exec_lo, exec_lo, s23
	s_and_saveexec_b32 s23, s24
	s_delay_alu instid0(SALU_CYCLE_1)
	s_xor_b32 s23, exec_lo, s23
	s_cbranch_execz .LBB4_1975
; %bb.1974:                             ;   in Loop: Header=BB4_1491 Depth=1
	ds_store_b32 v0, v47
	s_trap 2
.LBB4_1975:                             ;   in Loop: Header=BB4_1491 Depth=1
	s_or_b32 exec_lo, exec_lo, s22
	;;#ASMSTART
	s_wakeup
	;;#ASMEND
.LBB4_1976:                             ;   in Loop: Header=BB4_1491 Depth=1
	s_or_b32 exec_lo, exec_lo, s21
.LBB4_1977:                             ;   in Loop: Header=BB4_1491 Depth=1
	s_and_not1_saveexec_b32 s20, s20
	s_cbranch_execz .LBB4_1979
; %bb.1978:                             ;   in Loop: Header=BB4_1491 Depth=1
	global_wb scope:SCOPE_DEV
	s_wait_storecnt 0x0
	s_wait_loadcnt_dscnt 0x0
	global_inv scope:SCOPE_DEV
	s_barrier_signal -1
	s_barrier_wait -1
.LBB4_1979:                             ;   in Loop: Header=BB4_1491 Depth=1
	s_or_b32 exec_lo, exec_lo, s20
.LBB4_1980:                             ;   in Loop: Header=BB4_1491 Depth=1
	s_delay_alu instid0(SALU_CYCLE_1) | instskip(SKIP_1) | instid1(VALU_DEP_1)
	s_or_b32 exec_lo, exec_lo, s19
	v_and_b32_e32 v10, 16, v30
	v_cmp_ne_u32_e32 vcc_lo, 0, v10
	s_and_b32 s19, vcc_lo, s10
	s_delay_alu instid0(SALU_CYCLE_1)
	s_and_saveexec_b32 s10, s19
	s_cbranch_execz .LBB4_1982
; %bb.1981:                             ;   in Loop: Header=BB4_1491 Depth=1
	global_wb scope:SCOPE_SYS
	s_wait_storecnt 0x0
	s_wait_loadcnt_dscnt 0x0
	global_inv scope:SCOPE_SYS
.LBB4_1982:                             ;   in Loop: Header=BB4_1491 Depth=1
	s_or_b32 exec_lo, exec_lo, s10
	s_delay_alu instid0(SALU_CYCLE_1)
	s_mov_b32 s10, exec_lo
	v_cmpx_ne_u32_e32 0, v10
	s_cbranch_execz .LBB4_1986
; %bb.1983:                             ;   in Loop: Header=BB4_1491 Depth=1
	s_and_saveexec_b32 s19, s7
	s_cbranch_execz .LBB4_1985
; %bb.1984:                             ;   in Loop: Header=BB4_1491 Depth=1
	global_wb scope:SCOPE_SYS
	s_wait_storecnt 0x0
	s_wait_loadcnt_dscnt 0x0
	flat_store_b32 v[52:53], v47 scope:SCOPE_SYS
.LBB4_1985:                             ;   in Loop: Header=BB4_1491 Depth=1
	s_wait_xcnt 0x0
	s_or_b32 exec_lo, exec_lo, s19
	v_add_nc_u64_e32 v[8:9], 1, v[8:9]
	global_wb scope:SCOPE_SYS
	s_wait_storecnt 0x0
	s_wait_loadcnt_dscnt 0x0
	flat_store_b64 v[32:33], v[8:9] scope:SCOPE_SYS
.LBB4_1986:                             ;   in Loop: Header=BB4_1491 Depth=1
	s_wait_xcnt 0x0
	s_or_b32 exec_lo, exec_lo, s10
	v_mov_b32_e32 v10, v113
.LBB4_1987:                             ;   in Loop: Header=BB4_1491 Depth=1
	s_or_b32 exec_lo, exec_lo, s18
	s_and_saveexec_b32 s18, s17
	s_cbranch_execz .LBB4_1490
; %bb.1988:                             ;   in Loop: Header=BB4_1491 Depth=1
	s_delay_alu instid0(VALU_DEP_1) | instskip(SKIP_2) | instid1(VALU_DEP_2)
	v_sub_nc_u32_e32 v10, v112, v10
	v_and_b32_e32 v11, 8, v30
	s_mov_b32 s17, exec_lo
	v_min_i32_e32 v10, v113, v10
	s_delay_alu instid0(VALU_DEP_2)
	v_cmpx_ne_u32_e32 0, v11
	s_cbranch_execz .LBB4_2010
; %bb.1989:                             ;   in Loop: Header=BB4_1491 Depth=1
	s_wait_loadcnt 0x0
	v_add_nc_u64_e32 v[14:15], 8, v[38:39]
	v_add_nc_u64_e32 v[12:13], 1, v[8:9]
	s_mov_b32 s19, exec_lo
	s_delay_alu instid0(VALU_DEP_1)
	v_cmpx_lt_u64_e64 v[14:15], v[12:13]
	s_cbranch_execz .LBB4_2001
; %bb.1990:                             ;   in Loop: Header=BB4_1491 Depth=1
	v_and_b32_e32 v9, 64, v30
	s_mov_b32 s20, 0
	s_mov_b32 s24, 0
                                        ; implicit-def: $sgpr21
                                        ; implicit-def: $sgpr22
                                        ; implicit-def: $sgpr23
	s_delay_alu instid0(VALU_DEP_1)
	v_cmp_eq_u32_e32 vcc_lo, 0, v9
	s_branch .LBB4_1994
.LBB4_1991:                             ;   in Loop: Header=BB4_1994 Depth=2
	s_wait_loadcnt_dscnt 0x0
	v_add_nc_u64_e32 v[14:15], 8, v[38:39]
	s_or_b32 s27, s27, exec_lo
	s_delay_alu instid0(VALU_DEP_1)
	v_cmp_ge_u64_e64 s10, v[14:15], v[12:13]
	s_or_not1_b32 s26, s10, exec_lo
.LBB4_1992:                             ;   in Loop: Header=BB4_1994 Depth=2
	s_or_b32 exec_lo, exec_lo, s29
	s_delay_alu instid0(SALU_CYCLE_1)
	s_and_not1_b32 s10, s23, exec_lo
	s_and_b32 s23, s27, exec_lo
	s_and_not1_b32 s22, s22, exec_lo
	s_and_b32 s26, s26, exec_lo
	s_or_b32 s23, s10, s23
	s_or_b32 s22, s22, s26
.LBB4_1993:                             ;   in Loop: Header=BB4_1994 Depth=2
	s_or_b32 exec_lo, exec_lo, s25
	s_delay_alu instid0(SALU_CYCLE_1) | instskip(NEXT) | instid1(SALU_CYCLE_1)
	s_and_b32 s10, exec_lo, s22
	s_or_b32 s20, s10, s20
	s_and_not1_b32 s10, s21, exec_lo
	s_and_b32 s21, s23, exec_lo
	s_delay_alu instid0(SALU_CYCLE_1)
	s_or_b32 s21, s10, s21
	s_and_not1_b32 exec_lo, exec_lo, s20
	s_cbranch_execz .LBB4_1998
.LBB4_1994:                             ;   Parent Loop BB4_1491 Depth=1
                                        ; =>  This Inner Loop Header: Depth=2
	s_sleep 1
	s_wait_loadcnt_dscnt 0x0
	flat_load_b64 v[38:39], v[32:33] scope:SCOPE_SYS
	s_or_b32 s23, s23, exec_lo
	s_or_b32 s22, s22, exec_lo
                                        ; implicit-def: $vgpr9
	s_wait_xcnt 0x0
	s_and_saveexec_b32 s25, vcc_lo
	s_cbranch_execz .LBB4_1993
; %bb.1995:                             ;   in Loop: Header=BB4_1994 Depth=2
	s_cmp_lt_i32 s24, 0x270f
	s_mov_b32 s26, -1
	s_cselect_b32 s28, -1, 0
	s_cmp_gt_i32 s24, 0x270e
	s_cbranch_scc0 .LBB4_1997
; %bb.1996:                             ;   in Loop: Header=BB4_1994 Depth=2
	s_trap 2
	ds_load_b64 v[14:15], v0
	s_and_not1_b32 s24, s28, exec_lo
	s_mov_b32 s27, 0
	s_wait_storecnt 0x0
	s_wait_loadcnt_dscnt 0x0
	flat_load_b32 v9, v[14:15] scope:SCOPE_SYS
	s_wait_loadcnt_dscnt 0x0
	global_inv scope:SCOPE_SYS
	v_cmp_eq_u32_e64 s10, 0, v9
	s_and_b32 s10, s10, exec_lo
	s_delay_alu instid0(SALU_CYCLE_1)
	s_or_b32 s28, s24, s10
	s_mov_b32 s24, 0
	s_and_saveexec_b32 s29, s28
	s_cbranch_execz .LBB4_1992
	s_branch .LBB4_1991
.LBB4_1997:                             ;   in Loop: Header=BB4_1994 Depth=2
	s_add_co_i32 s24, s24, 1
	s_mov_b32 s27, -1
                                        ; implicit-def: $vgpr9
	s_and_saveexec_b32 s29, s28
	s_cbranch_execz .LBB4_1992
	s_branch .LBB4_1991
.LBB4_1998:                             ;   in Loop: Header=BB4_1491 Depth=1
	s_or_b32 exec_lo, exec_lo, s20
	s_xor_b32 s10, s21, -1
	s_delay_alu instid0(SALU_CYCLE_1) | instskip(NEXT) | instid1(SALU_CYCLE_1)
	s_and_saveexec_b32 s20, s10
	s_xor_b32 s10, exec_lo, s20
	s_cbranch_execz .LBB4_2000
; %bb.1999:                             ;   in Loop: Header=BB4_1491 Depth=1
	v_or_b32_e32 v30, 64, v30
	s_wait_storecnt 0x0
	s_wait_loadcnt_dscnt 0x0
	ds_store_b32 v0, v9
	s_trap 2
.LBB4_2000:                             ;   in Loop: Header=BB4_1491 Depth=1
	s_or_b32 exec_lo, exec_lo, s10
.LBB4_2001:                             ;   in Loop: Header=BB4_1491 Depth=1
	s_delay_alu instid0(SALU_CYCLE_1) | instskip(SKIP_4) | instid1(VALU_DEP_1)
	s_or_b32 exec_lo, exec_lo, s19
	v_and_b32_e32 v9, 0x100, v30
	s_mov_b32 s19, 0
	s_mov_b32 s10, exec_lo
	;;#ASMSTART
	s_wakeup
	;;#ASMEND
                                        ; implicit-def: $vgpr14_vgpr15
	v_cmpx_ne_u32_e32 0, v9
	s_xor_b32 s10, exec_lo, s10
	s_cbranch_execz .LBB4_2022
; %bb.2002:                             ;   in Loop: Header=BB4_1491 Depth=1
	v_dual_ashrrev_i32 v11, 31, v10 :: v_dual_bitop2_b32 v54, 7, v8 bitop3:0x40
	s_mov_b32 s19, -1
	s_mov_b32 s20, exec_lo
	s_delay_alu instid0(VALU_DEP_1) | instskip(NEXT) | instid1(VALU_DEP_2)
	v_mad_nc_u64_u32 v[16:17], v54, 24, v[6:7]
	v_lshlrev_b64_e32 v[14:15], 1, v[10:11]
	s_clause 0x1
	flat_load_b32 v9, v[16:17]
	flat_store_b64 v[16:17], v[14:15] offset:8
                                        ; implicit-def: $vgpr14_vgpr15
	s_wait_loadcnt_dscnt 0x1
	v_cmpx_eq_u32_e32 1, v9
	s_cbranch_execz .LBB4_2004
; %bb.2003:                             ;   in Loop: Header=BB4_1491 Depth=1
	flat_load_b32 v14, v[16:17] offset:4 scope:SCOPE_SYS
	s_xor_b32 s19, exec_lo, -1
	s_wait_loadcnt_dscnt 0x0
	v_ashrrev_i32_e32 v15, 31, v14
	s_delay_alu instid0(VALU_DEP_1)
	v_lshrrev_b64 v[14:15], 1, v[14:15]
.LBB4_2004:                             ;   in Loop: Header=BB4_1491 Depth=1
	s_wait_xcnt 0x0
	s_or_b32 exec_lo, exec_lo, s20
	s_delay_alu instid0(SALU_CYCLE_1)
	s_and_b32 s19, s19, exec_lo
	s_and_not1_saveexec_b32 s10, s10
	s_cbranch_execnz .LBB4_2023
.LBB4_2005:                             ;   in Loop: Header=BB4_1491 Depth=1
	s_or_b32 exec_lo, exec_lo, s10
	s_and_saveexec_b32 s10, s19
.LBB4_2006:                             ;   in Loop: Header=BB4_1491 Depth=1
	v_mul_u64_e32 v[14:15], v[54:55], v[34:35]
.LBB4_2007:                             ;   in Loop: Header=BB4_1491 Depth=1
	s_or_b32 exec_lo, exec_lo, s10
	v_and_b32_e32 v11, 0x2000, v30
	s_delay_alu instid0(VALU_DEP_2)
	v_lshl_add_u64 v[8:9], v[14:15], 1, v[36:37]
	s_mov_b32 s10, exec_lo
	ds_store_b64 v0, v[8:9] offset:784
	v_cmpx_ne_u32_e32 0, v11
	s_cbranch_execz .LBB4_2009
; %bb.2008:                             ;   in Loop: Header=BB4_1491 Depth=1
	ds_load_b64 v[8:9], v0 offset:872
	s_wait_dscnt 0x0
	v_add_nc_u64_e32 v[8:9], 1, v[8:9]
	ds_store_b64 v0, v[8:9] offset:872
.LBB4_2009:                             ;   in Loop: Header=BB4_1491 Depth=1
	s_or_b32 exec_lo, exec_lo, s10
	v_mov_b64_e32 v[8:9], v[12:13]
.LBB4_2010:                             ;   in Loop: Header=BB4_1491 Depth=1
	s_or_b32 exec_lo, exec_lo, s17
	s_and_saveexec_b32 s10, s2
	s_cbranch_execz .LBB4_2031
; %bb.2011:                             ;   in Loop: Header=BB4_1491 Depth=1
	s_and_saveexec_b32 s17, s3
	s_delay_alu instid0(SALU_CYCLE_1)
	s_xor_b32 s17, exec_lo, s17
	s_cbranch_execz .LBB4_2028
; %bb.2012:                             ;   in Loop: Header=BB4_1491 Depth=1
	s_and_saveexec_b32 s19, s4
	s_cbranch_execz .LBB4_2027
; %bb.2013:                             ;   in Loop: Header=BB4_1491 Depth=1
	s_mov_b32 s21, exec_lo
	s_mov_b32 s20, exec_lo
	v_mbcnt_lo_u32_b32 v11, s21, 0
	global_wb scope:SCOPE_DEV
	s_wait_storecnt 0x0
	s_wait_loadcnt_dscnt 0x0
	global_inv scope:SCOPE_DEV
	v_cmpx_eq_u32_e32 0, v11
	s_cbranch_execz .LBB4_2015
; %bb.2014:                             ;   in Loop: Header=BB4_1491 Depth=1
	s_bcnt1_i32_b32 s21, s21
	s_delay_alu instid0(SALU_CYCLE_1)
	v_mov_b32_e32 v54, s21
	s_wait_loadcnt 0x0
	ds_add_u64 v0, v[54:55]
	s_trap 2
.LBB4_2015:                             ;   in Loop: Header=BB4_1491 Depth=1
	s_or_b32 exec_lo, exec_lo, s20
	s_trap 2
	ds_load_b64 v[12:13], v0
	s_wait_dscnt 0x0
	v_add_nc_u64_e32 v[48:49], v[48:49], v[64:65]
	s_mov_b32 s20, exec_lo
	s_delay_alu instid0(VALU_DEP_1)
	v_cmpx_lt_u64_e64 v[12:13], v[48:49]
	s_cbranch_execz .LBB4_2026
; %bb.2016:                             ;   in Loop: Header=BB4_1491 Depth=1
	s_mov_b32 s21, 0
	s_mov_b32 s24, 0
                                        ; implicit-def: $sgpr22
                                        ; implicit-def: $sgpr23
	s_branch .LBB4_2018
.LBB4_2017:                             ;   in Loop: Header=BB4_2018 Depth=2
	s_or_b32 exec_lo, exec_lo, s26
	s_delay_alu instid0(SALU_CYCLE_1) | instskip(NEXT) | instid1(SALU_CYCLE_1)
	s_and_b32 s25, exec_lo, s27
	s_or_b32 s21, s25, s21
	s_and_not1_b32 s22, s22, exec_lo
	s_and_b32 s25, s23, exec_lo
	s_delay_alu instid0(SALU_CYCLE_1)
	s_or_b32 s22, s22, s25
	s_and_not1_b32 exec_lo, exec_lo, s21
	s_cbranch_execz .LBB4_2024
.LBB4_2018:                             ;   Parent Loop BB4_1491 Depth=1
                                        ; =>  This Inner Loop Header: Depth=2
	s_add_co_i32 s24, s24, 1
	s_delay_alu instid0(SALU_CYCLE_1) | instskip(SKIP_1) | instid1(SALU_CYCLE_1)
	s_cmp_lg_u32 s24, 0x2710
	s_cselect_b32 s25, -1, 0
	s_and_b32 vcc_lo, exec_lo, s25
	s_cbranch_vccz .LBB4_2020
; %bb.2019:                             ;   in Loop: Header=BB4_2018 Depth=2
	s_mov_b32 s27, -1
	s_or_b32 s23, s23, exec_lo
	s_and_saveexec_b32 s26, s25
	s_cbranch_execz .LBB4_2017
	s_branch .LBB4_2021
.LBB4_2020:                             ;   in Loop: Header=BB4_2018 Depth=2
	s_trap 2
	ds_load_b64 v[12:13], v0
	s_and_not1_b32 s25, s25, exec_lo
	s_mov_b32 s24, 0
	s_wait_loadcnt_dscnt 0x0
	flat_load_b32 v11, v[12:13] scope:SCOPE_SYS
	s_wait_loadcnt_dscnt 0x0
	global_inv scope:SCOPE_SYS
	v_cmp_eq_u32_e32 vcc_lo, 0, v11
	s_and_b32 s26, vcc_lo, exec_lo
	s_delay_alu instid0(SALU_CYCLE_1)
	s_or_b32 s25, s25, s26
	s_mov_b32 s27, -1
	s_or_b32 s23, s23, exec_lo
	s_and_saveexec_b32 s26, s25
	s_cbranch_execz .LBB4_2017
.LBB4_2021:                             ;   in Loop: Header=BB4_2018 Depth=2
	s_sleep 1
	s_trap 2
	ds_load_b64 v[12:13], v0
	s_wait_dscnt 0x0
	s_and_not1_b32 s23, s23, exec_lo
	v_cmp_ge_u64_e32 vcc_lo, v[12:13], v[48:49]
	s_or_not1_b32 s27, vcc_lo, exec_lo
	s_branch .LBB4_2017
.LBB4_2022:                             ;   in Loop: Header=BB4_1491 Depth=1
	s_and_not1_saveexec_b32 s10, s10
	s_cbranch_execz .LBB4_2005
.LBB4_2023:                             ;   in Loop: Header=BB4_1491 Depth=1
	v_and_b32_e32 v54, 7, v8
	s_or_b32 s19, s19, exec_lo
	s_or_b32 exec_lo, exec_lo, s10
	s_and_saveexec_b32 s10, s19
	s_cbranch_execnz .LBB4_2006
	s_branch .LBB4_2007
.LBB4_2024:                             ;   in Loop: Header=BB4_1491 Depth=1
	s_or_b32 exec_lo, exec_lo, s21
	s_and_saveexec_b32 s21, s22
	s_delay_alu instid0(SALU_CYCLE_1)
	s_xor_b32 s21, exec_lo, s21
	s_cbranch_execz .LBB4_2026
; %bb.2025:                             ;   in Loop: Header=BB4_1491 Depth=1
	ds_store_b32 v0, v47
	s_trap 2
.LBB4_2026:                             ;   in Loop: Header=BB4_1491 Depth=1
	s_or_b32 exec_lo, exec_lo, s20
	;;#ASMSTART
	s_wakeup
	;;#ASMEND
.LBB4_2027:                             ;   in Loop: Header=BB4_1491 Depth=1
	s_or_b32 exec_lo, exec_lo, s19
.LBB4_2028:                             ;   in Loop: Header=BB4_1491 Depth=1
	s_and_not1_saveexec_b32 s17, s17
	s_cbranch_execz .LBB4_2030
; %bb.2029:                             ;   in Loop: Header=BB4_1491 Depth=1
	global_wb scope:SCOPE_DEV
	s_wait_storecnt 0x0
	s_wait_loadcnt_dscnt 0x0
	global_inv scope:SCOPE_DEV
	s_barrier_signal -1
	s_barrier_wait -1
.LBB4_2030:                             ;   in Loop: Header=BB4_1491 Depth=1
	s_or_b32 exec_lo, exec_lo, s17
.LBB4_2031:                             ;   in Loop: Header=BB4_1491 Depth=1
	s_delay_alu instid0(SALU_CYCLE_1)
	s_or_b32 exec_lo, exec_lo, s10
	s_trap 2
	ds_load_b32 v11, v0
	v_cmp_lt_i32_e32 vcc_lo, 0, v10
	s_wait_dscnt 0x0
	v_readfirstlane_b32 s10, v11
	v_and_b32_e32 v11, 16, v30
	s_cmp_eq_u32 s10, 0
	s_delay_alu instid0(VALU_DEP_1) | instskip(SKIP_1) | instid1(SALU_CYCLE_1)
	v_cmp_ne_u32_e64 s10, 0, v11
	s_cselect_b32 s17, -1, 0
	s_and_b32 s17, vcc_lo, s17
	s_delay_alu instid0(SALU_CYCLE_1) | instskip(NEXT) | instid1(SALU_CYCLE_1)
	s_and_b32 s17, s10, s17
	s_and_saveexec_b32 s10, s17
	s_cbranch_execz .LBB4_2033
; %bb.2032:                             ;   in Loop: Header=BB4_1491 Depth=1
	global_wb scope:SCOPE_SYS
	s_wait_loadcnt 0x0
	s_wait_storecnt 0x0
	global_inv scope:SCOPE_SYS
.LBB4_2033:                             ;   in Loop: Header=BB4_1491 Depth=1
	s_or_b32 exec_lo, exec_lo, s10
	s_delay_alu instid0(SALU_CYCLE_1)
	s_mov_b32 s10, exec_lo
	v_cmpx_ne_u32_e32 0, v11
	s_cbranch_execz .LBB4_1489
; %bb.2034:                             ;   in Loop: Header=BB4_1491 Depth=1
	s_and_saveexec_b32 s17, s7
	s_cbranch_execz .LBB4_1488
; %bb.2035:                             ;   in Loop: Header=BB4_1491 Depth=1
	global_wb scope:SCOPE_SYS
	s_wait_loadcnt 0x0
	s_wait_storecnt 0x0
	flat_store_b32 v[52:53], v47 scope:SCOPE_SYS
	s_branch .LBB4_1488
.LBB4_2036:
	s_or_b32 exec_lo, exec_lo, s13
.LBB4_2037:
	s_delay_alu instid0(SALU_CYCLE_1)
	s_or_b32 exec_lo, exec_lo, s12
.LBB4_2038:
	s_delay_alu instid0(SALU_CYCLE_1) | instskip(SKIP_2) | instid1(VALU_DEP_1)
	s_or_b32 exec_lo, exec_lo, s11
	v_and_b32_e32 v0, 0x800, v30
	s_mov_b32 s1, exec_lo
	v_cmpx_eq_u32_e32 0, v0
	s_cbranch_execz .LBB4_2071
; %bb.2039:
	v_and_b32_e32 v0, 48, v30
	s_mov_b32 s0, exec_lo
	s_delay_alu instid0(VALU_DEP_1)
	v_cmpx_ne_u32_e32 0, v0
	s_cbranch_execz .LBB4_2041
; %bb.2040:
	s_wait_dscnt 0x0
	flat_store_b64 v[28:29], v[8:9] offset:104
.LBB4_2041:
	s_wait_xcnt 0x0
	s_or_b32 exec_lo, exec_lo, s0
	v_and_b32_e32 v0, 0x88, v30
	s_mov_b32 s2, exec_lo
	s_delay_alu instid0(VALU_DEP_1)
	v_cmpx_eq_u32_e32 0x88, v0
	s_cbranch_execz .LBB4_2051
; %bb.2042:
	s_wait_dscnt 0x0
	v_add_nc_u32_e32 v0, -1, v8
	s_mov_b32 s3, 0
	s_delay_alu instid0(VALU_DEP_1) | instskip(NEXT) | instid1(VALU_DEP_1)
	v_and_b32_e32 v0, 7, v0
	v_mad_nc_u64_u32 v[4:5], v0, 24, v[6:7]
	v_and_b32_e32 v0, 64, v30
	s_delay_alu instid0(VALU_DEP_1)
	v_cmp_eq_u32_e64 s0, 0, v0
	flat_load_b64 v[6:7], v[4:5] offset:8 scope:SCOPE_SYS
	s_wait_loadcnt_dscnt 0x0
	v_cmp_ne_u64_e32 vcc_lo, -1, v[6:7]
	s_and_b32 s0, vcc_lo, s0
	s_wait_xcnt 0x0
	s_and_b32 exec_lo, exec_lo, s0
	s_cbranch_execz .LBB4_2051
; %bb.2043:
	s_mov_b32 s5, 0
                                        ; implicit-def: $sgpr0
                                        ; implicit-def: $sgpr4
	s_branch .LBB4_2046
.LBB4_2044:                             ;   in Loop: Header=BB4_2046 Depth=1
	flat_load_b64 v[6:7], v[4:5] offset:8 scope:SCOPE_SYS
	s_wait_loadcnt 0x0
	s_and_not1_b32 s4, s4, exec_lo
	s_wait_dscnt 0x0
	v_cmp_eq_u64_e32 vcc_lo, -1, v[6:7]
	s_or_not1_b32 s7, vcc_lo, exec_lo
.LBB4_2045:                             ;   in Loop: Header=BB4_2046 Depth=1
	s_wait_xcnt 0x0
	s_or_b32 exec_lo, exec_lo, s10
	s_delay_alu instid0(SALU_CYCLE_1) | instskip(NEXT) | instid1(SALU_CYCLE_1)
	s_and_b32 s6, exec_lo, s7
	s_or_b32 s3, s6, s3
	s_and_not1_b32 s0, s0, exec_lo
	s_and_b32 s6, s4, exec_lo
	s_delay_alu instid0(SALU_CYCLE_1)
	s_or_b32 s0, s0, s6
	s_and_not1_b32 exec_lo, exec_lo, s3
	s_cbranch_execz .LBB4_2049
.LBB4_2046:                             ; =>This Inner Loop Header: Depth=1
	s_cmp_lt_i32 s5, 0x270f
	s_cselect_b32 s6, -1, 0
	s_delay_alu instid0(SALU_CYCLE_1)
	s_and_b32 vcc_lo, exec_lo, s6
	s_cbranch_vccnz .LBB4_2048
; %bb.2047:                             ;   in Loop: Header=BB4_2046 Depth=1
	s_trap 2
	ds_load_b64 v[6:7], v0
	s_and_not1_b32 s6, s6, exec_lo
	s_mov_b32 s5, 0
	s_wait_storecnt_dscnt 0x0
	flat_load_b32 v0, v[6:7] scope:SCOPE_SYS
	s_wait_loadcnt_dscnt 0x0
	global_inv scope:SCOPE_SYS
	v_cmp_eq_u32_e32 vcc_lo, 0, v0
	s_and_b32 s7, vcc_lo, exec_lo
	s_delay_alu instid0(SALU_CYCLE_1)
	s_or_b32 s6, s6, s7
	s_mov_b32 s7, -1
	s_or_b32 s4, s4, exec_lo
	s_wait_xcnt 0x0
	s_and_saveexec_b32 s10, s6
	s_cbranch_execz .LBB4_2045
	s_branch .LBB4_2044
.LBB4_2048:                             ;   in Loop: Header=BB4_2046 Depth=1
	s_add_co_i32 s5, s5, 1
                                        ; implicit-def: $vgpr0
	s_mov_b32 s7, -1
	s_or_b32 s4, s4, exec_lo
	s_and_saveexec_b32 s10, s6
	s_cbranch_execz .LBB4_2045
	s_branch .LBB4_2044
.LBB4_2049:
	s_or_b32 exec_lo, exec_lo, s3
	s_and_saveexec_b32 s3, s0
	s_delay_alu instid0(SALU_CYCLE_1)
	s_xor_b32 s3, exec_lo, s3
	s_cbranch_execz .LBB4_2051
; %bb.2050:
	s_wait_loadcnt 0x0
	s_wait_storecnt 0x0
	ds_store_b32 v0, v0
	s_trap 2
.LBB4_2051:
	s_or_b32 exec_lo, exec_lo, s2
	v_and_b32_e32 v0, 0x2000, v30
	s_mov_b32 s0, exec_lo
	s_delay_alu instid0(VALU_DEP_1)
	v_cmpx_ne_u32_e32 0, v0
	s_cbranch_execz .LBB4_2053
; %bb.2052:
	s_trap 2
	ds_load_b64 v[4:5], v0
	s_wait_dscnt 0x0
	flat_store_b64 v[2:3], v[4:5] offset:16
.LBB4_2053:
	s_wait_xcnt 0x0
	s_or_b32 exec_lo, exec_lo, s0
	v_cmp_ne_u32_e32 vcc_lo, 32, v1
	s_and_b32 exec_lo, exec_lo, vcc_lo
	s_cbranch_execz .LBB4_2071
; %bb.2054:
	s_mov_b32 s0, exec_lo
	v_cmpx_ne_u32_e64 v1, v42
	s_xor_b32 s0, exec_lo, s0
	s_cbranch_execz .LBB4_2069
; %bb.2055:
	v_and_b32_e32 v0, 31, v31
	s_mov_b32 s2, exec_lo
	s_delay_alu instid0(VALU_DEP_1)
	v_cmpx_eq_u32_e32 0, v0
	s_cbranch_execz .LBB4_2068
; %bb.2056:
	s_mov_b32 s4, exec_lo
	s_mov_b32 s3, exec_lo
	v_mbcnt_lo_u32_b32 v0, s4, 0
	global_wb scope:SCOPE_DEV
	s_wait_storecnt 0x0
	s_wait_loadcnt_dscnt 0x0
	global_inv scope:SCOPE_DEV
	v_cmpx_eq_u32_e32 0, v0
	s_cbranch_execz .LBB4_2058
; %bb.2057:
	s_bcnt1_i32_b32 s4, s4
	s_delay_alu instid0(SALU_CYCLE_1)
	v_dual_mov_b32 v3, 0 :: v_dual_mov_b32 v2, s4
	s_wait_loadcnt 0x0
	ds_add_u64 v0, v[2:3]
	s_trap 2
.LBB4_2058:
	s_or_b32 exec_lo, exec_lo, s3
	s_trap 2
	ds_load_b64 v[2:3], v0
	s_wait_dscnt 0x0
	v_dual_mov_b32 v1, 0 :: v_dual_lshrrev_b32 v0, 5, v1
	s_mov_b32 s3, exec_lo
	s_delay_alu instid0(VALU_DEP_1) | instskip(NEXT) | instid1(VALU_DEP_1)
	v_add_nc_u64_e32 v[0:1], v[48:49], v[0:1]
	v_cmpx_lt_u64_e64 v[2:3], v[0:1]
	s_cbranch_execz .LBB4_2067
; %bb.2059:
	s_mov_b32 s4, 0
	s_mov_b32 s7, 0
                                        ; implicit-def: $sgpr5
                                        ; implicit-def: $sgpr6
	s_branch .LBB4_2061
.LBB4_2060:                             ;   in Loop: Header=BB4_2061 Depth=1
	s_or_b32 exec_lo, exec_lo, s11
	s_delay_alu instid0(SALU_CYCLE_1) | instskip(NEXT) | instid1(SALU_CYCLE_1)
	s_and_b32 s10, exec_lo, s12
	s_or_b32 s4, s10, s4
	s_and_not1_b32 s5, s5, exec_lo
	s_and_b32 s10, s6, exec_lo
	s_delay_alu instid0(SALU_CYCLE_1)
	s_or_b32 s5, s5, s10
	s_and_not1_b32 exec_lo, exec_lo, s4
	s_cbranch_execz .LBB4_2065
.LBB4_2061:                             ; =>This Inner Loop Header: Depth=1
	s_add_co_i32 s7, s7, 1
	s_delay_alu instid0(SALU_CYCLE_1) | instskip(SKIP_1) | instid1(SALU_CYCLE_1)
	s_cmp_lg_u32 s7, 0x2710
	s_cselect_b32 s10, -1, 0
	s_and_b32 vcc_lo, exec_lo, s10
	s_cbranch_vccz .LBB4_2063
; %bb.2062:                             ;   in Loop: Header=BB4_2061 Depth=1
	s_mov_b32 s12, -1
	s_or_b32 s6, s6, exec_lo
	s_and_saveexec_b32 s11, s10
	s_cbranch_execz .LBB4_2060
	s_branch .LBB4_2064
.LBB4_2063:                             ;   in Loop: Header=BB4_2061 Depth=1
	s_trap 2
	ds_load_b64 v[2:3], v0
	s_and_not1_b32 s10, s10, exec_lo
	s_mov_b32 s7, 0
	s_wait_loadcnt_dscnt 0x0
	flat_load_b32 v2, v[2:3] scope:SCOPE_SYS
	s_wait_loadcnt_dscnt 0x0
	global_inv scope:SCOPE_SYS
	v_cmp_eq_u32_e32 vcc_lo, 0, v2
	s_and_b32 s11, vcc_lo, exec_lo
	s_delay_alu instid0(SALU_CYCLE_1)
	s_or_b32 s10, s10, s11
	s_mov_b32 s12, -1
	s_or_b32 s6, s6, exec_lo
	s_and_saveexec_b32 s11, s10
	s_cbranch_execz .LBB4_2060
.LBB4_2064:                             ;   in Loop: Header=BB4_2061 Depth=1
	s_sleep 1
	s_trap 2
	ds_load_b64 v[2:3], v0
	s_wait_dscnt 0x0
	s_and_not1_b32 s6, s6, exec_lo
	v_cmp_ge_u64_e32 vcc_lo, v[2:3], v[0:1]
	s_or_not1_b32 s12, vcc_lo, exec_lo
	s_branch .LBB4_2060
.LBB4_2065:
	s_or_b32 exec_lo, exec_lo, s4
	s_and_saveexec_b32 s4, s5
	s_delay_alu instid0(SALU_CYCLE_1)
	s_xor_b32 s4, exec_lo, s4
	s_cbranch_execz .LBB4_2067
; %bb.2066:
	v_mov_b32_e32 v0, 1
	ds_store_b32 v0, v0
	s_trap 2
.LBB4_2067:
	s_or_b32 exec_lo, exec_lo, s3
	;;#ASMSTART
	s_wakeup
	;;#ASMEND
.LBB4_2068:
	s_or_b32 exec_lo, exec_lo, s2
.LBB4_2069:
	s_and_not1_saveexec_b32 s0, s0
	s_cbranch_execz .LBB4_2071
; %bb.2070:
	global_wb scope:SCOPE_DEV
	s_wait_storecnt 0x0
	s_wait_loadcnt_dscnt 0x0
	global_inv scope:SCOPE_DEV
	s_barrier_signal -1
	s_barrier_wait -1
.LBB4_2071:
	s_or_b32 exec_lo, exec_lo, s1
.LBB4_2072:
	s_and_not1_saveexec_b32 s21, s16
	s_cbranch_execz .LBB4_2074
; %bb.2073:
	s_get_pc_i64 s[0:1]
	s_add_nc_u64 s[0:1], s[0:1], __PRETTY_FUNCTION__._ZN10PrimitivesI12hip_bfloat1613FuncPreMulSumIS0_E12FanSymmetricILi1EELi0E11ProtoSimpleILi1ELi1ELi0ELi1ELi0ELi0EELi0ELb0ELi0ELi1ELi0EEC2EiiPKiS9_PKvPvmhhhP15ncclDevWorkCollP14ncclDevWorkP2pii@rel64+4
	s_get_pc_i64 s[2:3]
	s_add_nc_u64 s[2:3], s[2:3], __assert_fail@rel64+4
	v_dual_mov_b32 v0, s0 :: v_dual_mov_b32 v1, s1
	s_swap_pc_i64 s[30:31], s[2:3]
	; divergent unreachable
.LBB4_2074:
	s_or_b32 exec_lo, exec_lo, s21
	s_clause 0x15
	scratch_load_b32 v77, off, s33
	scratch_load_b32 v76, off, s33 offset:4
	scratch_load_b32 v75, off, s33 offset:8
	;; [unrolled: 1-line block ×21, first 2 shown]
	v_readlane_b32 s30, v78, 0
	v_readlane_b32 s31, v78, 1
	s_mov_b32 s32, s33
	s_wait_xcnt 0x0
	s_or_saveexec_b32 s0, -1
	scratch_load_b32 v78, off, s33 offset:160 ; 4-byte Folded Reload
	s_wait_xcnt 0x0
	s_mov_b32 exec_lo, s0
	s_mov_b32 s33, s56
	s_wait_loadcnt_dscnt 0x0
	s_set_pc_i64 s[30:31]
.Lfunc_end4:
	.size	_ZN12_GLOBAL__N_17runRingI12hip_bfloat1613FuncPreMulSumIS1_E11ProtoSimpleILi1ELi1ELi0ELi1ELi0ELi0EELi0ELi1ELi1EEEviiP15ncclDevWorkColl, .Lfunc_end4-_ZN12_GLOBAL__N_17runRingI12hip_bfloat1613FuncPreMulSumIS1_E11ProtoSimpleILi1ELi1ELi0ELi1ELi0ELi0EELi0ELi1ELi1EEEviiP15ncclDevWorkColl
                                        ; -- End function
	.set .L_ZN12_GLOBAL__N_17runRingI12hip_bfloat1613FuncPreMulSumIS1_E11ProtoSimpleILi1ELi1ELi0ELi1ELi0ELi0EELi0ELi1ELi1EEEviiP15ncclDevWorkColl.num_vgpr, max(120, .L__assert_fail.num_vgpr)
	.set .L_ZN12_GLOBAL__N_17runRingI12hip_bfloat1613FuncPreMulSumIS1_E11ProtoSimpleILi1ELi1ELi0ELi1ELi0ELi0EELi0ELi1ELi1EEEviiP15ncclDevWorkColl.num_agpr, max(0, .L__assert_fail.num_agpr)
	.set .L_ZN12_GLOBAL__N_17runRingI12hip_bfloat1613FuncPreMulSumIS1_E11ProtoSimpleILi1ELi1ELi0ELi1ELi0ELi0EELi0ELi1ELi1EEEviiP15ncclDevWorkColl.numbered_sgpr, max(57, .L__assert_fail.numbered_sgpr)
	.set .L_ZN12_GLOBAL__N_17runRingI12hip_bfloat1613FuncPreMulSumIS1_E11ProtoSimpleILi1ELi1ELi0ELi1ELi0ELi0EELi0ELi1ELi1EEEviiP15ncclDevWorkColl.num_named_barrier, max(0, .L__assert_fail.num_named_barrier)
	.set .L_ZN12_GLOBAL__N_17runRingI12hip_bfloat1613FuncPreMulSumIS1_E11ProtoSimpleILi1ELi1ELi0ELi1ELi0ELi0EELi0ELi1ELi1EEEviiP15ncclDevWorkColl.private_seg_size, 176+max(.L__assert_fail.private_seg_size)
	.set .L_ZN12_GLOBAL__N_17runRingI12hip_bfloat1613FuncPreMulSumIS1_E11ProtoSimpleILi1ELi1ELi0ELi1ELi0ELi0EELi0ELi1ELi1EEEviiP15ncclDevWorkColl.uses_vcc, or(1, .L__assert_fail.uses_vcc)
	.set .L_ZN12_GLOBAL__N_17runRingI12hip_bfloat1613FuncPreMulSumIS1_E11ProtoSimpleILi1ELi1ELi0ELi1ELi0ELi0EELi0ELi1ELi1EEEviiP15ncclDevWorkColl.uses_flat_scratch, or(1, .L__assert_fail.uses_flat_scratch)
	.set .L_ZN12_GLOBAL__N_17runRingI12hip_bfloat1613FuncPreMulSumIS1_E11ProtoSimpleILi1ELi1ELi0ELi1ELi0ELi0EELi0ELi1ELi1EEEviiP15ncclDevWorkColl.has_dyn_sized_stack, or(0, .L__assert_fail.has_dyn_sized_stack)
	.set .L_ZN12_GLOBAL__N_17runRingI12hip_bfloat1613FuncPreMulSumIS1_E11ProtoSimpleILi1ELi1ELi0ELi1ELi0ELi0EELi0ELi1ELi1EEEviiP15ncclDevWorkColl.has_recursion, or(1, .L__assert_fail.has_recursion)
	.set .L_ZN12_GLOBAL__N_17runRingI12hip_bfloat1613FuncPreMulSumIS1_E11ProtoSimpleILi1ELi1ELi0ELi1ELi0ELi0EELi0ELi1ELi1EEEviiP15ncclDevWorkColl.has_indirect_call, or(0, .L__assert_fail.has_indirect_call)
	.section	.AMDGPU.csdata,"",@progbits
; Function info:
; codeLenInByte = 64524
; TotalNumSgprs: 59
; NumVgprs: 120
; ScratchSize: 240
; MemoryBound: 1
	.text
	.p2align	2                               ; -- Begin function _Z51ncclDevFunc_Reduce_RING_SIMPLE_PreMulSum_bf16_0_1_1v
	.type	_Z51ncclDevFunc_Reduce_RING_SIMPLE_PreMulSum_bf16_0_1_1v,@function
_Z51ncclDevFunc_Reduce_RING_SIMPLE_PreMulSum_bf16_0_1_1v: ; @_Z51ncclDevFunc_Reduce_RING_SIMPLE_PreMulSum_bf16_0_1_1v
; %bb.0:
	s_wait_loadcnt_dscnt 0x0
	s_wait_kmcnt 0x0
	s_mov_b32 s72, s33
	s_mov_b32 s33, s32
	s_or_saveexec_b32 s0, -1
	scratch_store_b32 off, v42, s33 offset:12 ; 4-byte Folded Spill
	s_wait_xcnt 0x0
	s_mov_b32 exec_lo, s0
	s_add_co_i32 s32, s32, 32
	s_clause 0x2
	scratch_store_b32 off, v40, s33 offset:8
	; meta instruction
	scratch_store_b32 off, v41, s33 offset:4
	; meta instruction
	scratch_store_b32 off, v78, s33
	v_writelane_b32 v42, s30, 0
	v_writelane_b32 v42, s31, 1
	s_trap 2
	ds_load_b32 v0, v0
	s_wait_xcnt 0x2
	v_mov_b32_e32 v40, v31
	s_mov_b32 s57, s12
	s_mov_b64 s[58:59], s[8:9]
	s_mov_b32 s2, exec_lo
	s_wait_xcnt 0x1
	v_and_b32_e32 v41, 0x3ff, v40
	s_wait_dscnt 0x0
	s_wait_xcnt 0x0
	s_delay_alu instid0(VALU_DEP_1)
	v_cmpx_lt_i32_e64 v41, v0
	s_cbranch_execz .LBB5_5
; %bb.1:
	s_load_b32 s0, s[58:59], 0x0
	s_bfe_u32 s1, ttmp6, 0x4000c
	s_and_b32 s3, ttmp6, 15
	s_add_co_i32 s1, s1, 1
	s_getreg_b32 s4, hwreg(HW_REG_IB_STS2, 6, 4)
	s_mul_i32 s1, ttmp9, s1
	v_mov_b32_e32 v2, v41
	s_add_co_i32 s3, s3, s1
	s_cmp_eq_u32 s4, 0
                                        ; implicit-def: $vgpr3
	s_cselect_b32 s1, ttmp9, s3
	s_mov_b32 s3, 0
	s_wait_kmcnt 0x0
	s_cmp_lt_u32 s1, s0
	s_mov_b32 s1, 0
	s_cselect_b32 s0, 12, 18
	s_delay_alu instid0(SALU_CYCLE_1)
	s_add_nc_u64 s[4:5], s[58:59], s[0:1]
	s_load_u16 s0, s[4:5], 0x0
	s_trap 2
	ds_load_b32 v1, v0
	s_wait_dscnt 0x0
	s_wait_kmcnt 0x0
	v_mul_lo_u32 v1, v1, s0
	s_branch .LBB5_3
.LBB5_2:                                ;   in Loop: Header=BB5_3 Depth=1
	s_or_b32 exec_lo, exec_lo, s4
	v_dual_add_nc_u32 v2, s0, v2 :: v_dual_add_nc_u32 v3, v3, v1
	s_delay_alu instid0(VALU_DEP_1) | instskip(SKIP_1) | instid1(SALU_CYCLE_1)
	v_cmp_ge_i32_e32 vcc_lo, v2, v0
	s_or_b32 s3, vcc_lo, s3
	s_and_not1_b32 exec_lo, exec_lo, s3
	s_cbranch_execz .LBB5_5
.LBB5_3:                                ; =>This Inner Loop Header: Depth=1
	ds_load_b32 v4, v3
	s_mov_b32 s4, exec_lo
	s_wait_dscnt 0x0
	v_and_b32_e32 v4, 0x1000000, v4
	s_delay_alu instid0(VALU_DEP_1)
	v_cmpx_ne_u32_e32 0, v4
	s_cbranch_execz .LBB5_2
; %bb.4:                                ;   in Loop: Header=BB5_3 Depth=1
	ds_load_b64 v[4:5], v3 offset:104
	s_wait_dscnt 0x0
	flat_load_u16 v4, v[4:5]
	s_wait_xcnt 0x0
	v_mov_b32_e32 v5, s1
	s_wait_loadcnt_dscnt 0x0
	v_and_b32_e32 v4, 0xffff, v4
	ds_store_b64 v3, v[4:5] offset:104
	s_branch .LBB5_2
.LBB5_5:
	s_or_b32 exec_lo, exec_lo, s2
	s_wait_storecnt_dscnt 0x0
	s_barrier_signal -1
	s_barrier_wait -1
	s_trap 2
	ds_load_b32 v0, v0
	s_wait_dscnt 0x0
	v_cmp_gt_i32_e32 vcc_lo, 1, v0
	s_cbranch_vccnz .LBB5_13
; %bb.6:
	s_mov_b32 s62, 0
	s_get_pc_i64 s[60:61]
	s_add_nc_u64 s[60:61], s[60:61], _ZN12_GLOBAL__N_17runRingI12hip_bfloat1613FuncPreMulSumIS1_E11ProtoSimpleILi1ELi1ELi0ELi1ELi0ELi0EELi0ELi1ELi1EEEviiP15ncclDevWorkColl@rel64+4
	s_branch .LBB5_8
.LBB5_7:                                ;   in Loop: Header=BB5_8 Depth=1
	s_or_b32 exec_lo, exec_lo, s63
	s_trap 2
	ds_load_b32 v0, v0
	s_add_co_i32 s62, s62, 1
	s_wait_dscnt 0x0
	v_cmp_lt_i32_e32 vcc_lo, s62, v0
	s_cbranch_vccz .LBB5_13
.LBB5_8:                                ; =>This Inner Loop Header: Depth=1
	s_trap 2
	ds_load_b32 v0, v0
	s_cmp_eq_u32 s62, 0
	s_cbranch_scc1 .LBB5_11
; %bb.9:                                ;   in Loop: Header=BB5_8 Depth=1
	s_trap 2
	s_wait_dscnt 0x0
	ds_load_b32 v1, v0
	s_wait_dscnt 0x0
	v_xor_b32_e32 v1, v1, v0
	s_delay_alu instid0(VALU_DEP_1) | instskip(NEXT) | instid1(VALU_DEP_1)
	v_and_b32_e32 v1, 0xff0000, v1
	v_cmp_eq_u32_e32 vcc_lo, 0, v1
	s_cbranch_vccnz .LBB5_11
; %bb.10:                               ;   in Loop: Header=BB5_8 Depth=1
	s_barrier_signal -1
	s_barrier_wait -1
	ds_load_b32 v0, v0
.LBB5_11:                               ;   in Loop: Header=BB5_8 Depth=1
	s_wait_dscnt 0x0
	v_lshrrev_b32_e32 v0, 11, v0
	s_mov_b32 s63, exec_lo
	s_delay_alu instid0(VALU_DEP_1) | instskip(NEXT) | instid1(VALU_DEP_1)
	v_and_b32_e32 v1, 0x1fe0, v0
	v_cmpx_lt_u32_e64 v41, v1
	s_cbranch_execz .LBB5_7
; %bb.12:                               ;   in Loop: Header=BB5_8 Depth=1
	s_mov_b64 s[0:1], src_shared_base
	v_dual_mov_b32 v31, v40 :: v_dual_mov_b32 v0, v41
	v_mov_b32_e32 v3, s1
	s_mov_b64 s[8:9], s[58:59]
	s_mov_b32 s12, s57
	s_swap_pc_i64 s[30:31], s[60:61]
	s_branch .LBB5_7
.LBB5_13:
	s_clause 0x2
	scratch_load_b32 v78, off, s33
	scratch_load_b32 v41, off, s33 offset:4
	scratch_load_b32 v40, off, s33 offset:8
	v_readlane_b32 s30, v42, 0
	v_readlane_b32 s31, v42, 1
	s_mov_b32 s32, s33
	s_wait_xcnt 0x0
	s_or_saveexec_b32 s0, -1
	scratch_load_b32 v42, off, s33 offset:12 ; 4-byte Folded Reload
	s_wait_xcnt 0x0
	s_mov_b32 exec_lo, s0
	s_mov_b32 s33, s72
	s_wait_loadcnt 0x0
	s_set_pc_i64 s[30:31]
.Lfunc_end5:
	.size	_Z51ncclDevFunc_Reduce_RING_SIMPLE_PreMulSum_bf16_0_1_1v, .Lfunc_end5-_Z51ncclDevFunc_Reduce_RING_SIMPLE_PreMulSum_bf16_0_1_1v
                                        ; -- End function
	.set .L_Z51ncclDevFunc_Reduce_RING_SIMPLE_PreMulSum_bf16_0_1_1v.num_vgpr, max(79, .L_ZN12_GLOBAL__N_17runRingI12hip_bfloat1613FuncPreMulSumIS1_E11ProtoSimpleILi1ELi1ELi0ELi1ELi0ELi0EELi0ELi1ELi1EEEviiP15ncclDevWorkColl.num_vgpr)
	.set .L_Z51ncclDevFunc_Reduce_RING_SIMPLE_PreMulSum_bf16_0_1_1v.num_agpr, max(0, .L_ZN12_GLOBAL__N_17runRingI12hip_bfloat1613FuncPreMulSumIS1_E11ProtoSimpleILi1ELi1ELi0ELi1ELi0ELi0EELi0ELi1ELi1EEEviiP15ncclDevWorkColl.num_agpr)
	.set .L_Z51ncclDevFunc_Reduce_RING_SIMPLE_PreMulSum_bf16_0_1_1v.numbered_sgpr, max(73, .L_ZN12_GLOBAL__N_17runRingI12hip_bfloat1613FuncPreMulSumIS1_E11ProtoSimpleILi1ELi1ELi0ELi1ELi0ELi0EELi0ELi1ELi1EEEviiP15ncclDevWorkColl.numbered_sgpr)
	.set .L_Z51ncclDevFunc_Reduce_RING_SIMPLE_PreMulSum_bf16_0_1_1v.num_named_barrier, max(0, .L_ZN12_GLOBAL__N_17runRingI12hip_bfloat1613FuncPreMulSumIS1_E11ProtoSimpleILi1ELi1ELi0ELi1ELi0ELi0EELi0ELi1ELi1EEEviiP15ncclDevWorkColl.num_named_barrier)
	.set .L_Z51ncclDevFunc_Reduce_RING_SIMPLE_PreMulSum_bf16_0_1_1v.private_seg_size, 32+max(.L_ZN12_GLOBAL__N_17runRingI12hip_bfloat1613FuncPreMulSumIS1_E11ProtoSimpleILi1ELi1ELi0ELi1ELi0ELi0EELi0ELi1ELi1EEEviiP15ncclDevWorkColl.private_seg_size)
	.set .L_Z51ncclDevFunc_Reduce_RING_SIMPLE_PreMulSum_bf16_0_1_1v.uses_vcc, or(1, .L_ZN12_GLOBAL__N_17runRingI12hip_bfloat1613FuncPreMulSumIS1_E11ProtoSimpleILi1ELi1ELi0ELi1ELi0ELi0EELi0ELi1ELi1EEEviiP15ncclDevWorkColl.uses_vcc)
	.set .L_Z51ncclDevFunc_Reduce_RING_SIMPLE_PreMulSum_bf16_0_1_1v.uses_flat_scratch, or(1, .L_ZN12_GLOBAL__N_17runRingI12hip_bfloat1613FuncPreMulSumIS1_E11ProtoSimpleILi1ELi1ELi0ELi1ELi0ELi0EELi0ELi1ELi1EEEviiP15ncclDevWorkColl.uses_flat_scratch)
	.set .L_Z51ncclDevFunc_Reduce_RING_SIMPLE_PreMulSum_bf16_0_1_1v.has_dyn_sized_stack, or(0, .L_ZN12_GLOBAL__N_17runRingI12hip_bfloat1613FuncPreMulSumIS1_E11ProtoSimpleILi1ELi1ELi0ELi1ELi0ELi0EELi0ELi1ELi1EEEviiP15ncclDevWorkColl.has_dyn_sized_stack)
	.set .L_Z51ncclDevFunc_Reduce_RING_SIMPLE_PreMulSum_bf16_0_1_1v.has_recursion, or(1, .L_ZN12_GLOBAL__N_17runRingI12hip_bfloat1613FuncPreMulSumIS1_E11ProtoSimpleILi1ELi1ELi0ELi1ELi0ELi0EELi0ELi1ELi1EEEviiP15ncclDevWorkColl.has_recursion)
	.set .L_Z51ncclDevFunc_Reduce_RING_SIMPLE_PreMulSum_bf16_0_1_1v.has_indirect_call, or(0, .L_ZN12_GLOBAL__N_17runRingI12hip_bfloat1613FuncPreMulSumIS1_E11ProtoSimpleILi1ELi1ELi0ELi1ELi0ELi0EELi0ELi1ELi1EEEviiP15ncclDevWorkColl.has_indirect_call)
	.section	.AMDGPU.csdata,"",@progbits
; Function info:
; codeLenInByte = 756
; TotalNumSgprs: 75
; NumVgprs: 120
; ScratchSize: 272
; MemoryBound: 0
	.text
	.p2align	2                               ; -- Begin function _ZN12_GLOBAL__N_17runRingI12hip_bfloat1613FuncPreMulSumIS1_E11ProtoSimpleILi1ELi1ELi0ELi2ELi0ELi0EELi0ELi2ELi0EEEviiP15ncclDevWorkColl
	.type	_ZN12_GLOBAL__N_17runRingI12hip_bfloat1613FuncPreMulSumIS1_E11ProtoSimpleILi1ELi1ELi0ELi2ELi0ELi0EELi0ELi2ELi0EEEviiP15ncclDevWorkColl,@function
_ZN12_GLOBAL__N_17runRingI12hip_bfloat1613FuncPreMulSumIS1_E11ProtoSimpleILi1ELi1ELi0ELi2ELi0ELi0EELi0ELi2ELi0EEEviiP15ncclDevWorkColl: ; @_ZN12_GLOBAL__N_17runRingI12hip_bfloat1613FuncPreMulSumIS1_E11ProtoSimpleILi1ELi1ELi0ELi2ELi0ELi0EELi0ELi2ELi0EEEviiP15ncclDevWorkColl
; %bb.0:
	s_wait_loadcnt_dscnt 0x0
	s_wait_kmcnt 0x0
	s_mov_b32 s43, s33
	s_mov_b32 s33, s32
	s_or_saveexec_b32 s0, -1
	scratch_store_b32 off, v76, s33 offset:80 ; 4-byte Folded Spill
	s_wait_xcnt 0x0
	s_mov_b32 exec_lo, s0
	s_addk_co_i32 s32, 0x60
	s_clause 0x13
	scratch_store_b32 off, v40, s33 offset:76
	; meta instruction
	scratch_store_b32 off, v41, s33 offset:72
	; meta instruction
	;; [unrolled: 2-line block ×19, first 2 shown]
	scratch_store_b32 off, v75, s33
	v_writelane_b32 v76, s30, 0
	v_writelane_b32 v76, s31, 1
	s_trap 2
	ds_load_b64 v[14:15], v0
	ds_load_b32 v9, v0
	flat_load_b64 v[6:7], v[2:3]
                                        ; implicit-def: $vgpr28_vgpr29
                                        ; implicit-def: $vgpr4_vgpr5
                                        ; implicit-def: $vgpr18_vgpr19
	s_wait_dscnt 0x2
	v_readfirstlane_b32 s0, v14
	v_readfirstlane_b32 s1, v15
	flat_load_u16 v17, v[2:3] offset:8
	flat_load_b32 v25, v15, s[0:1] offset:-4 scale_offset
	s_wait_xcnt 0x0
	s_mov_b32 s0, exec_lo
	s_wait_loadcnt_dscnt 0x202
	v_and_b32_e32 v8, 0xff, v6
	v_mov_b32_e32 v16, v7
	s_delay_alu instid0(VALU_DEP_2)
	v_cmpx_ne_u32_e64 v9, v8
	s_xor_b32 s0, exec_lo, s0
	s_cbranch_execz .LBB6_6
; %bb.1:
	v_bfe_u32 v10, v6, 8, 8
	v_not_b32_e32 v8, v8
	s_mov_b32 s1, exec_lo
                                        ; implicit-def: $vgpr28_vgpr29
                                        ; implicit-def: $vgpr4_vgpr5
                                        ; implicit-def: $vgpr18_vgpr19
	s_delay_alu instid0(VALU_DEP_2)
	v_cmpx_ne_u32_e64 v9, v10
	s_xor_b32 s1, exec_lo, s1
	s_cbranch_execz .LBB6_3
; %bb.2:
	s_clause 0x1
	flat_load_b128 v[4:7], v[2:3] offset:72
	flat_load_b64 v[10:11], v[2:3] offset:96
	v_add_nc_u32_e32 v8, v9, v8
	s_wait_loadcnt_dscnt 0x101
	s_delay_alu instid0(VALU_DEP_1) | instskip(SKIP_3) | instid1(VALU_DEP_3)
	v_mad_nc_u64_u32 v[18:19], v6, v8, v[4:5]
	v_ashrrev_i32_e32 v5, 31, v8
	s_wait_loadcnt_dscnt 0x0
	v_lshrrev_b64 v[28:29], 13, v[10:11]
                                        ; implicit-def: $vgpr10
	v_mad_u32 v4, v7, v8, v19
                                        ; implicit-def: $vgpr8
	s_delay_alu instid0(VALU_DEP_1)
	v_mad_u32 v19, v6, v5, v4
	v_mov_b64_e32 v[4:5], v[6:7]
.LBB6_3:
	s_wait_xcnt 0x0
	s_and_not1_saveexec_b32 s1, s1
	s_cbranch_execz .LBB6_5
; %bb.4:
	s_clause 0x1
	flat_load_b128 v[18:21], v[2:3] offset:72
	flat_load_b128 v[4:7], v[2:3] offset:88
	s_wait_loadcnt_dscnt 0x0
	v_dual_add_nc_u32 v6, v10, v8 :: v_dual_lshrrev_b32 v28, 2, v7
	s_delay_alu instid0(VALU_DEP_1) | instskip(NEXT) | instid1(VALU_DEP_1)
	v_mad_nc_u64_u32 v[18:19], v20, v6, v[18:19]
	v_mad_u32 v8, v21, v6, v19
	v_ashrrev_i32_e32 v6, 31, v6
	s_delay_alu instid0(VALU_DEP_1)
	v_mad_u32 v19, v20, v6, v8
.LBB6_5:
	s_wait_xcnt 0x0
	s_or_b32 exec_lo, exec_lo, s1
.LBB6_6:
	s_and_not1_saveexec_b32 s0, s0
	s_cbranch_execz .LBB6_8
; %bb.7:
	s_clause 0x1
	flat_load_b64 v[6:7], v[2:3] offset:96
	flat_load_b64 v[4:5], v[2:3] offset:72
	v_mov_b64_e32 v[18:19], 0
	s_wait_loadcnt_dscnt 0x101
	v_lshlrev_b64_e32 v[28:29], 8, v[6:7]
.LBB6_8:
	s_wait_xcnt 0x0
	s_or_b32 exec_lo, exec_lo, s0
	s_trap 2
	ds_load_b64 v[6:7], v0
	s_mov_b32 s1, 0
	s_mov_b32 s2, exec_lo
	s_wait_dscnt 0x0
	v_cmp_ne_u32_e32 vcc_lo, -1, v6
	v_cndmask_b32_e64 v50, 0, 1, vcc_lo
	v_cmp_ne_u32_e32 vcc_lo, -1, v7
	s_delay_alu instid0(VALU_DEP_2) | instskip(NEXT) | instid1(VALU_DEP_1)
	v_add_co_ci_u32_e64 v6, null, 0, v50, vcc_lo
	v_lshlrev_b32_e32 v7, 1, v6
	s_delay_alu instid0(VALU_DEP_1)
	v_cmpx_le_u32_e64 v7, v1
	s_xor_b32 s11, exec_lo, s2
	s_cbranch_execz .LBB6_1325
; %bb.9:
	s_clause 0x1
	flat_load_b128 v[10:13], v[2:3] offset:16
	flat_load_b64 v[34:35], v[2:3] offset:104
	s_trap 2
	s_load_b32 s0, s[8:9], 0x0
	s_bfe_u32 s2, ttmp6, 0x4000c
	s_and_b32 s3, ttmp6, 15
	s_add_co_i32 s2, s2, 1
	s_getreg_b32 s4, hwreg(HW_REG_IB_STS2, 6, 4)
	s_mul_i32 s2, ttmp9, s2
	v_dual_mov_b32 v2, 0 :: v_dual_mov_b32 v30, 4
	s_add_co_i32 s3, s3, s2
	s_cmp_eq_u32 s4, 0
	s_cselect_b32 s2, ttmp9, s3
	s_wait_kmcnt 0x0
	s_cmp_lt_u32 s2, s0
	s_mov_b32 s2, exec_lo
	s_cselect_b32 s0, 12, 18
	s_delay_alu instid0(SALU_CYCLE_1)
	s_add_nc_u64 s[0:1], s[8:9], s[0:1]
	global_load_u16 v15, v2, s[0:1]
	s_wait_xcnt 0x0
	ds_load_b32 v2, v0
	s_wait_dscnt 0x0
	v_readfirstlane_b32 s1, v2
	v_cmpx_ge_u32_e64 v0, v50
	s_cbranch_execz .LBB6_19
; %bb.10:
	v_cmp_ge_u32_e64 s0, v0, v6
                                        ; implicit-def: $vgpr30
	s_and_saveexec_b32 s3, s0
	s_delay_alu instid0(SALU_CYCLE_1)
	s_xor_b32 s0, exec_lo, s3
	s_cbranch_execz .LBB6_16
; %bb.11:
	v_cndmask_b32_e64 v2, 0, 1, vcc_lo
	s_mov_b32 s3, exec_lo
	s_delay_alu instid0(VALU_DEP_1) | instskip(NEXT) | instid1(VALU_DEP_1)
	v_sub_nc_u32_e32 v2, v1, v2
	v_cmpx_ge_u32_e64 v0, v2
	s_xor_b32 s3, exec_lo, s3
; %bb.12:
                                        ; implicit-def: $vgpr6
; %bb.13:
	s_delay_alu instid0(SALU_CYCLE_1)
	s_or_saveexec_b32 s3, s3
	v_mov_b32_e32 v30, 16
	s_xor_b32 exec_lo, exec_lo, s3
; %bb.14:
	v_sub_nc_u32_e32 v2, v1, v6
	s_delay_alu instid0(VALU_DEP_1)
	v_cmp_lt_i32_e32 vcc_lo, v0, v2
	v_cndmask_b32_e64 v30, 32, 0, vcc_lo
; %bb.15:
	s_or_b32 exec_lo, exec_lo, s3
.LBB6_16:
	s_and_not1_saveexec_b32 s0, s0
; %bb.17:
	v_mov_b32_e32 v30, 8
; %bb.18:
	s_or_b32 exec_lo, exec_lo, s0
.LBB6_19:
	s_delay_alu instid0(SALU_CYCLE_1) | instskip(NEXT) | instid1(VALU_DEP_1)
	s_or_b32 exec_lo, exec_lo, s2
	v_dual_mov_b32 v29, -1 :: v_dual_bitop2_b32 v2, 36, v30 bitop3:0x40
	s_delay_alu instid0(VALU_DEP_1)
	v_cmp_ne_u32_e32 vcc_lo, 0, v2
	s_and_saveexec_b32 s0, vcc_lo
	s_cbranch_execz .LBB6_21
; %bb.20:
	s_trap 2
	ds_load_b32 v29, v0
.LBB6_21:
	s_or_b32 exec_lo, exec_lo, s0
	v_and_b32_e32 v2, 24, v30
	s_mov_b32 s2, exec_lo
	s_delay_alu instid0(VALU_DEP_1)
	v_cmpx_ne_u32_e32 0, v2
	s_cbranch_execz .LBB6_23
; %bb.22:
	s_trap 2
	s_wait_dscnt 0x0
	ds_load_b32 v29, v0
.LBB6_23:
	s_or_b32 exec_lo, exec_lo, s2
	s_wait_loadcnt 0x4
	v_lshrrev_b64 v[2:3], 31, v[16:17]
	v_mov_b64_e32 v[20:21], 0
	v_mov_b64_e32 v[6:7], 0
                                        ; implicit-def: $vgpr24
                                        ; implicit-def: $vgpr32_vgpr33
                                        ; implicit-def: $vgpr26_vgpr27
                                        ; implicit-def: $vgpr22_vgpr23
	s_delay_alu instid0(VALU_DEP_3) | instskip(NEXT) | instid1(VALU_DEP_1)
	v_and_b32_e32 v2, 3, v2
	v_and_b32_e32 v17, 0xffff, v2
                                        ; implicit-def: $vgpr2_vgpr3
	s_and_saveexec_b32 s0, vcc_lo
	s_cbranch_execz .LBB6_33
; %bb.24:
	s_trap 2
	ds_load_b64 v[2:3], v0
	s_wait_dscnt 0x0
	v_readfirstlane_b32 s2, v2
	v_readfirstlane_b32 s3, v3
	flat_load_b64 v[2:3], v29, s[2:3] scale_offset
	s_wait_loadcnt_dscnt 0x0
	v_mad_nc_u64_u32 v[36:37], 0xa8, v17, v[2:3]
	flat_load_b32 v2, v[36:37] offset:640
	s_wait_loadcnt_dscnt 0x0
	v_cmp_eq_u32_e32 vcc_lo, 1, v2
                                        ; implicit-def: $vgpr2_vgpr3
	s_wait_xcnt 0x0
	s_and_saveexec_b32 s2, vcc_lo
	s_cbranch_execz .LBB6_26
; %bb.25:
	flat_load_b64 v[2:3], v[36:37] offset:648
	v_or_b32_e32 v30, 0x2000, v30
	s_wait_loadcnt_dscnt 0x0
	flat_load_b64 v[6:7], v[2:3]
	s_trap 2
	s_wait_loadcnt_dscnt 0x0
	ds_store_b64 v0, v[6:7]
	flat_load_b64 v[6:7], v[2:3] offset:8
	s_wait_loadcnt_dscnt 0x0
	ds_store_b64 v0, v[6:7]
	flat_load_b64 v[6:7], v[2:3] offset:16
	s_wait_loadcnt_dscnt 0x0
	ds_store_b64 v0, v[6:7]
.LBB6_26:
	s_wait_xcnt 0x0
	s_or_b32 exec_lo, exec_lo, s2
	flat_load_b64 v[8:9], v[36:37] offset:608
	v_and_b32_e32 v6, 32, v30
	s_mov_b32 s2, exec_lo
                                        ; implicit-def: $vgpr22_vgpr23
	s_wait_xcnt 0x0
	s_delay_alu instid0(VALU_DEP_1)
	v_cmpx_ne_u32_e32 0, v6
	s_cbranch_execz .LBB6_28
; %bb.27:
	flat_load_b64 v[22:23], v[36:37] offset:560
	global_wb scope:SCOPE_SYS
	s_wait_storecnt 0x0
	s_wait_xcnt 0x0
	s_wait_loadcnt_dscnt 0x0
	flat_store_b64 v[22:23], v[8:9] scope:SCOPE_SYS
.LBB6_28:
	s_wait_xcnt 0x0
	s_or_b32 exec_lo, exec_lo, s2
	v_and_b32_e32 v24, 4, v30
	v_add_nc_u64_e32 v[20:21], 0x1f8, v[36:37]
	v_mov_b64_e32 v[6:7], 0
                                        ; implicit-def: $vgpr32_vgpr33
                                        ; implicit-def: $vgpr26_vgpr27
	s_delay_alu instid0(VALU_DEP_3)
	v_cmp_ne_u32_e32 vcc_lo, 0, v24
                                        ; implicit-def: $vgpr24
	s_and_saveexec_b32 s2, vcc_lo
	s_cbranch_execz .LBB6_32
; %bb.29:
	v_and_b32_e32 v6, 0x800, v30
	s_mov_b32 s3, exec_lo
	s_delay_alu instid0(VALU_DEP_1)
	v_cmpx_eq_u32_e32 0, v6
	s_cbranch_execz .LBB6_31
; %bb.30:
	s_trap 2
	ds_store_b64 v0, v[20:21]
.LBB6_31:
	s_or_b32 exec_lo, exec_lo, s3
	flat_load_b64 v[22:23], v[36:37] offset:552
	s_wait_loadcnt_dscnt 0x0
	flat_load_b64 v[32:33], v[22:23] scope:SCOPE_SYS
	s_clause 0x2
	flat_load_b32 v24, v[36:37] offset:576
	flat_load_b64 v[6:7], v[36:37] offset:600
	flat_load_b64 v[26:27], v[36:37] offset:520
	s_wait_xcnt 0x0
	v_or_b32_e32 v36, 0x100, v30
	s_wait_loadcnt_dscnt 0x101
	v_cmp_eq_u64_e32 vcc_lo, 0, v[6:7]
	s_delay_alu instid0(VALU_DEP_2)
	v_dual_ashrrev_i32 v24, 1, v24 :: v_dual_cndmask_b32 v30, v36, v30, vcc_lo
.LBB6_32:
	s_or_b32 exec_lo, exec_lo, s2
.LBB6_33:
	s_delay_alu instid0(SALU_CYCLE_1) | instskip(NEXT) | instid1(VALU_DEP_1)
	s_or_b32 exec_lo, exec_lo, s0
	v_and_b32_e32 v36, 24, v30
	s_delay_alu instid0(VALU_DEP_1)
	v_cmp_ne_u32_e32 vcc_lo, 0, v36
                                        ; implicit-def: $vgpr36_vgpr37
	s_and_saveexec_b32 s0, vcc_lo
	s_cbranch_execz .LBB6_41
; %bb.34:
	s_trap 2
	ds_load_b64 v[6:7], v0
                                        ; implicit-def: $vgpr36_vgpr37
	s_wait_dscnt 0x0
	v_readfirstlane_b32 s2, v6
	v_readfirstlane_b32 s3, v7
	flat_load_b64 v[6:7], v29, s[2:3] scale_offset
	s_wait_xcnt 0x0
	s_mov_b32 s2, exec_lo
	s_wait_loadcnt_dscnt 0x0
	v_mad_nc_u64_u32 v[20:21], 0xa8, v17, v[6:7]
	v_or_b32_e32 v17, 0x100, v30
	flat_load_b128 v[6:9], v[20:21] offset:96
	s_wait_loadcnt_dscnt 0x0
	v_cmp_eq_u64_e32 vcc_lo, 0, v[6:7]
	v_cndmask_b32_e32 v30, v17, v30, vcc_lo
	s_delay_alu instid0(VALU_DEP_1) | instskip(SKIP_1) | instid1(VALU_DEP_1)
	v_and_b32_e32 v17, 16, v30
	s_wait_xcnt 0x0
	v_cmpx_ne_u32_e32 0, v17
	s_cbranch_execz .LBB6_36
; %bb.35:
	s_clause 0x2
	flat_load_b64 v[22:23], v[20:21] offset:48
	flat_load_b64 v[36:37], v[20:21] offset:120
	;; [unrolled: 1-line block ×3, first 2 shown]
.LBB6_36:
	s_wait_xcnt 0x0
	s_or_b32 exec_lo, exec_lo, s2
	v_and_b32_e32 v17, 8, v30
	s_mov_b32 s2, exec_lo
	s_delay_alu instid0(VALU_DEP_1)
	v_cmpx_ne_u32_e32 0, v17
	s_cbranch_execz .LBB6_40
; %bb.37:
	v_and_b32_e32 v17, 0x800, v30
	s_mov_b32 s3, exec_lo
	s_delay_alu instid0(VALU_DEP_1)
	v_cmpx_eq_u32_e32 0, v17
	s_cbranch_execz .LBB6_39
; %bb.38:
	s_trap 2
	ds_store_b64 v0, v[20:21]
.LBB6_39:
	s_or_b32 exec_lo, exec_lo, s3
	s_wait_loadcnt_dscnt 0x202
	flat_load_b64 v[22:23], v[20:21] offset:56
	s_wait_loadcnt_dscnt 0x0
	flat_load_b64 v[32:33], v[22:23] scope:SCOPE_SYS
	s_clause 0x1
	flat_load_b32 v17, v[20:21] offset:72
	flat_load_b64 v[26:27], v[20:21] offset:16
	s_wait_loadcnt_dscnt 0x101
	v_ashrrev_i32_e32 v24, 1, v17
.LBB6_40:
	s_wait_xcnt 0x0
	s_or_b32 exec_lo, exec_lo, s2
.LBB6_41:
	s_delay_alu instid0(SALU_CYCLE_1)
	s_or_b32 exec_lo, exec_lo, s0
	v_cmp_eq_u32_e64 s0, 0, v0
	s_and_saveexec_b32 s2, s0
	s_cbranch_execz .LBB6_43
; %bb.42:
	v_mov_b64_e32 v[38:39], 0
	s_wait_loadcnt 0x2
	ds_store_2addr_b64 v0, v[12:13], v[10:11] offset1:1
	s_trap 2
	ds_store_b64 v0, v[38:39]
	s_wait_loadcnt 0x1
	ds_store_b64 v0, v[34:35]
.LBB6_43:
	s_or_b32 exec_lo, exec_lo, s2
	s_ashr_i32 s2, s1, 31
	s_wait_loadcnt 0x1
	v_and_b32_e32 v34, 0x1fffff00, v28
	s_lshr_b32 s2, s2, 29
	v_bfe_u32 v10, v16, 1, 30
	v_mov_b32_e32 v35, 0
	s_wait_loadcnt 0x0
	v_and_b32_e32 v98, 0xffff, v15
	s_add_co_i32 s1, s1, s2
                                        ; implicit-def: $vgpr28_vgpr29
	s_delay_alu instid0(SALU_CYCLE_1)
	s_ashr_i32 s10, s1, 4
	s_mov_b32 s1, exec_lo
	v_cmpx_ne_u32_e64 v25, v10
	s_xor_b32 s12, exec_lo, s1
	s_cbranch_execz .LBB6_921
; %bb.44:
                                        ; implicit-def: $vgpr28_vgpr29
	s_mov_b32 s1, exec_lo
	v_cmpx_ne_u32_e64 v14, v10
	s_xor_b32 s13, exec_lo, s1
	s_cbranch_execz .LBB6_488
; %bb.45:
	s_wait_dscnt 0x0
	v_mov_b64_e32 v[28:29], 0
	s_mov_b32 s14, exec_lo
	v_cmpx_ne_u64_e32 0, v[4:5]
	s_cbranch_execz .LBB6_487
; %bb.46:
	v_dual_ashrrev_i32 v25, 31, v24 :: v_dual_bitop2_b32 v10, 31, v31 bitop3:0x40
	v_dual_lshrrev_b32 v99, 5, v0 :: v_dual_mov_b32 v39, 0
	v_dual_lshrrev_b32 v48, 5, v1 :: v_dual_bitop2_b32 v100, 31, v0 bitop3:0x40
	s_delay_alu instid0(VALU_DEP_3) | instskip(NEXT) | instid1(VALU_DEP_3)
	v_cmp_eq_u32_e64 s4, 0, v10
	v_dual_mov_b32 v51, v39 :: v_dual_lshlrev_b32 v10, 10, v99
	s_delay_alu instid0(VALU_DEP_3)
	v_cmp_le_u32_e64 s5, v100, v50
	v_cmp_lt_u32_e64 s6, v100, v50
	s_lshr_b32 s2, s10, 27
	v_lshl_or_b32 v50, v100, 4, v10
	v_lshlrev_b32_e32 v10, 1, v1
	v_cmp_eq_u64_e64 s7, 0, v[36:37]
	s_add_co_i32 s2, s10, s2
	v_cmp_eq_u32_e32 vcc_lo, 32, v1
	v_mov_b64_e32 v[66:67], 0
	v_mov_b64_e32 v[68:69], 0
	;; [unrolled: 1-line block ×3, first 2 shown]
	v_cmp_ge_u32_e64 s1, v0, v1
	s_ashr_i32 s15, s2, 5
	v_cmp_ne_u32_e64 s2, 32, v1
	v_cmp_ne_u32_e64 s3, v1, v98
	v_dual_mov_b32 v49, v39 :: v_dual_lshlrev_b32 v52, 10, v48
	v_dual_mov_b32 v53, v39 :: v_dual_lshlrev_b32 v54, 9, v48
	v_mov_b32_e32 v55, v39
	v_and_b32_e32 v64, 0x3fc0, v10
	v_dual_mov_b32 v65, v39 :: v_dual_mov_b32 v101, 1
	v_mov_b32_e32 v102, 0x90
	s_mov_b32 s16, 0
	s_xor_b32 s17, vcc_lo, -1
	s_xor_b32 s18, s7, -1
	s_trap 2
	s_branch .LBB6_49
.LBB6_47:                               ;   in Loop: Header=BB6_49 Depth=1
	s_wait_xcnt 0x0
	s_or_b32 exec_lo, exec_lo, s7
.LBB6_48:                               ;   in Loop: Header=BB6_49 Depth=1
	s_delay_alu instid0(SALU_CYCLE_1) | instskip(SKIP_1) | instid1(VALU_DEP_1)
	s_or_b32 exec_lo, exec_lo, s20
	v_add_nc_u64_e32 v[68:69], v[68:69], v[34:35]
	v_cmp_ge_u64_e32 vcc_lo, v[68:69], v[4:5]
	s_or_b32 s16, vcc_lo, s16
	s_delay_alu instid0(SALU_CYCLE_1)
	s_and_not1_b32 exec_lo, exec_lo, s16
	s_cbranch_execz .LBB6_486
.LBB6_49:                               ; =>This Loop Header: Depth=1
                                        ;     Child Loop BB6_58 Depth 2
                                        ;     Child Loop BB6_86 Depth 2
	;; [unrolled: 1-line block ×10, first 2 shown]
	v_sub_nc_u64_e32 v[10:11], v[4:5], v[68:69]
	s_delay_alu instid0(VALU_DEP_1) | instskip(NEXT) | instid1(VALU_DEP_1)
	v_min_u64 v[70:71], v[34:35], v[10:11]
	v_add_nc_u32_e32 v10, 15, v70
	s_delay_alu instid0(VALU_DEP_2) | instskip(NEXT) | instid1(VALU_DEP_2)
	v_cmp_eq_u64_e32 vcc_lo, 0, v[70:71]
	v_and_b32_e32 v10, 0x3ffffff0, v10
	s_or_b32 s19, s1, vcc_lo
	s_delay_alu instid0(SALU_CYCLE_1) | instskip(NEXT) | instid1(VALU_DEP_1)
	s_xor_b32 s7, s19, -1
	v_dual_mov_b32 v10, 0 :: v_dual_max_i32 v71, s15, v10
	s_and_saveexec_b32 s20, s7
	s_cbranch_execz .LBB6_434
; %bb.50:                               ;   in Loop: Header=BB6_49 Depth=1
	s_and_saveexec_b32 s7, s0
	s_cbranch_execz .LBB6_52
; %bb.51:                               ;   in Loop: Header=BB6_49 Depth=1
	s_trap 2
	ds_load_b64 v[10:11], v0
	s_wait_dscnt 0x0
	v_lshl_add_u64 v[10:11], v[18:19], 1, v[10:11]
	s_delay_alu instid0(VALU_DEP_1)
	v_lshl_add_u64 v[10:11], v[68:69], 1, v[10:11]
	ds_store_b64 v0, v[10:11]
	ds_store_b64 v0, v[66:67]
.LBB6_52:                               ;   in Loop: Header=BB6_49 Depth=1
	s_or_b32 exec_lo, exec_lo, s7
	v_and_b32_e32 v10, 12, v30
	v_min_u32_e32 v71, v71, v70
	s_mov_b32 s21, exec_lo
	s_delay_alu instid0(VALU_DEP_2)
	v_cmpx_ne_u32_e32 0, v10
	s_cbranch_execz .LBB6_78
; %bb.53:                               ;   in Loop: Header=BB6_49 Depth=1
	v_and_b32_e32 v38, 8, v30
	v_add_nc_u64_e32 v[10:11], 1, v[8:9]
	s_mov_b32 s22, exec_lo
	s_wait_loadcnt 0x0
	s_delay_alu instid0(VALU_DEP_2) | instskip(NEXT) | instid1(VALU_DEP_1)
	v_add_nc_u64_e32 v[12:13], v[32:33], v[38:39]
	v_cmpx_lt_u64_e64 v[12:13], v[10:11]
	s_cbranch_execz .LBB6_65
; %bb.54:                               ;   in Loop: Header=BB6_49 Depth=1
	v_and_b32_e32 v9, 64, v30
	s_mov_b32 s23, 0
	s_mov_b32 s27, 0
                                        ; implicit-def: $sgpr24
                                        ; implicit-def: $sgpr25
                                        ; implicit-def: $sgpr26
	s_delay_alu instid0(VALU_DEP_1)
	v_cmp_eq_u32_e32 vcc_lo, 0, v9
	s_branch .LBB6_58
.LBB6_55:                               ;   in Loop: Header=BB6_58 Depth=2
	s_wait_loadcnt_dscnt 0x0
	v_add_nc_u64_e32 v[12:13], v[32:33], v[38:39]
	s_or_b32 s40, s40, exec_lo
	s_delay_alu instid0(VALU_DEP_1)
	v_cmp_ge_u64_e64 s7, v[12:13], v[10:11]
	s_or_not1_b32 s29, s7, exec_lo
.LBB6_56:                               ;   in Loop: Header=BB6_58 Depth=2
	s_or_b32 exec_lo, exec_lo, s42
	s_delay_alu instid0(SALU_CYCLE_1)
	s_and_not1_b32 s7, s26, exec_lo
	s_and_b32 s26, s40, exec_lo
	s_and_not1_b32 s25, s25, exec_lo
	s_and_b32 s29, s29, exec_lo
	s_or_b32 s26, s7, s26
	s_or_b32 s25, s25, s29
.LBB6_57:                               ;   in Loop: Header=BB6_58 Depth=2
	s_or_b32 exec_lo, exec_lo, s28
	s_delay_alu instid0(SALU_CYCLE_1) | instskip(NEXT) | instid1(SALU_CYCLE_1)
	s_and_b32 s7, exec_lo, s25
	s_or_b32 s23, s7, s23
	s_and_not1_b32 s7, s24, exec_lo
	s_and_b32 s24, s26, exec_lo
	s_delay_alu instid0(SALU_CYCLE_1)
	s_or_b32 s24, s7, s24
	s_and_not1_b32 exec_lo, exec_lo, s23
	s_cbranch_execz .LBB6_62
.LBB6_58:                               ;   Parent Loop BB6_49 Depth=1
                                        ; =>  This Inner Loop Header: Depth=2
	s_sleep 1
	s_wait_loadcnt_dscnt 0x0
	flat_load_b64 v[32:33], v[22:23] scope:SCOPE_SYS
	s_or_b32 s26, s26, exec_lo
	s_or_b32 s25, s25, exec_lo
                                        ; implicit-def: $vgpr9
	s_wait_xcnt 0x0
	s_and_saveexec_b32 s28, vcc_lo
	s_cbranch_execz .LBB6_57
; %bb.59:                               ;   in Loop: Header=BB6_58 Depth=2
	s_cmp_lt_i32 s27, 0x270f
	s_mov_b32 s29, -1
	s_cselect_b32 s41, -1, 0
	s_cmp_gt_i32 s27, 0x270e
	s_cbranch_scc0 .LBB6_61
; %bb.60:                               ;   in Loop: Header=BB6_58 Depth=2
	s_trap 2
	ds_load_b64 v[12:13], v0
	s_and_not1_b32 s27, s41, exec_lo
	s_mov_b32 s40, 0
	s_wait_storecnt 0x0
	s_wait_loadcnt_dscnt 0x0
	flat_load_b32 v9, v[12:13] scope:SCOPE_SYS
	s_wait_loadcnt_dscnt 0x0
	global_inv scope:SCOPE_SYS
	v_cmp_eq_u32_e64 s7, 0, v9
	s_and_b32 s7, s7, exec_lo
	s_delay_alu instid0(SALU_CYCLE_1)
	s_or_b32 s41, s27, s7
	s_mov_b32 s27, 0
	s_and_saveexec_b32 s42, s41
	s_cbranch_execz .LBB6_56
	s_branch .LBB6_55
.LBB6_61:                               ;   in Loop: Header=BB6_58 Depth=2
	s_add_co_i32 s27, s27, 1
	s_mov_b32 s40, -1
                                        ; implicit-def: $vgpr9
	s_and_saveexec_b32 s42, s41
	s_cbranch_execz .LBB6_56
	s_branch .LBB6_55
.LBB6_62:                               ;   in Loop: Header=BB6_49 Depth=1
	s_or_b32 exec_lo, exec_lo, s23
	s_xor_b32 s7, s24, -1
	s_delay_alu instid0(SALU_CYCLE_1) | instskip(NEXT) | instid1(SALU_CYCLE_1)
	s_and_saveexec_b32 s23, s7
	s_xor_b32 s7, exec_lo, s23
	s_cbranch_execz .LBB6_64
; %bb.63:                               ;   in Loop: Header=BB6_49 Depth=1
	v_or_b32_e32 v30, 64, v30
	s_wait_storecnt 0x0
	s_wait_loadcnt_dscnt 0x0
	ds_store_b32 v0, v9
	s_trap 2
.LBB6_64:                               ;   in Loop: Header=BB6_49 Depth=1
	s_or_b32 exec_lo, exec_lo, s7
.LBB6_65:                               ;   in Loop: Header=BB6_49 Depth=1
	s_delay_alu instid0(SALU_CYCLE_1) | instskip(SKIP_2) | instid1(VALU_DEP_1)
	s_or_b32 exec_lo, exec_lo, s22
	v_and_b32_e32 v9, 0x108, v30
	;;#ASMSTART
	s_wakeup
	;;#ASMEND
	v_cmp_ne_u32_e32 vcc_lo, 0x108, v9
	v_and_b32_e32 v8, 7, v8
	s_and_saveexec_b32 s7, vcc_lo
	s_delay_alu instid0(SALU_CYCLE_1)
	s_xor_b32 s7, exec_lo, s7
; %bb.66:                               ;   in Loop: Header=BB6_49 Depth=1
	v_mov_b32_e32 v9, v39
; %bb.67:                               ;   in Loop: Header=BB6_49 Depth=1
	s_and_not1_saveexec_b32 s7, s7
	s_cbranch_execz .LBB6_69
; %bb.68:                               ;   in Loop: Header=BB6_49 Depth=1
	v_mad_nc_u64_u32 v[12:13], v8, 24, v[6:7]
	v_dual_mov_b32 v15, v39 :: v_dual_lshlrev_b32 v14, 1, v71
	v_mov_b32_e32 v9, v39
	flat_store_b64 v[12:13], v[14:15] offset:8
.LBB6_69:                               ;   in Loop: Header=BB6_49 Depth=1
	s_wait_xcnt 0x0
	s_or_b32 exec_lo, exec_lo, s7
	v_and_b32_e32 v12, 0x100, v30
	s_mov_b32 s7, -1
	s_delay_alu instid0(VALU_DEP_1)
	v_cmp_ne_u32_e32 vcc_lo, 0, v12
                                        ; implicit-def: $vgpr12_vgpr13
	s_and_saveexec_b32 s22, vcc_lo
	s_cbranch_execz .LBB6_73
; %bb.70:                               ;   in Loop: Header=BB6_49 Depth=1
	v_mad_nc_u64_u32 v[14:15], v8, 24, v[6:7]
	s_delay_alu instid0(VALU_DEP_1)
	v_mad_u32 v15, v9, 24, v15
	flat_load_b32 v12, v[14:15]
	s_wait_loadcnt_dscnt 0x0
	v_cmp_eq_u32_e64 s7, 1, v12
	v_cmp_ne_u32_e32 vcc_lo, 1, v12
                                        ; implicit-def: $vgpr12_vgpr13
	s_wait_xcnt 0x0
	s_and_saveexec_b32 s23, s7
	s_cbranch_execz .LBB6_72
; %bb.71:                               ;   in Loop: Header=BB6_49 Depth=1
	flat_load_b32 v12, v[14:15] offset:4 scope:SCOPE_SYS
	s_wait_loadcnt_dscnt 0x0
	v_ashrrev_i32_e32 v13, 31, v12
	s_delay_alu instid0(VALU_DEP_1)
	v_lshrrev_b64 v[12:13], 1, v[12:13]
.LBB6_72:                               ;   in Loop: Header=BB6_49 Depth=1
	s_wait_xcnt 0x0
	s_or_b32 exec_lo, exec_lo, s23
	s_delay_alu instid0(SALU_CYCLE_1)
	s_or_not1_b32 s7, vcc_lo, exec_lo
.LBB6_73:                               ;   in Loop: Header=BB6_49 Depth=1
	s_or_b32 exec_lo, exec_lo, s22
	s_and_saveexec_b32 s22, s7
; %bb.74:                               ;   in Loop: Header=BB6_49 Depth=1
	v_mul_u64_e32 v[12:13], v[8:9], v[24:25]
; %bb.75:                               ;   in Loop: Header=BB6_49 Depth=1
	s_or_b32 exec_lo, exec_lo, s22
	v_cmp_eq_u32_e32 vcc_lo, 0, v38
	v_and_b32_e32 v15, 0x2000, v30
	s_delay_alu instid0(VALU_DEP_3) | instskip(SKIP_2) | instid1(VALU_DEP_1)
	v_lshl_add_u64 v[8:9], v[12:13], 1, v[26:27]
	s_mov_b32 s7, exec_lo
	v_cndmask_b32_e32 v14, 0xc8, v102, vcc_lo
	v_add_nc_u32_e32 v12, v0, v14
	ds_store_b64 v12, v[8:9] offset:584
	v_cmpx_ne_u32_e32 0, v15
	s_cbranch_execz .LBB6_77
; %bb.76:                               ;   in Loop: Header=BB6_49 Depth=1
	ds_load_b64 v[8:9], v0 offset:872
	s_wait_dscnt 0x0
	v_add_nc_u64_e32 v[8:9], 1, v[8:9]
	ds_store_b64 v0, v[8:9] offset:872
.LBB6_77:                               ;   in Loop: Header=BB6_49 Depth=1
	s_or_b32 exec_lo, exec_lo, s7
	v_mov_b64_e32 v[8:9], v[10:11]
.LBB6_78:                               ;   in Loop: Header=BB6_49 Depth=1
	s_or_b32 exec_lo, exec_lo, s21
	s_and_saveexec_b32 s7, s2
	s_cbranch_execz .LBB6_97
; %bb.79:                               ;   in Loop: Header=BB6_49 Depth=1
	s_and_saveexec_b32 s21, s3
	s_delay_alu instid0(SALU_CYCLE_1)
	s_xor_b32 s21, exec_lo, s21
	s_cbranch_execz .LBB6_94
; %bb.80:                               ;   in Loop: Header=BB6_49 Depth=1
	s_and_saveexec_b32 s22, s4
	s_cbranch_execz .LBB6_93
; %bb.81:                               ;   in Loop: Header=BB6_49 Depth=1
	s_mov_b32 s24, exec_lo
	s_mov_b32 s23, exec_lo
	v_mbcnt_lo_u32_b32 v10, s24, 0
	global_wb scope:SCOPE_DEV
	s_wait_storecnt 0x0
	s_wait_loadcnt_dscnt 0x0
	global_inv scope:SCOPE_DEV
	v_cmpx_eq_u32_e32 0, v10
	s_cbranch_execz .LBB6_83
; %bb.82:                               ;   in Loop: Header=BB6_49 Depth=1
	s_bcnt1_i32_b32 s24, s24
	s_delay_alu instid0(SALU_CYCLE_1)
	v_mov_b32_e32 v38, s24
	s_wait_loadcnt 0x0
	ds_add_u64 v0, v[38:39]
	s_trap 2
.LBB6_83:                               ;   in Loop: Header=BB6_49 Depth=1
	s_or_b32 exec_lo, exec_lo, s23
	s_trap 2
	ds_load_b64 v[10:11], v0
	s_wait_dscnt 0x0
	v_add_nc_u64_e32 v[28:29], v[28:29], v[48:49]
	s_mov_b32 s23, exec_lo
	s_delay_alu instid0(VALU_DEP_1)
	v_cmpx_lt_u64_e64 v[10:11], v[28:29]
	s_cbranch_execz .LBB6_92
; %bb.84:                               ;   in Loop: Header=BB6_49 Depth=1
	s_mov_b32 s24, 0
	s_mov_b32 s27, 0
                                        ; implicit-def: $sgpr25
                                        ; implicit-def: $sgpr26
	s_branch .LBB6_86
.LBB6_85:                               ;   in Loop: Header=BB6_86 Depth=2
	s_or_b32 exec_lo, exec_lo, s29
	s_delay_alu instid0(SALU_CYCLE_1) | instskip(NEXT) | instid1(SALU_CYCLE_1)
	s_and_b32 s28, exec_lo, s40
	s_or_b32 s24, s28, s24
	s_and_not1_b32 s25, s25, exec_lo
	s_and_b32 s28, s26, exec_lo
	s_delay_alu instid0(SALU_CYCLE_1)
	s_or_b32 s25, s25, s28
	s_and_not1_b32 exec_lo, exec_lo, s24
	s_cbranch_execz .LBB6_90
.LBB6_86:                               ;   Parent Loop BB6_49 Depth=1
                                        ; =>  This Inner Loop Header: Depth=2
	s_add_co_i32 s27, s27, 1
	s_delay_alu instid0(SALU_CYCLE_1) | instskip(SKIP_1) | instid1(SALU_CYCLE_1)
	s_cmp_lg_u32 s27, 0x2710
	s_cselect_b32 s28, -1, 0
	s_and_b32 vcc_lo, exec_lo, s28
	s_cbranch_vccz .LBB6_88
; %bb.87:                               ;   in Loop: Header=BB6_86 Depth=2
	s_mov_b32 s40, -1
	s_or_b32 s26, s26, exec_lo
	s_and_saveexec_b32 s29, s28
	s_cbranch_execz .LBB6_85
	s_branch .LBB6_89
.LBB6_88:                               ;   in Loop: Header=BB6_86 Depth=2
	s_trap 2
	ds_load_b64 v[10:11], v0
	s_and_not1_b32 s28, s28, exec_lo
	s_mov_b32 s27, 0
	s_wait_loadcnt_dscnt 0x0
	flat_load_b32 v10, v[10:11] scope:SCOPE_SYS
	s_wait_loadcnt_dscnt 0x0
	global_inv scope:SCOPE_SYS
	v_cmp_eq_u32_e32 vcc_lo, 0, v10
	s_and_b32 s29, vcc_lo, exec_lo
	s_delay_alu instid0(SALU_CYCLE_1)
	s_or_b32 s28, s28, s29
	s_mov_b32 s40, -1
	s_or_b32 s26, s26, exec_lo
	s_and_saveexec_b32 s29, s28
	s_cbranch_execz .LBB6_85
.LBB6_89:                               ;   in Loop: Header=BB6_86 Depth=2
	s_sleep 1
	s_trap 2
	ds_load_b64 v[10:11], v0
	s_wait_dscnt 0x0
	s_and_not1_b32 s26, s26, exec_lo
	v_cmp_ge_u64_e32 vcc_lo, v[10:11], v[28:29]
	s_or_not1_b32 s40, vcc_lo, exec_lo
	s_branch .LBB6_85
.LBB6_90:                               ;   in Loop: Header=BB6_49 Depth=1
	s_or_b32 exec_lo, exec_lo, s24
	s_and_saveexec_b32 s24, s25
	s_delay_alu instid0(SALU_CYCLE_1)
	s_xor_b32 s24, exec_lo, s24
	s_cbranch_execz .LBB6_92
; %bb.91:                               ;   in Loop: Header=BB6_49 Depth=1
	ds_store_b32 v0, v101
	s_trap 2
.LBB6_92:                               ;   in Loop: Header=BB6_49 Depth=1
	s_or_b32 exec_lo, exec_lo, s23
	;;#ASMSTART
	s_wakeup
	;;#ASMEND
.LBB6_93:                               ;   in Loop: Header=BB6_49 Depth=1
	s_or_b32 exec_lo, exec_lo, s22
.LBB6_94:                               ;   in Loop: Header=BB6_49 Depth=1
	s_and_not1_saveexec_b32 s21, s21
	s_cbranch_execz .LBB6_96
; %bb.95:                               ;   in Loop: Header=BB6_49 Depth=1
	global_wb scope:SCOPE_DEV
	s_wait_storecnt 0x0
	s_wait_loadcnt_dscnt 0x0
	global_inv scope:SCOPE_DEV
	s_barrier_signal -1
	s_barrier_wait -1
.LBB6_96:                               ;   in Loop: Header=BB6_49 Depth=1
	s_or_b32 exec_lo, exec_lo, s21
.LBB6_97:                               ;   in Loop: Header=BB6_49 Depth=1
	s_delay_alu instid0(SALU_CYCLE_1) | instskip(SKIP_3) | instid1(VALU_DEP_1)
	s_or_b32 exec_lo, exec_lo, s7
	s_trap 2
	ds_load_b32 v10, v0
	v_and_b32_e32 v11, 0x4000, v30
	v_cmp_ne_u32_e32 vcc_lo, 0, v11
	s_and_b32 s21, s17, vcc_lo
	s_delay_alu instid0(SALU_CYCLE_1)
	s_and_saveexec_b32 s7, s21
	s_cbranch_execz .LBB6_116
; %bb.98:                               ;   in Loop: Header=BB6_49 Depth=1
	s_and_saveexec_b32 s21, s3
	s_delay_alu instid0(SALU_CYCLE_1)
	s_xor_b32 s21, exec_lo, s21
	s_cbranch_execz .LBB6_113
; %bb.99:                               ;   in Loop: Header=BB6_49 Depth=1
	s_and_saveexec_b32 s22, s4
	s_cbranch_execz .LBB6_112
; %bb.100:                              ;   in Loop: Header=BB6_49 Depth=1
	s_mov_b32 s24, exec_lo
	s_mov_b32 s23, exec_lo
	v_mbcnt_lo_u32_b32 v11, s24, 0
	global_wb scope:SCOPE_DEV
	s_wait_storecnt 0x0
	s_wait_loadcnt_dscnt 0x0
	global_inv scope:SCOPE_DEV
	v_cmpx_eq_u32_e32 0, v11
	s_cbranch_execz .LBB6_102
; %bb.101:                              ;   in Loop: Header=BB6_49 Depth=1
	s_bcnt1_i32_b32 s24, s24
	s_delay_alu instid0(SALU_CYCLE_1)
	v_mov_b32_e32 v38, s24
	s_wait_loadcnt 0x0
	ds_add_u64 v0, v[38:39]
	s_trap 2
.LBB6_102:                              ;   in Loop: Header=BB6_49 Depth=1
	s_or_b32 exec_lo, exec_lo, s23
	s_trap 2
	ds_load_b64 v[12:13], v0
	s_wait_dscnt 0x0
	v_add_nc_u64_e32 v[28:29], v[28:29], v[48:49]
	s_mov_b32 s23, exec_lo
	s_delay_alu instid0(VALU_DEP_1)
	v_cmpx_lt_u64_e64 v[12:13], v[28:29]
	s_cbranch_execz .LBB6_111
; %bb.103:                              ;   in Loop: Header=BB6_49 Depth=1
	s_mov_b32 s24, 0
	s_mov_b32 s27, 0
                                        ; implicit-def: $sgpr25
                                        ; implicit-def: $sgpr26
	s_branch .LBB6_105
.LBB6_104:                              ;   in Loop: Header=BB6_105 Depth=2
	s_or_b32 exec_lo, exec_lo, s29
	s_delay_alu instid0(SALU_CYCLE_1) | instskip(NEXT) | instid1(SALU_CYCLE_1)
	s_and_b32 s28, exec_lo, s40
	s_or_b32 s24, s28, s24
	s_and_not1_b32 s25, s25, exec_lo
	s_and_b32 s28, s26, exec_lo
	s_delay_alu instid0(SALU_CYCLE_1)
	s_or_b32 s25, s25, s28
	s_and_not1_b32 exec_lo, exec_lo, s24
	s_cbranch_execz .LBB6_109
.LBB6_105:                              ;   Parent Loop BB6_49 Depth=1
                                        ; =>  This Inner Loop Header: Depth=2
	s_add_co_i32 s27, s27, 1
	s_delay_alu instid0(SALU_CYCLE_1) | instskip(SKIP_1) | instid1(SALU_CYCLE_1)
	s_cmp_lg_u32 s27, 0x2710
	s_cselect_b32 s28, -1, 0
	s_and_b32 vcc_lo, exec_lo, s28
	s_cbranch_vccz .LBB6_107
; %bb.106:                              ;   in Loop: Header=BB6_105 Depth=2
	s_mov_b32 s40, -1
	s_or_b32 s26, s26, exec_lo
	s_and_saveexec_b32 s29, s28
	s_cbranch_execz .LBB6_104
	s_branch .LBB6_108
.LBB6_107:                              ;   in Loop: Header=BB6_105 Depth=2
	s_trap 2
	ds_load_b64 v[12:13], v0
	s_and_not1_b32 s28, s28, exec_lo
	s_mov_b32 s27, 0
	s_wait_loadcnt_dscnt 0x0
	flat_load_b32 v11, v[12:13] scope:SCOPE_SYS
	s_wait_loadcnt_dscnt 0x0
	global_inv scope:SCOPE_SYS
	v_cmp_eq_u32_e32 vcc_lo, 0, v11
	s_and_b32 s29, vcc_lo, exec_lo
	s_delay_alu instid0(SALU_CYCLE_1)
	s_or_b32 s28, s28, s29
	s_mov_b32 s40, -1
	s_or_b32 s26, s26, exec_lo
	s_and_saveexec_b32 s29, s28
	s_cbranch_execz .LBB6_104
.LBB6_108:                              ;   in Loop: Header=BB6_105 Depth=2
	s_sleep 1
	s_trap 2
	ds_load_b64 v[12:13], v0
	s_wait_dscnt 0x0
	s_and_not1_b32 s26, s26, exec_lo
	v_cmp_ge_u64_e32 vcc_lo, v[12:13], v[28:29]
	s_or_not1_b32 s40, vcc_lo, exec_lo
	s_branch .LBB6_104
.LBB6_109:                              ;   in Loop: Header=BB6_49 Depth=1
	s_or_b32 exec_lo, exec_lo, s24
	s_and_saveexec_b32 s24, s25
	s_delay_alu instid0(SALU_CYCLE_1)
	s_xor_b32 s24, exec_lo, s24
	s_cbranch_execz .LBB6_111
; %bb.110:                              ;   in Loop: Header=BB6_49 Depth=1
	ds_store_b32 v0, v101
	s_trap 2
.LBB6_111:                              ;   in Loop: Header=BB6_49 Depth=1
	s_or_b32 exec_lo, exec_lo, s23
	;;#ASMSTART
	s_wakeup
	;;#ASMEND
.LBB6_112:                              ;   in Loop: Header=BB6_49 Depth=1
	s_or_b32 exec_lo, exec_lo, s22
.LBB6_113:                              ;   in Loop: Header=BB6_49 Depth=1
	s_and_not1_saveexec_b32 s21, s21
	s_cbranch_execz .LBB6_115
; %bb.114:                              ;   in Loop: Header=BB6_49 Depth=1
	global_wb scope:SCOPE_DEV
	s_wait_storecnt 0x0
	s_wait_loadcnt_dscnt 0x0
	global_inv scope:SCOPE_DEV
	s_barrier_signal -1
	s_barrier_wait -1
.LBB6_115:                              ;   in Loop: Header=BB6_49 Depth=1
	s_or_b32 exec_lo, exec_lo, s21
.LBB6_116:                              ;   in Loop: Header=BB6_49 Depth=1
	s_delay_alu instid0(SALU_CYCLE_1)
	s_or_b32 exec_lo, exec_lo, s7
	s_trap 2
	ds_load_b64 v[80:81], v0
	s_wait_dscnt 0x0
	v_cmp_eq_u64_e32 vcc_lo, 0, v[80:81]
	s_cbranch_vccnz .LBB6_124
; %bb.117:                              ;   in Loop: Header=BB6_49 Depth=1
	s_trap 2
	ds_load_b64 v[82:83], v0
	s_wait_dscnt 0x0
	v_cmp_eq_u64_e32 vcc_lo, 0, v[82:83]
	s_cbranch_vccnz .LBB6_124
; %bb.118:                              ;   in Loop: Header=BB6_49 Depth=1
	s_mov_b32 s7, -1
	s_and_saveexec_b32 s21, s5
	s_cbranch_execz .LBB6_120
; %bb.119:                              ;   in Loop: Header=BB6_49 Depth=1
	ds_load_b32 v11, v0 offset:720
	s_wait_dscnt 0x0
	v_and_b32_e32 v11, 15, v11
	s_delay_alu instid0(VALU_DEP_1)
	v_cmp_eq_u32_e32 vcc_lo, 0, v11
	s_or_not1_b32 s7, vcc_lo, exec_lo
.LBB6_120:                              ;   in Loop: Header=BB6_49 Depth=1
	s_or_b32 exec_lo, exec_lo, s21
	s_and_saveexec_b32 s21, s6
	s_cbranch_execz .LBB6_122
; %bb.121:                              ;   in Loop: Header=BB6_49 Depth=1
	ds_load_b32 v11, v0 offset:784
	s_wait_dscnt 0x0
	v_and_b32_e32 v11, 15, v11
	s_delay_alu instid0(VALU_DEP_1) | instskip(SKIP_3) | instid1(SALU_CYCLE_1)
	v_cmp_eq_u32_e32 vcc_lo, 0, v11
	s_and_b32 s22, s7, vcc_lo
	s_and_not1_b32 s7, s7, exec_lo
	s_and_b32 s22, s22, exec_lo
	s_or_b32 s7, s7, s22
.LBB6_122:                              ;   in Loop: Header=BB6_49 Depth=1
	s_or_b32 exec_lo, exec_lo, s21
	v_cmp_eq_u32_e32 vcc_lo, 0, v10
	s_xor_b32 s7, s7, -1
	s_mov_b32 s22, -1
	v_cndmask_b32_e64 v11, 0, 1, s7
	v_dual_mov_b32 v16, 0 :: v_dual_cndmask_b32 v38, 0, v71, vcc_lo
	s_delay_alu instid0(VALU_DEP_2) | instskip(NEXT) | instid1(VALU_DEP_2)
	v_cmp_ne_u32_e32 vcc_lo, 0, v11
	v_lshlrev_b32_e32 v103, 1, v38
	s_cbranch_vccz .LBB6_125
; %bb.123:                              ;   in Loop: Header=BB6_49 Depth=1
	v_mov_b32_e32 v17, v0
	s_and_saveexec_b32 s7, s22
	s_cbranch_execnz .LBB6_328
	s_branch .LBB6_408
.LBB6_124:                              ;   in Loop: Header=BB6_49 Depth=1
	s_mov_b32 s7, 0
	s_and_saveexec_b32 s21, s2
	s_cbranch_execnz .LBB6_409
	s_branch .LBB6_427
.LBB6_125:                              ;   in Loop: Header=BB6_49 Depth=1
	v_lshrrev_b32_e32 v113, 9, v38
	s_mov_b32 s7, exec_lo
	s_delay_alu instid0(VALU_DEP_1) | instskip(NEXT) | instid1(VALU_DEP_1)
	v_sub_nc_u32_e32 v112, v113, v99
	v_cmpx_lt_i32_e32 0, v112
	s_cbranch_execz .LBB6_257
; %bb.126:                              ;   in Loop: Header=BB6_49 Depth=1
	s_trap 2
	ds_load_b64 v[10:11], v0
	ds_load_b32 v12, v0
	v_add_nc_u64_e32 v[84:85], v[80:81], v[50:51]
	v_add_nc_u64_e32 v[96:97], v[82:83], v[50:51]
	s_mov_b32 s21, 0
	s_wait_dscnt 0x1
	v_add_nc_u64_e32 v[86:87], v[10:11], v[50:51]
	s_wait_dscnt 0x0
	v_lshlrev_b32_e32 v114, 16, v12
	s_branch .LBB6_128
.LBB6_127:                              ;   in Loop: Header=BB6_128 Depth=2
	s_or_b32 exec_lo, exec_lo, s22
	v_dual_lshrrev_b32 v115, 16, v57 :: v_dual_lshrrev_b32 v117, 16, v118
	v_lshrrev_b32_e32 v118, 16, v47
	v_dual_lshrrev_b32 v119, 16, v119 :: v_dual_lshrrev_b32 v116, 16, v116
	s_delay_alu instid0(VALU_DEP_3) | instskip(SKIP_4) | instid1(VALU_DEP_4)
	v_and_or_b32 v15, 0xffff0000, v15, v115
	v_lshrrev_b32_e32 v115, 16, v45
	v_and_or_b32 v14, 0xffff0000, v14, v117
	v_and_or_b32 v16, 0xffff0000, v16, v118
	v_dual_lshrrev_b32 v117, 16, v41 :: v_dual_lshrrev_b32 v118, 16, v43
	v_and_or_b32 v17, 0xffff0000, v17, v115
	v_sub_nc_u32_e32 v112, v112, v48
	v_and_or_b32 v12, 0xffff0000, v12, v119
	s_delay_alu instid0(VALU_DEP_4)
	v_and_or_b32 v11, 0xffff0000, v11, v117
	v_and_or_b32 v10, 0xffff0000, v10, v118
	;; [unrolled: 1-line block ×3, first 2 shown]
	s_clause 0x1
	global_store_b128 v[96:97], v[14:17], off th:TH_STORE_NT
	global_store_b128 v[96:97], v[10:13], off offset:512 th:TH_STORE_NT
	v_add_nc_u64_e32 v[84:85], v[84:85], v[52:53]
	v_add_nc_u64_e32 v[86:87], v[86:87], v[52:53]
	v_cmp_gt_i32_e32 vcc_lo, 1, v112
	s_wait_xcnt 0x0
	v_add_nc_u64_e32 v[96:97], v[96:97], v[52:53]
	s_or_b32 s21, vcc_lo, s21
	s_delay_alu instid0(SALU_CYCLE_1)
	s_and_not1_b32 exec_lo, exec_lo, s21
	s_cbranch_execz .LBB6_256
.LBB6_128:                              ;   Parent Loop BB6_49 Depth=1
                                        ; =>  This Inner Loop Header: Depth=2
	global_load_b128 v[10:13], v[84:85], off th:TH_LOAD_NT
	s_mov_b32 s22, exec_lo
                                        ; implicit-def: $vgpr118
	s_wait_loadcnt 0x0
	v_lshlrev_b32_e32 v14, 16, v10
	s_delay_alu instid0(VALU_DEP_1) | instskip(NEXT) | instid1(VALU_DEP_1)
	v_mul_f32_e32 v14, v114, v14
	v_and_b32_e32 v15, 0x7f800000, v14
	s_wait_xcnt 0x0
	s_delay_alu instid0(VALU_DEP_1)
	v_cmpx_ne_u32_e32 0x7f800000, v15
	s_xor_b32 s22, exec_lo, s22
; %bb.129:                              ;   in Loop: Header=BB6_128 Depth=2
	v_bfe_u32 v15, v14, 16, 1
	s_delay_alu instid0(VALU_DEP_1)
	v_add3_u32 v118, v14, v15, 0x7fff
                                        ; implicit-def: $vgpr14
; %bb.130:                              ;   in Loop: Header=BB6_128 Depth=2
	s_and_not1_saveexec_b32 s22, s22
; %bb.131:                              ;   in Loop: Header=BB6_128 Depth=2
	v_and_b32_e32 v15, 0xffff, v14
	v_or_b32_e32 v16, 0x10000, v14
	s_delay_alu instid0(VALU_DEP_2) | instskip(NEXT) | instid1(VALU_DEP_2)
	v_cmp_eq_u32_e32 vcc_lo, 0, v15
	v_cndmask_b32_e32 v118, v16, v14, vcc_lo
; %bb.132:                              ;   in Loop: Header=BB6_128 Depth=2
	s_or_b32 exec_lo, exec_lo, s22
	v_and_b32_e32 v10, 0xffff0000, v10
	s_mov_b32 s22, exec_lo
                                        ; implicit-def: $vgpr57
	s_delay_alu instid0(VALU_DEP_1) | instskip(NEXT) | instid1(VALU_DEP_1)
	v_mul_f32_e32 v10, v114, v10
	v_and_b32_e32 v14, 0x7f800000, v10
	s_delay_alu instid0(VALU_DEP_1)
	v_cmpx_ne_u32_e32 0x7f800000, v14
	s_xor_b32 s22, exec_lo, s22
; %bb.133:                              ;   in Loop: Header=BB6_128 Depth=2
	v_bfe_u32 v14, v10, 16, 1
	s_delay_alu instid0(VALU_DEP_1)
	v_add3_u32 v57, v10, v14, 0x7fff
                                        ; implicit-def: $vgpr10
; %bb.134:                              ;   in Loop: Header=BB6_128 Depth=2
	s_and_not1_saveexec_b32 s22, s22
; %bb.135:                              ;   in Loop: Header=BB6_128 Depth=2
	v_and_b32_e32 v14, 0xffff, v10
	v_or_b32_e32 v15, 0x10000, v10
	s_delay_alu instid0(VALU_DEP_2) | instskip(NEXT) | instid1(VALU_DEP_2)
	v_cmp_eq_u32_e32 vcc_lo, 0, v14
	v_cndmask_b32_e32 v57, v15, v10, vcc_lo
; %bb.136:                              ;   in Loop: Header=BB6_128 Depth=2
	s_or_b32 exec_lo, exec_lo, s22
	v_lshlrev_b32_e32 v10, 16, v11
	s_mov_b32 s22, exec_lo
                                        ; implicit-def: $vgpr58
	s_delay_alu instid0(VALU_DEP_1) | instskip(NEXT) | instid1(VALU_DEP_1)
	v_mul_f32_e32 v10, v114, v10
	v_and_b32_e32 v14, 0x7f800000, v10
	s_delay_alu instid0(VALU_DEP_1)
	v_cmpx_ne_u32_e32 0x7f800000, v14
	s_xor_b32 s22, exec_lo, s22
; %bb.137:                              ;   in Loop: Header=BB6_128 Depth=2
	v_bfe_u32 v14, v10, 16, 1
	s_delay_alu instid0(VALU_DEP_1)
	v_add3_u32 v58, v10, v14, 0x7fff
                                        ; implicit-def: $vgpr10
; %bb.138:                              ;   in Loop: Header=BB6_128 Depth=2
	s_and_not1_saveexec_b32 s22, s22
; %bb.139:                              ;   in Loop: Header=BB6_128 Depth=2
	v_and_b32_e32 v14, 0xffff, v10
	v_or_b32_e32 v15, 0x10000, v10
	s_delay_alu instid0(VALU_DEP_2) | instskip(NEXT) | instid1(VALU_DEP_2)
	v_cmp_eq_u32_e32 vcc_lo, 0, v14
	v_cndmask_b32_e32 v58, v15, v10, vcc_lo
; %bb.140:                              ;   in Loop: Header=BB6_128 Depth=2
	s_or_b32 exec_lo, exec_lo, s22
	v_and_b32_e32 v10, 0xffff0000, v11
	s_mov_b32 s22, exec_lo
                                        ; implicit-def: $vgpr47
	s_delay_alu instid0(VALU_DEP_1) | instskip(NEXT) | instid1(VALU_DEP_1)
	v_mul_f32_e32 v10, v114, v10
	v_and_b32_e32 v11, 0x7f800000, v10
	s_delay_alu instid0(VALU_DEP_1)
	v_cmpx_ne_u32_e32 0x7f800000, v11
	s_xor_b32 s22, exec_lo, s22
; %bb.141:                              ;   in Loop: Header=BB6_128 Depth=2
	v_bfe_u32 v11, v10, 16, 1
	s_delay_alu instid0(VALU_DEP_1)
	v_add3_u32 v47, v10, v11, 0x7fff
                                        ; implicit-def: $vgpr10
; %bb.142:                              ;   in Loop: Header=BB6_128 Depth=2
	s_and_not1_saveexec_b32 s22, s22
; %bb.143:                              ;   in Loop: Header=BB6_128 Depth=2
	v_and_b32_e32 v11, 0xffff, v10
	v_or_b32_e32 v14, 0x10000, v10
	s_delay_alu instid0(VALU_DEP_2) | instskip(NEXT) | instid1(VALU_DEP_2)
	v_cmp_eq_u32_e32 vcc_lo, 0, v11
	v_cndmask_b32_e32 v47, v14, v10, vcc_lo
; %bb.144:                              ;   in Loop: Header=BB6_128 Depth=2
	s_or_b32 exec_lo, exec_lo, s22
	v_lshlrev_b32_e32 v10, 16, v12
	s_mov_b32 s22, exec_lo
                                        ; implicit-def: $vgpr56
	s_delay_alu instid0(VALU_DEP_1) | instskip(NEXT) | instid1(VALU_DEP_1)
	v_mul_f32_e32 v10, v114, v10
	v_and_b32_e32 v11, 0x7f800000, v10
	s_delay_alu instid0(VALU_DEP_1)
	v_cmpx_ne_u32_e32 0x7f800000, v11
	s_xor_b32 s22, exec_lo, s22
; %bb.145:                              ;   in Loop: Header=BB6_128 Depth=2
	v_bfe_u32 v11, v10, 16, 1
	s_delay_alu instid0(VALU_DEP_1)
	v_add3_u32 v56, v10, v11, 0x7fff
                                        ; implicit-def: $vgpr10
; %bb.146:                              ;   in Loop: Header=BB6_128 Depth=2
	s_and_not1_saveexec_b32 s22, s22
; %bb.147:                              ;   in Loop: Header=BB6_128 Depth=2
	v_and_b32_e32 v11, 0xffff, v10
	v_or_b32_e32 v14, 0x10000, v10
	s_delay_alu instid0(VALU_DEP_2) | instskip(NEXT) | instid1(VALU_DEP_2)
	v_cmp_eq_u32_e32 vcc_lo, 0, v11
	v_cndmask_b32_e32 v56, v14, v10, vcc_lo
; %bb.148:                              ;   in Loop: Header=BB6_128 Depth=2
	s_or_b32 exec_lo, exec_lo, s22
	v_and_b32_e32 v10, 0xffff0000, v12
	s_mov_b32 s22, exec_lo
                                        ; implicit-def: $vgpr45
	s_delay_alu instid0(VALU_DEP_1) | instskip(NEXT) | instid1(VALU_DEP_1)
	v_mul_f32_e32 v10, v114, v10
	v_and_b32_e32 v11, 0x7f800000, v10
	s_delay_alu instid0(VALU_DEP_1)
	v_cmpx_ne_u32_e32 0x7f800000, v11
	s_xor_b32 s22, exec_lo, s22
; %bb.149:                              ;   in Loop: Header=BB6_128 Depth=2
	v_bfe_u32 v11, v10, 16, 1
	s_delay_alu instid0(VALU_DEP_1)
	v_add3_u32 v45, v10, v11, 0x7fff
                                        ; implicit-def: $vgpr10
; %bb.150:                              ;   in Loop: Header=BB6_128 Depth=2
	s_and_not1_saveexec_b32 s22, s22
; %bb.151:                              ;   in Loop: Header=BB6_128 Depth=2
	v_and_b32_e32 v11, 0xffff, v10
	v_or_b32_e32 v12, 0x10000, v10
	s_delay_alu instid0(VALU_DEP_2) | instskip(NEXT) | instid1(VALU_DEP_2)
	v_cmp_eq_u32_e32 vcc_lo, 0, v11
	v_cndmask_b32_e32 v45, v12, v10, vcc_lo
; %bb.152:                              ;   in Loop: Header=BB6_128 Depth=2
	s_or_b32 exec_lo, exec_lo, s22
	v_lshlrev_b32_e32 v10, 16, v13
	s_mov_b32 s22, exec_lo
                                        ; implicit-def: $vgpr46
	s_delay_alu instid0(VALU_DEP_1) | instskip(NEXT) | instid1(VALU_DEP_1)
	v_mul_f32_e32 v10, v114, v10
	v_and_b32_e32 v11, 0x7f800000, v10
	s_delay_alu instid0(VALU_DEP_1)
	v_cmpx_ne_u32_e32 0x7f800000, v11
	s_xor_b32 s22, exec_lo, s22
; %bb.153:                              ;   in Loop: Header=BB6_128 Depth=2
	v_bfe_u32 v11, v10, 16, 1
	s_delay_alu instid0(VALU_DEP_1)
	v_add3_u32 v46, v10, v11, 0x7fff
                                        ; implicit-def: $vgpr10
; %bb.154:                              ;   in Loop: Header=BB6_128 Depth=2
	s_and_not1_saveexec_b32 s22, s22
; %bb.155:                              ;   in Loop: Header=BB6_128 Depth=2
	v_and_b32_e32 v11, 0xffff, v10
	v_or_b32_e32 v12, 0x10000, v10
	s_delay_alu instid0(VALU_DEP_2) | instskip(NEXT) | instid1(VALU_DEP_2)
	v_cmp_eq_u32_e32 vcc_lo, 0, v11
	v_cndmask_b32_e32 v46, v12, v10, vcc_lo
; %bb.156:                              ;   in Loop: Header=BB6_128 Depth=2
	s_or_b32 exec_lo, exec_lo, s22
	v_and_b32_e32 v10, 0xffff0000, v13
	s_mov_b32 s22, exec_lo
                                        ; implicit-def: $vgpr43
	s_delay_alu instid0(VALU_DEP_1) | instskip(NEXT) | instid1(VALU_DEP_1)
	v_mul_f32_e32 v10, v114, v10
	v_and_b32_e32 v11, 0x7f800000, v10
	s_delay_alu instid0(VALU_DEP_1)
	v_cmpx_ne_u32_e32 0x7f800000, v11
	s_xor_b32 s22, exec_lo, s22
; %bb.157:                              ;   in Loop: Header=BB6_128 Depth=2
	v_bfe_u32 v11, v10, 16, 1
	s_delay_alu instid0(VALU_DEP_1)
	v_add3_u32 v43, v10, v11, 0x7fff
                                        ; implicit-def: $vgpr10
; %bb.158:                              ;   in Loop: Header=BB6_128 Depth=2
	s_and_not1_saveexec_b32 s22, s22
; %bb.159:                              ;   in Loop: Header=BB6_128 Depth=2
	v_and_b32_e32 v11, 0xffff, v10
	v_or_b32_e32 v12, 0x10000, v10
	s_delay_alu instid0(VALU_DEP_2) | instskip(NEXT) | instid1(VALU_DEP_2)
	v_cmp_eq_u32_e32 vcc_lo, 0, v11
	v_cndmask_b32_e32 v43, v12, v10, vcc_lo
; %bb.160:                              ;   in Loop: Header=BB6_128 Depth=2
	s_or_b32 exec_lo, exec_lo, s22
	global_load_b128 v[10:13], v[84:85], off offset:512 th:TH_LOAD_NT
	s_mov_b32 s22, exec_lo
                                        ; implicit-def: $vgpr44
	s_wait_loadcnt 0x0
	v_lshlrev_b32_e32 v14, 16, v10
	s_delay_alu instid0(VALU_DEP_1) | instskip(NEXT) | instid1(VALU_DEP_1)
	v_mul_f32_e32 v14, v114, v14
	v_and_b32_e32 v15, 0x7f800000, v14
	s_wait_xcnt 0x0
	s_delay_alu instid0(VALU_DEP_1)
	v_cmpx_ne_u32_e32 0x7f800000, v15
	s_xor_b32 s22, exec_lo, s22
; %bb.161:                              ;   in Loop: Header=BB6_128 Depth=2
	v_bfe_u32 v15, v14, 16, 1
	s_delay_alu instid0(VALU_DEP_1)
	v_add3_u32 v44, v14, v15, 0x7fff
                                        ; implicit-def: $vgpr14
; %bb.162:                              ;   in Loop: Header=BB6_128 Depth=2
	s_and_not1_saveexec_b32 s22, s22
; %bb.163:                              ;   in Loop: Header=BB6_128 Depth=2
	v_and_b32_e32 v15, 0xffff, v14
	v_or_b32_e32 v16, 0x10000, v14
	s_delay_alu instid0(VALU_DEP_2) | instskip(NEXT) | instid1(VALU_DEP_2)
	v_cmp_eq_u32_e32 vcc_lo, 0, v15
	v_cndmask_b32_e32 v44, v16, v14, vcc_lo
; %bb.164:                              ;   in Loop: Header=BB6_128 Depth=2
	s_or_b32 exec_lo, exec_lo, s22
	v_and_b32_e32 v10, 0xffff0000, v10
	s_mov_b32 s22, exec_lo
                                        ; implicit-def: $vgpr41
	s_delay_alu instid0(VALU_DEP_1) | instskip(NEXT) | instid1(VALU_DEP_1)
	v_mul_f32_e32 v10, v114, v10
	v_and_b32_e32 v14, 0x7f800000, v10
	s_delay_alu instid0(VALU_DEP_1)
	v_cmpx_ne_u32_e32 0x7f800000, v14
	s_xor_b32 s22, exec_lo, s22
; %bb.165:                              ;   in Loop: Header=BB6_128 Depth=2
	v_bfe_u32 v14, v10, 16, 1
	s_delay_alu instid0(VALU_DEP_1)
	v_add3_u32 v41, v10, v14, 0x7fff
                                        ; implicit-def: $vgpr10
; %bb.166:                              ;   in Loop: Header=BB6_128 Depth=2
	s_and_not1_saveexec_b32 s22, s22
; %bb.167:                              ;   in Loop: Header=BB6_128 Depth=2
	v_and_b32_e32 v14, 0xffff, v10
	v_or_b32_e32 v15, 0x10000, v10
	s_delay_alu instid0(VALU_DEP_2) | instskip(NEXT) | instid1(VALU_DEP_2)
	v_cmp_eq_u32_e32 vcc_lo, 0, v14
	v_cndmask_b32_e32 v41, v15, v10, vcc_lo
; %bb.168:                              ;   in Loop: Header=BB6_128 Depth=2
	s_or_b32 exec_lo, exec_lo, s22
	v_lshlrev_b32_e32 v10, 16, v11
	s_mov_b32 s22, exec_lo
                                        ; implicit-def: $vgpr42
	s_delay_alu instid0(VALU_DEP_1) | instskip(NEXT) | instid1(VALU_DEP_1)
	v_mul_f32_e32 v10, v114, v10
	v_and_b32_e32 v14, 0x7f800000, v10
	s_delay_alu instid0(VALU_DEP_1)
	v_cmpx_ne_u32_e32 0x7f800000, v14
	s_xor_b32 s22, exec_lo, s22
; %bb.169:                              ;   in Loop: Header=BB6_128 Depth=2
	v_bfe_u32 v14, v10, 16, 1
	s_delay_alu instid0(VALU_DEP_1)
	v_add3_u32 v42, v10, v14, 0x7fff
                                        ; implicit-def: $vgpr10
; %bb.170:                              ;   in Loop: Header=BB6_128 Depth=2
	s_and_not1_saveexec_b32 s22, s22
; %bb.171:                              ;   in Loop: Header=BB6_128 Depth=2
	v_and_b32_e32 v14, 0xffff, v10
	v_or_b32_e32 v15, 0x10000, v10
	s_delay_alu instid0(VALU_DEP_2) | instskip(NEXT) | instid1(VALU_DEP_2)
	v_cmp_eq_u32_e32 vcc_lo, 0, v14
	v_cndmask_b32_e32 v42, v15, v10, vcc_lo
; %bb.172:                              ;   in Loop: Header=BB6_128 Depth=2
	s_or_b32 exec_lo, exec_lo, s22
	v_and_b32_e32 v10, 0xffff0000, v11
	s_mov_b32 s22, exec_lo
                                        ; implicit-def: $vgpr119
	s_delay_alu instid0(VALU_DEP_1) | instskip(NEXT) | instid1(VALU_DEP_1)
	v_mul_f32_e32 v10, v114, v10
	v_and_b32_e32 v11, 0x7f800000, v10
	s_delay_alu instid0(VALU_DEP_1)
	v_cmpx_ne_u32_e32 0x7f800000, v11
	s_xor_b32 s22, exec_lo, s22
; %bb.173:                              ;   in Loop: Header=BB6_128 Depth=2
	v_bfe_u32 v11, v10, 16, 1
	s_delay_alu instid0(VALU_DEP_1)
	v_add3_u32 v119, v10, v11, 0x7fff
                                        ; implicit-def: $vgpr10
; %bb.174:                              ;   in Loop: Header=BB6_128 Depth=2
	s_and_not1_saveexec_b32 s22, s22
; %bb.175:                              ;   in Loop: Header=BB6_128 Depth=2
	v_and_b32_e32 v11, 0xffff, v10
	v_or_b32_e32 v14, 0x10000, v10
	s_delay_alu instid0(VALU_DEP_2) | instskip(NEXT) | instid1(VALU_DEP_2)
	v_cmp_eq_u32_e32 vcc_lo, 0, v11
	v_cndmask_b32_e32 v119, v14, v10, vcc_lo
; %bb.176:                              ;   in Loop: Header=BB6_128 Depth=2
	s_or_b32 exec_lo, exec_lo, s22
	v_lshlrev_b32_e32 v10, 16, v12
	s_mov_b32 s22, exec_lo
                                        ; implicit-def: $vgpr40
	s_delay_alu instid0(VALU_DEP_1) | instskip(NEXT) | instid1(VALU_DEP_1)
	v_mul_f32_e32 v10, v114, v10
	v_and_b32_e32 v11, 0x7f800000, v10
	s_delay_alu instid0(VALU_DEP_1)
	v_cmpx_ne_u32_e32 0x7f800000, v11
	s_xor_b32 s22, exec_lo, s22
; %bb.177:                              ;   in Loop: Header=BB6_128 Depth=2
	v_bfe_u32 v11, v10, 16, 1
	s_delay_alu instid0(VALU_DEP_1)
	v_add3_u32 v40, v10, v11, 0x7fff
                                        ; implicit-def: $vgpr10
; %bb.178:                              ;   in Loop: Header=BB6_128 Depth=2
	s_and_not1_saveexec_b32 s22, s22
; %bb.179:                              ;   in Loop: Header=BB6_128 Depth=2
	v_and_b32_e32 v11, 0xffff, v10
	v_or_b32_e32 v14, 0x10000, v10
	s_delay_alu instid0(VALU_DEP_2) | instskip(NEXT) | instid1(VALU_DEP_2)
	v_cmp_eq_u32_e32 vcc_lo, 0, v11
	v_cndmask_b32_e32 v40, v14, v10, vcc_lo
; %bb.180:                              ;   in Loop: Header=BB6_128 Depth=2
	s_or_b32 exec_lo, exec_lo, s22
	v_and_b32_e32 v10, 0xffff0000, v12
	s_mov_b32 s22, exec_lo
                                        ; implicit-def: $vgpr116
	s_delay_alu instid0(VALU_DEP_1) | instskip(NEXT) | instid1(VALU_DEP_1)
	v_mul_f32_e32 v10, v114, v10
	v_and_b32_e32 v11, 0x7f800000, v10
	s_delay_alu instid0(VALU_DEP_1)
	v_cmpx_ne_u32_e32 0x7f800000, v11
	s_xor_b32 s22, exec_lo, s22
; %bb.181:                              ;   in Loop: Header=BB6_128 Depth=2
	v_bfe_u32 v11, v10, 16, 1
	s_delay_alu instid0(VALU_DEP_1)
	v_add3_u32 v116, v10, v11, 0x7fff
                                        ; implicit-def: $vgpr10
; %bb.182:                              ;   in Loop: Header=BB6_128 Depth=2
	s_and_not1_saveexec_b32 s22, s22
; %bb.183:                              ;   in Loop: Header=BB6_128 Depth=2
	v_and_b32_e32 v11, 0xffff, v10
	v_or_b32_e32 v12, 0x10000, v10
	s_delay_alu instid0(VALU_DEP_2) | instskip(NEXT) | instid1(VALU_DEP_2)
	v_cmp_eq_u32_e32 vcc_lo, 0, v11
	v_cndmask_b32_e32 v116, v12, v10, vcc_lo
; %bb.184:                              ;   in Loop: Header=BB6_128 Depth=2
	s_or_b32 exec_lo, exec_lo, s22
	v_lshlrev_b32_e32 v10, 16, v13
	s_mov_b32 s22, exec_lo
                                        ; implicit-def: $vgpr117
	s_delay_alu instid0(VALU_DEP_1) | instskip(NEXT) | instid1(VALU_DEP_1)
	v_mul_f32_e32 v10, v114, v10
	v_and_b32_e32 v11, 0x7f800000, v10
	s_delay_alu instid0(VALU_DEP_1)
	v_cmpx_ne_u32_e32 0x7f800000, v11
	s_xor_b32 s22, exec_lo, s22
; %bb.185:                              ;   in Loop: Header=BB6_128 Depth=2
	v_bfe_u32 v11, v10, 16, 1
	s_delay_alu instid0(VALU_DEP_1)
	v_add3_u32 v117, v10, v11, 0x7fff
                                        ; implicit-def: $vgpr10
; %bb.186:                              ;   in Loop: Header=BB6_128 Depth=2
	s_and_not1_saveexec_b32 s22, s22
; %bb.187:                              ;   in Loop: Header=BB6_128 Depth=2
	v_and_b32_e32 v11, 0xffff, v10
	v_or_b32_e32 v12, 0x10000, v10
	s_delay_alu instid0(VALU_DEP_2) | instskip(NEXT) | instid1(VALU_DEP_2)
	v_cmp_eq_u32_e32 vcc_lo, 0, v11
	v_cndmask_b32_e32 v117, v12, v10, vcc_lo
; %bb.188:                              ;   in Loop: Header=BB6_128 Depth=2
	s_or_b32 exec_lo, exec_lo, s22
	v_and_b32_e32 v10, 0xffff0000, v13
	s_mov_b32 s22, exec_lo
                                        ; implicit-def: $vgpr115
	s_delay_alu instid0(VALU_DEP_1) | instskip(NEXT) | instid1(VALU_DEP_1)
	v_mul_f32_e32 v10, v114, v10
	v_and_b32_e32 v11, 0x7f800000, v10
	s_delay_alu instid0(VALU_DEP_1)
	v_cmpx_ne_u32_e32 0x7f800000, v11
	s_xor_b32 s22, exec_lo, s22
; %bb.189:                              ;   in Loop: Header=BB6_128 Depth=2
	v_bfe_u32 v11, v10, 16, 1
	s_delay_alu instid0(VALU_DEP_1)
	v_add3_u32 v115, v10, v11, 0x7fff
                                        ; implicit-def: $vgpr10
; %bb.190:                              ;   in Loop: Header=BB6_128 Depth=2
	s_and_not1_saveexec_b32 s22, s22
; %bb.191:                              ;   in Loop: Header=BB6_128 Depth=2
	v_and_b32_e32 v11, 0xffff, v10
	v_or_b32_e32 v12, 0x10000, v10
	s_delay_alu instid0(VALU_DEP_2) | instskip(NEXT) | instid1(VALU_DEP_2)
	v_cmp_eq_u32_e32 vcc_lo, 0, v11
	v_cndmask_b32_e32 v115, v12, v10, vcc_lo
; %bb.192:                              ;   in Loop: Header=BB6_128 Depth=2
	s_or_b32 exec_lo, exec_lo, s22
	s_clause 0x1
	global_load_b128 v[14:17], v[86:87], off th:TH_LOAD_NT
	global_load_b128 v[10:13], v[86:87], off offset:512 th:TH_LOAD_NT
	v_and_b32_e32 v118, 0xffff0000, v118
	s_wait_loadcnt 0x1
	v_lshlrev_b32_e32 v59, 16, v14
	s_delay_alu instid0(VALU_DEP_1) | instskip(NEXT) | instid1(VALU_DEP_1)
	v_add_f32_e32 v59, v118, v59
	v_and_b32_e32 v118, 0x7f800000, v59
	s_delay_alu instid0(VALU_DEP_1) | instskip(SKIP_2) | instid1(SALU_CYCLE_1)
	v_cmp_ne_u32_e32 vcc_lo, 0x7f800000, v118
                                        ; implicit-def: $vgpr118
	s_wait_xcnt 0x0
	s_and_saveexec_b32 s22, vcc_lo
	s_xor_b32 s22, exec_lo, s22
; %bb.193:                              ;   in Loop: Header=BB6_128 Depth=2
	v_bfe_u32 v118, v59, 16, 1
	s_delay_alu instid0(VALU_DEP_1)
	v_add3_u32 v118, v59, v118, 0x7fff
                                        ; implicit-def: $vgpr59
; %bb.194:                              ;   in Loop: Header=BB6_128 Depth=2
	s_and_not1_saveexec_b32 s22, s22
; %bb.195:                              ;   in Loop: Header=BB6_128 Depth=2
	v_and_b32_e32 v118, 0xffff, v59
	v_or_b32_e32 v60, 0x10000, v59
	s_delay_alu instid0(VALU_DEP_2) | instskip(NEXT) | instid1(VALU_DEP_2)
	v_cmp_eq_u32_e32 vcc_lo, 0, v118
	v_cndmask_b32_e32 v118, v60, v59, vcc_lo
; %bb.196:                              ;   in Loop: Header=BB6_128 Depth=2
	s_or_b32 exec_lo, exec_lo, s22
	v_and_b32_e32 v14, 0xffff0000, v14
	v_and_b32_e32 v57, 0xffff0000, v57
	s_delay_alu instid0(VALU_DEP_1) | instskip(NEXT) | instid1(VALU_DEP_1)
	v_add_f32_e32 v57, v57, v14
	v_and_b32_e32 v14, 0x7f800000, v57
	s_delay_alu instid0(VALU_DEP_1) | instskip(SKIP_1) | instid1(SALU_CYCLE_1)
	v_cmp_ne_u32_e32 vcc_lo, 0x7f800000, v14
                                        ; implicit-def: $vgpr14
	s_and_saveexec_b32 s22, vcc_lo
	s_xor_b32 s22, exec_lo, s22
; %bb.197:                              ;   in Loop: Header=BB6_128 Depth=2
	v_bfe_u32 v14, v57, 16, 1
	s_delay_alu instid0(VALU_DEP_1)
	v_add3_u32 v14, v57, v14, 0x7fff
                                        ; implicit-def: $vgpr57
; %bb.198:                              ;   in Loop: Header=BB6_128 Depth=2
	s_and_not1_saveexec_b32 s22, s22
; %bb.199:                              ;   in Loop: Header=BB6_128 Depth=2
	v_and_b32_e32 v14, 0xffff, v57
	v_or_b32_e32 v59, 0x10000, v57
	s_delay_alu instid0(VALU_DEP_2) | instskip(NEXT) | instid1(VALU_DEP_2)
	v_cmp_eq_u32_e32 vcc_lo, 0, v14
	v_cndmask_b32_e32 v14, v59, v57, vcc_lo
; %bb.200:                              ;   in Loop: Header=BB6_128 Depth=2
	s_or_b32 exec_lo, exec_lo, s22
	v_and_b32_e32 v57, 0xffff0000, v58
	v_lshlrev_b32_e32 v58, 16, v15
	s_delay_alu instid0(VALU_DEP_1) | instskip(NEXT) | instid1(VALU_DEP_1)
	v_add_f32_e32 v58, v57, v58
	v_and_b32_e32 v57, 0x7f800000, v58
	s_delay_alu instid0(VALU_DEP_1) | instskip(SKIP_1) | instid1(SALU_CYCLE_1)
	v_cmp_ne_u32_e32 vcc_lo, 0x7f800000, v57
                                        ; implicit-def: $vgpr57
	s_and_saveexec_b32 s22, vcc_lo
	s_xor_b32 s22, exec_lo, s22
; %bb.201:                              ;   in Loop: Header=BB6_128 Depth=2
	v_bfe_u32 v57, v58, 16, 1
	s_delay_alu instid0(VALU_DEP_1)
	v_add3_u32 v57, v58, v57, 0x7fff
                                        ; implicit-def: $vgpr58
; %bb.202:                              ;   in Loop: Header=BB6_128 Depth=2
	s_and_not1_saveexec_b32 s22, s22
; %bb.203:                              ;   in Loop: Header=BB6_128 Depth=2
	v_and_b32_e32 v57, 0xffff, v58
	v_or_b32_e32 v59, 0x10000, v58
	s_delay_alu instid0(VALU_DEP_2) | instskip(NEXT) | instid1(VALU_DEP_2)
	v_cmp_eq_u32_e32 vcc_lo, 0, v57
	v_cndmask_b32_e32 v57, v59, v58, vcc_lo
; %bb.204:                              ;   in Loop: Header=BB6_128 Depth=2
	s_or_b32 exec_lo, exec_lo, s22
	v_and_b32_e32 v15, 0xffff0000, v15
	v_and_b32_e32 v47, 0xffff0000, v47
	s_delay_alu instid0(VALU_DEP_1) | instskip(NEXT) | instid1(VALU_DEP_1)
	v_add_f32_e32 v47, v47, v15
	v_and_b32_e32 v15, 0x7f800000, v47
	s_delay_alu instid0(VALU_DEP_1) | instskip(SKIP_1) | instid1(SALU_CYCLE_1)
	v_cmp_ne_u32_e32 vcc_lo, 0x7f800000, v15
                                        ; implicit-def: $vgpr15
	s_and_saveexec_b32 s22, vcc_lo
	s_xor_b32 s22, exec_lo, s22
; %bb.205:                              ;   in Loop: Header=BB6_128 Depth=2
	v_bfe_u32 v15, v47, 16, 1
	s_delay_alu instid0(VALU_DEP_1)
	v_add3_u32 v15, v47, v15, 0x7fff
                                        ; implicit-def: $vgpr47
; %bb.206:                              ;   in Loop: Header=BB6_128 Depth=2
	s_and_not1_saveexec_b32 s22, s22
; %bb.207:                              ;   in Loop: Header=BB6_128 Depth=2
	v_and_b32_e32 v15, 0xffff, v47
	v_or_b32_e32 v58, 0x10000, v47
	s_delay_alu instid0(VALU_DEP_2) | instskip(NEXT) | instid1(VALU_DEP_2)
	v_cmp_eq_u32_e32 vcc_lo, 0, v15
	v_cndmask_b32_e32 v15, v58, v47, vcc_lo
; %bb.208:                              ;   in Loop: Header=BB6_128 Depth=2
	s_or_b32 exec_lo, exec_lo, s22
	v_and_b32_e32 v47, 0xffff0000, v56
	v_lshlrev_b32_e32 v56, 16, v16
	s_delay_alu instid0(VALU_DEP_1) | instskip(NEXT) | instid1(VALU_DEP_1)
	v_add_f32_e32 v56, v47, v56
	v_and_b32_e32 v47, 0x7f800000, v56
	s_delay_alu instid0(VALU_DEP_1) | instskip(SKIP_1) | instid1(SALU_CYCLE_1)
	v_cmp_ne_u32_e32 vcc_lo, 0x7f800000, v47
                                        ; implicit-def: $vgpr47
	s_and_saveexec_b32 s22, vcc_lo
	s_xor_b32 s22, exec_lo, s22
; %bb.209:                              ;   in Loop: Header=BB6_128 Depth=2
	v_bfe_u32 v47, v56, 16, 1
	s_delay_alu instid0(VALU_DEP_1)
	v_add3_u32 v47, v56, v47, 0x7fff
                                        ; implicit-def: $vgpr56
; %bb.210:                              ;   in Loop: Header=BB6_128 Depth=2
	s_and_not1_saveexec_b32 s22, s22
; %bb.211:                              ;   in Loop: Header=BB6_128 Depth=2
	v_and_b32_e32 v47, 0xffff, v56
	v_or_b32_e32 v58, 0x10000, v56
	s_delay_alu instid0(VALU_DEP_2) | instskip(NEXT) | instid1(VALU_DEP_2)
	v_cmp_eq_u32_e32 vcc_lo, 0, v47
	v_cndmask_b32_e32 v47, v58, v56, vcc_lo
; %bb.212:                              ;   in Loop: Header=BB6_128 Depth=2
	s_or_b32 exec_lo, exec_lo, s22
	v_and_b32_e32 v16, 0xffff0000, v16
	v_and_b32_e32 v45, 0xffff0000, v45
	s_delay_alu instid0(VALU_DEP_1) | instskip(NEXT) | instid1(VALU_DEP_1)
	v_add_f32_e32 v45, v45, v16
	v_and_b32_e32 v16, 0x7f800000, v45
	s_delay_alu instid0(VALU_DEP_1) | instskip(SKIP_1) | instid1(SALU_CYCLE_1)
	v_cmp_ne_u32_e32 vcc_lo, 0x7f800000, v16
                                        ; implicit-def: $vgpr16
	s_and_saveexec_b32 s22, vcc_lo
	s_xor_b32 s22, exec_lo, s22
; %bb.213:                              ;   in Loop: Header=BB6_128 Depth=2
	v_bfe_u32 v16, v45, 16, 1
	s_delay_alu instid0(VALU_DEP_1)
	v_add3_u32 v16, v45, v16, 0x7fff
                                        ; implicit-def: $vgpr45
; %bb.214:                              ;   in Loop: Header=BB6_128 Depth=2
	s_and_not1_saveexec_b32 s22, s22
; %bb.215:                              ;   in Loop: Header=BB6_128 Depth=2
	v_and_b32_e32 v16, 0xffff, v45
	v_or_b32_e32 v56, 0x10000, v45
	s_delay_alu instid0(VALU_DEP_2) | instskip(NEXT) | instid1(VALU_DEP_2)
	v_cmp_eq_u32_e32 vcc_lo, 0, v16
	v_cndmask_b32_e32 v16, v56, v45, vcc_lo
; %bb.216:                              ;   in Loop: Header=BB6_128 Depth=2
	s_or_b32 exec_lo, exec_lo, s22
	v_and_b32_e32 v45, 0xffff0000, v46
	v_lshlrev_b32_e32 v46, 16, v17
	s_delay_alu instid0(VALU_DEP_1) | instskip(NEXT) | instid1(VALU_DEP_1)
	v_add_f32_e32 v46, v45, v46
	v_and_b32_e32 v45, 0x7f800000, v46
	s_delay_alu instid0(VALU_DEP_1) | instskip(SKIP_1) | instid1(SALU_CYCLE_1)
	v_cmp_ne_u32_e32 vcc_lo, 0x7f800000, v45
                                        ; implicit-def: $vgpr45
	s_and_saveexec_b32 s22, vcc_lo
	s_xor_b32 s22, exec_lo, s22
; %bb.217:                              ;   in Loop: Header=BB6_128 Depth=2
	v_bfe_u32 v45, v46, 16, 1
	s_delay_alu instid0(VALU_DEP_1)
	v_add3_u32 v45, v46, v45, 0x7fff
                                        ; implicit-def: $vgpr46
; %bb.218:                              ;   in Loop: Header=BB6_128 Depth=2
	s_and_not1_saveexec_b32 s22, s22
; %bb.219:                              ;   in Loop: Header=BB6_128 Depth=2
	v_and_b32_e32 v45, 0xffff, v46
	v_or_b32_e32 v56, 0x10000, v46
	s_delay_alu instid0(VALU_DEP_2) | instskip(NEXT) | instid1(VALU_DEP_2)
	v_cmp_eq_u32_e32 vcc_lo, 0, v45
	v_cndmask_b32_e32 v45, v56, v46, vcc_lo
; %bb.220:                              ;   in Loop: Header=BB6_128 Depth=2
	s_or_b32 exec_lo, exec_lo, s22
	v_and_b32_e32 v17, 0xffff0000, v17
	v_and_b32_e32 v43, 0xffff0000, v43
	s_delay_alu instid0(VALU_DEP_1) | instskip(NEXT) | instid1(VALU_DEP_1)
	v_add_f32_e32 v43, v43, v17
	v_and_b32_e32 v17, 0x7f800000, v43
	s_delay_alu instid0(VALU_DEP_1) | instskip(SKIP_1) | instid1(SALU_CYCLE_1)
	v_cmp_ne_u32_e32 vcc_lo, 0x7f800000, v17
                                        ; implicit-def: $vgpr17
	s_and_saveexec_b32 s22, vcc_lo
	s_xor_b32 s22, exec_lo, s22
; %bb.221:                              ;   in Loop: Header=BB6_128 Depth=2
	v_bfe_u32 v17, v43, 16, 1
	s_delay_alu instid0(VALU_DEP_1)
	v_add3_u32 v17, v43, v17, 0x7fff
                                        ; implicit-def: $vgpr43
; %bb.222:                              ;   in Loop: Header=BB6_128 Depth=2
	s_and_not1_saveexec_b32 s22, s22
; %bb.223:                              ;   in Loop: Header=BB6_128 Depth=2
	v_and_b32_e32 v17, 0xffff, v43
	v_or_b32_e32 v46, 0x10000, v43
	s_delay_alu instid0(VALU_DEP_2) | instskip(NEXT) | instid1(VALU_DEP_2)
	v_cmp_eq_u32_e32 vcc_lo, 0, v17
	v_cndmask_b32_e32 v17, v46, v43, vcc_lo
; %bb.224:                              ;   in Loop: Header=BB6_128 Depth=2
	s_or_b32 exec_lo, exec_lo, s22
	v_and_b32_e32 v43, 0xffff0000, v44
	s_wait_loadcnt 0x0
	v_lshlrev_b32_e32 v44, 16, v10
	s_delay_alu instid0(VALU_DEP_1) | instskip(NEXT) | instid1(VALU_DEP_1)
	v_add_f32_e32 v44, v43, v44
	v_and_b32_e32 v43, 0x7f800000, v44
	s_delay_alu instid0(VALU_DEP_1) | instskip(SKIP_1) | instid1(SALU_CYCLE_1)
	v_cmp_ne_u32_e32 vcc_lo, 0x7f800000, v43
                                        ; implicit-def: $vgpr43
	s_and_saveexec_b32 s22, vcc_lo
	s_xor_b32 s22, exec_lo, s22
; %bb.225:                              ;   in Loop: Header=BB6_128 Depth=2
	v_bfe_u32 v43, v44, 16, 1
	s_delay_alu instid0(VALU_DEP_1)
	v_add3_u32 v43, v44, v43, 0x7fff
                                        ; implicit-def: $vgpr44
; %bb.226:                              ;   in Loop: Header=BB6_128 Depth=2
	s_and_not1_saveexec_b32 s22, s22
; %bb.227:                              ;   in Loop: Header=BB6_128 Depth=2
	v_and_b32_e32 v43, 0xffff, v44
	v_or_b32_e32 v46, 0x10000, v44
	s_delay_alu instid0(VALU_DEP_2) | instskip(NEXT) | instid1(VALU_DEP_2)
	v_cmp_eq_u32_e32 vcc_lo, 0, v43
	v_cndmask_b32_e32 v43, v46, v44, vcc_lo
; %bb.228:                              ;   in Loop: Header=BB6_128 Depth=2
	s_or_b32 exec_lo, exec_lo, s22
	v_and_b32_e32 v10, 0xffff0000, v10
	v_and_b32_e32 v41, 0xffff0000, v41
	s_delay_alu instid0(VALU_DEP_1) | instskip(NEXT) | instid1(VALU_DEP_1)
	v_add_f32_e32 v41, v41, v10
	v_and_b32_e32 v10, 0x7f800000, v41
	s_delay_alu instid0(VALU_DEP_1) | instskip(SKIP_1) | instid1(SALU_CYCLE_1)
	v_cmp_ne_u32_e32 vcc_lo, 0x7f800000, v10
                                        ; implicit-def: $vgpr10
	s_and_saveexec_b32 s22, vcc_lo
	s_xor_b32 s22, exec_lo, s22
; %bb.229:                              ;   in Loop: Header=BB6_128 Depth=2
	v_bfe_u32 v10, v41, 16, 1
	s_delay_alu instid0(VALU_DEP_1)
	v_add3_u32 v10, v41, v10, 0x7fff
                                        ; implicit-def: $vgpr41
; %bb.230:                              ;   in Loop: Header=BB6_128 Depth=2
	s_and_not1_saveexec_b32 s22, s22
; %bb.231:                              ;   in Loop: Header=BB6_128 Depth=2
	v_and_b32_e32 v10, 0xffff, v41
	v_or_b32_e32 v44, 0x10000, v41
	s_delay_alu instid0(VALU_DEP_2) | instskip(NEXT) | instid1(VALU_DEP_2)
	v_cmp_eq_u32_e32 vcc_lo, 0, v10
	v_cndmask_b32_e32 v10, v44, v41, vcc_lo
; %bb.232:                              ;   in Loop: Header=BB6_128 Depth=2
	s_or_b32 exec_lo, exec_lo, s22
	v_and_b32_e32 v41, 0xffff0000, v42
	v_lshlrev_b32_e32 v42, 16, v11
	s_delay_alu instid0(VALU_DEP_1) | instskip(NEXT) | instid1(VALU_DEP_1)
	v_add_f32_e32 v42, v41, v42
	v_and_b32_e32 v41, 0x7f800000, v42
	s_delay_alu instid0(VALU_DEP_1) | instskip(SKIP_1) | instid1(SALU_CYCLE_1)
	v_cmp_ne_u32_e32 vcc_lo, 0x7f800000, v41
                                        ; implicit-def: $vgpr41
	s_and_saveexec_b32 s22, vcc_lo
	s_xor_b32 s22, exec_lo, s22
; %bb.233:                              ;   in Loop: Header=BB6_128 Depth=2
	v_bfe_u32 v41, v42, 16, 1
	s_delay_alu instid0(VALU_DEP_1)
	v_add3_u32 v41, v42, v41, 0x7fff
                                        ; implicit-def: $vgpr42
; %bb.234:                              ;   in Loop: Header=BB6_128 Depth=2
	s_and_not1_saveexec_b32 s22, s22
; %bb.235:                              ;   in Loop: Header=BB6_128 Depth=2
	v_and_b32_e32 v41, 0xffff, v42
	v_or_b32_e32 v44, 0x10000, v42
	s_delay_alu instid0(VALU_DEP_2) | instskip(NEXT) | instid1(VALU_DEP_2)
	v_cmp_eq_u32_e32 vcc_lo, 0, v41
	v_cndmask_b32_e32 v41, v44, v42, vcc_lo
; %bb.236:                              ;   in Loop: Header=BB6_128 Depth=2
	s_or_b32 exec_lo, exec_lo, s22
	v_and_b32_e32 v11, 0xffff0000, v11
	v_and_b32_e32 v119, 0xffff0000, v119
	s_delay_alu instid0(VALU_DEP_1) | instskip(NEXT) | instid1(VALU_DEP_1)
	v_add_f32_e32 v119, v119, v11
	v_and_b32_e32 v11, 0x7f800000, v119
	s_delay_alu instid0(VALU_DEP_1) | instskip(SKIP_1) | instid1(SALU_CYCLE_1)
	v_cmp_ne_u32_e32 vcc_lo, 0x7f800000, v11
                                        ; implicit-def: $vgpr11
	s_and_saveexec_b32 s22, vcc_lo
	s_xor_b32 s22, exec_lo, s22
; %bb.237:                              ;   in Loop: Header=BB6_128 Depth=2
	v_bfe_u32 v11, v119, 16, 1
	s_delay_alu instid0(VALU_DEP_1)
	v_add3_u32 v11, v119, v11, 0x7fff
                                        ; implicit-def: $vgpr119
; %bb.238:                              ;   in Loop: Header=BB6_128 Depth=2
	s_and_not1_saveexec_b32 s22, s22
; %bb.239:                              ;   in Loop: Header=BB6_128 Depth=2
	v_and_b32_e32 v11, 0xffff, v119
	v_or_b32_e32 v42, 0x10000, v119
	s_delay_alu instid0(VALU_DEP_2) | instskip(NEXT) | instid1(VALU_DEP_2)
	v_cmp_eq_u32_e32 vcc_lo, 0, v11
	v_cndmask_b32_e32 v11, v42, v119, vcc_lo
; %bb.240:                              ;   in Loop: Header=BB6_128 Depth=2
	s_or_b32 exec_lo, exec_lo, s22
	v_and_b32_e32 v119, 0xffff0000, v40
	v_lshlrev_b32_e32 v40, 16, v12
	s_delay_alu instid0(VALU_DEP_1) | instskip(NEXT) | instid1(VALU_DEP_1)
	v_add_f32_e32 v40, v119, v40
	v_and_b32_e32 v119, 0x7f800000, v40
	s_delay_alu instid0(VALU_DEP_1) | instskip(SKIP_1) | instid1(SALU_CYCLE_1)
	v_cmp_ne_u32_e32 vcc_lo, 0x7f800000, v119
                                        ; implicit-def: $vgpr119
	s_and_saveexec_b32 s22, vcc_lo
	s_xor_b32 s22, exec_lo, s22
; %bb.241:                              ;   in Loop: Header=BB6_128 Depth=2
	v_bfe_u32 v119, v40, 16, 1
	s_delay_alu instid0(VALU_DEP_1)
	v_add3_u32 v119, v40, v119, 0x7fff
                                        ; implicit-def: $vgpr40
; %bb.242:                              ;   in Loop: Header=BB6_128 Depth=2
	s_and_not1_saveexec_b32 s22, s22
; %bb.243:                              ;   in Loop: Header=BB6_128 Depth=2
	v_and_b32_e32 v119, 0xffff, v40
	v_or_b32_e32 v42, 0x10000, v40
	s_delay_alu instid0(VALU_DEP_2) | instskip(NEXT) | instid1(VALU_DEP_2)
	v_cmp_eq_u32_e32 vcc_lo, 0, v119
	v_cndmask_b32_e32 v119, v42, v40, vcc_lo
; %bb.244:                              ;   in Loop: Header=BB6_128 Depth=2
	s_or_b32 exec_lo, exec_lo, s22
	v_and_b32_e32 v12, 0xffff0000, v12
	v_and_b32_e32 v116, 0xffff0000, v116
	s_delay_alu instid0(VALU_DEP_1) | instskip(NEXT) | instid1(VALU_DEP_1)
	v_add_f32_e32 v116, v116, v12
	v_and_b32_e32 v12, 0x7f800000, v116
	s_delay_alu instid0(VALU_DEP_1) | instskip(SKIP_1) | instid1(SALU_CYCLE_1)
	v_cmp_ne_u32_e32 vcc_lo, 0x7f800000, v12
                                        ; implicit-def: $vgpr12
	s_and_saveexec_b32 s22, vcc_lo
	s_xor_b32 s22, exec_lo, s22
; %bb.245:                              ;   in Loop: Header=BB6_128 Depth=2
	v_bfe_u32 v12, v116, 16, 1
	s_delay_alu instid0(VALU_DEP_1)
	v_add3_u32 v12, v116, v12, 0x7fff
                                        ; implicit-def: $vgpr116
; %bb.246:                              ;   in Loop: Header=BB6_128 Depth=2
	s_and_not1_saveexec_b32 s22, s22
; %bb.247:                              ;   in Loop: Header=BB6_128 Depth=2
	v_and_b32_e32 v12, 0xffff, v116
	v_or_b32_e32 v40, 0x10000, v116
	s_delay_alu instid0(VALU_DEP_2) | instskip(NEXT) | instid1(VALU_DEP_2)
	v_cmp_eq_u32_e32 vcc_lo, 0, v12
	v_cndmask_b32_e32 v12, v40, v116, vcc_lo
; %bb.248:                              ;   in Loop: Header=BB6_128 Depth=2
	s_or_b32 exec_lo, exec_lo, s22
	v_and_b32_e32 v116, 0xffff0000, v117
	v_lshlrev_b32_e32 v117, 16, v13
	s_delay_alu instid0(VALU_DEP_1) | instskip(NEXT) | instid1(VALU_DEP_1)
	v_add_f32_e32 v117, v116, v117
	v_and_b32_e32 v116, 0x7f800000, v117
	s_delay_alu instid0(VALU_DEP_1) | instskip(SKIP_1) | instid1(SALU_CYCLE_1)
	v_cmp_ne_u32_e32 vcc_lo, 0x7f800000, v116
                                        ; implicit-def: $vgpr116
	s_and_saveexec_b32 s22, vcc_lo
	s_xor_b32 s22, exec_lo, s22
; %bb.249:                              ;   in Loop: Header=BB6_128 Depth=2
	v_bfe_u32 v116, v117, 16, 1
	s_delay_alu instid0(VALU_DEP_1)
	v_add3_u32 v116, v117, v116, 0x7fff
                                        ; implicit-def: $vgpr117
; %bb.250:                              ;   in Loop: Header=BB6_128 Depth=2
	s_and_not1_saveexec_b32 s22, s22
; %bb.251:                              ;   in Loop: Header=BB6_128 Depth=2
	v_and_b32_e32 v116, 0xffff, v117
	v_or_b32_e32 v40, 0x10000, v117
	s_delay_alu instid0(VALU_DEP_2) | instskip(NEXT) | instid1(VALU_DEP_2)
	v_cmp_eq_u32_e32 vcc_lo, 0, v116
	v_cndmask_b32_e32 v116, v40, v117, vcc_lo
; %bb.252:                              ;   in Loop: Header=BB6_128 Depth=2
	s_or_b32 exec_lo, exec_lo, s22
	v_and_b32_e32 v13, 0xffff0000, v13
	v_and_b32_e32 v115, 0xffff0000, v115
	s_delay_alu instid0(VALU_DEP_1) | instskip(NEXT) | instid1(VALU_DEP_1)
	v_add_f32_e32 v115, v115, v13
	v_and_b32_e32 v13, 0x7f800000, v115
	s_delay_alu instid0(VALU_DEP_1) | instskip(SKIP_1) | instid1(SALU_CYCLE_1)
	v_cmp_ne_u32_e32 vcc_lo, 0x7f800000, v13
                                        ; implicit-def: $vgpr13
	s_and_saveexec_b32 s22, vcc_lo
	s_xor_b32 s22, exec_lo, s22
; %bb.253:                              ;   in Loop: Header=BB6_128 Depth=2
	v_bfe_u32 v13, v115, 16, 1
	s_delay_alu instid0(VALU_DEP_1)
	v_add3_u32 v13, v115, v13, 0x7fff
                                        ; implicit-def: $vgpr115
; %bb.254:                              ;   in Loop: Header=BB6_128 Depth=2
	s_and_not1_saveexec_b32 s22, s22
	s_cbranch_execz .LBB6_127
; %bb.255:                              ;   in Loop: Header=BB6_128 Depth=2
	v_and_b32_e32 v13, 0xffff, v115
	v_or_b32_e32 v117, 0x10000, v115
	s_delay_alu instid0(VALU_DEP_2) | instskip(NEXT) | instid1(VALU_DEP_2)
	v_cmp_eq_u32_e32 vcc_lo, 0, v13
	v_cndmask_b32_e32 v13, v117, v115, vcc_lo
	s_branch .LBB6_127
.LBB6_256:                              ;   in Loop: Header=BB6_49 Depth=1
	s_or_b32 exec_lo, exec_lo, s21
.LBB6_257:                              ;   in Loop: Header=BB6_49 Depth=1
	s_delay_alu instid0(SALU_CYCLE_1) | instskip(SKIP_3) | instid1(VALU_DEP_1)
	s_or_b32 exec_lo, exec_lo, s7
	v_dual_lshlrev_b32 v86, 10, v113 :: v_dual_mov_b32 v16, 0
	s_mov_b32 s22, 0
	s_mov_b32 s21, exec_lo
                                        ; implicit-def: $vgpr17
	v_cmpx_ne_u32_e64 v103, v86
	s_cbranch_execz .LBB6_327
; %bb.258:                              ;   in Loop: Header=BB6_49 Depth=1
	v_dual_lshlrev_b32 v10, 5, v112 :: v_dual_sub_nc_u32 v12, v103, v86
	s_mov_b32 s22, exec_lo
	s_delay_alu instid0(VALU_DEP_1) | instskip(NEXT) | instid1(VALU_DEP_1)
	v_dual_sub_nc_u32 v10, v100, v10 :: v_dual_ashrrev_i32 v13, 31, v12
	v_dual_ashrrev_i32 v11, 31, v10 :: v_dual_lshrrev_b32 v13, 23, v13
	s_delay_alu instid0(VALU_DEP_1) | instskip(NEXT) | instid1(VALU_DEP_1)
	v_lshrrev_b32_e32 v11, 27, v11
	v_add_nc_u32_e32 v11, v10, v11
	s_delay_alu instid0(VALU_DEP_1) | instskip(NEXT) | instid1(VALU_DEP_1)
	v_and_b32_e32 v14, 0xffffffe0, v11
	v_dual_add_nc_u32 v13, v12, v13 :: v_dual_sub_nc_u32 v87, v10, v14
	s_delay_alu instid0(VALU_DEP_1) | instskip(SKIP_1) | instid1(VALU_DEP_2)
	v_and_b32_e32 v96, 0xfffffe00, v13
	v_dual_ashrrev_i32 v11, 5, v11 :: v_dual_ashrrev_i32 v13, 9, v13
	v_dual_lshlrev_b32 v10, 4, v87 :: v_dual_sub_nc_u32 v97, v12, v96
	s_delay_alu instid0(VALU_DEP_1) | instskip(NEXT) | instid1(VALU_DEP_2)
	v_lshl_add_u32 v10, v11, 9, v10
	v_cmp_lt_i32_e32 vcc_lo, 15, v97
	s_delay_alu instid0(VALU_DEP_4) | instskip(NEXT) | instid1(VALU_DEP_1)
	v_add_co_ci_u32_e64 v13, null, 0, v13, vcc_lo
	v_dual_sub_nc_u32 v113, v12, v10 :: v_dual_sub_nc_u32 v112, v13, v11
	s_delay_alu instid0(VALU_DEP_1)
	v_cmpx_lt_i32_e32 15, v113
	s_cbranch_execz .LBB6_326
; %bb.259:                              ;   in Loop: Header=BB6_49 Depth=1
	s_trap 2
	ds_load_b64 v[12:13], v0
	ds_load_b32 v114, v0
	v_add_nc_u32_e32 v10, v10, v86
	s_mov_b32 s23, 0
	s_delay_alu instid0(VALU_DEP_1) | instskip(NEXT) | instid1(VALU_DEP_1)
	v_ashrrev_i32_e32 v11, 31, v10
	v_add_nc_u64_e32 v[14:15], v[10:11], v[80:81]
	v_add_nc_u64_e32 v[84:85], v[10:11], v[82:83]
	s_wait_dscnt 0x1
	v_add_nc_u64_e32 v[16:17], v[12:13], v[10:11]
	s_wait_dscnt 0x0
	v_lshlrev_b32_e32 v114, 16, v114
	s_branch .LBB6_261
.LBB6_260:                              ;   in Loop: Header=BB6_261 Depth=2
	s_or_b32 exec_lo, exec_lo, s24
	v_dual_lshrrev_b32 v115, 16, v41 :: v_dual_lshrrev_b32 v116, 16, v116
	v_dual_lshrrev_b32 v118, 16, v119 :: v_dual_lshrrev_b32 v117, 16, v117
	v_dual_sub_nc_u32 v113, v113, v54 :: v_dual_sub_nc_u32 v112, v112, v48
	s_delay_alu instid0(VALU_DEP_3) | instskip(NEXT) | instid1(VALU_DEP_4)
	v_and_or_b32 v11, 0xffff0000, v11, v115
	v_and_or_b32 v10, 0xffff0000, v10, v116
	s_delay_alu instid0(VALU_DEP_4)
	v_and_or_b32 v12, 0xffff0000, v12, v118
	v_and_or_b32 v13, 0xffff0000, v13, v117
	v_add_nc_u64_e32 v[14:15], v[14:15], v[54:55]
	v_add_nc_u64_e32 v[16:17], v[16:17], v[54:55]
	v_cmp_gt_i32_e64 s7, 16, v113
	global_store_b128 v[84:85], v[10:13], off th:TH_STORE_NT
	s_wait_xcnt 0x0
	v_add_nc_u64_e32 v[84:85], v[84:85], v[54:55]
	s_or_b32 s23, s7, s23
	s_delay_alu instid0(SALU_CYCLE_1)
	s_and_not1_b32 exec_lo, exec_lo, s23
	s_cbranch_execz .LBB6_325
.LBB6_261:                              ;   Parent Loop BB6_49 Depth=1
                                        ; =>  This Inner Loop Header: Depth=2
	global_load_b128 v[10:13], v[14:15], off th:TH_LOAD_NT
	s_wait_loadcnt 0x0
	v_lshlrev_b32_e32 v115, 16, v10
	s_delay_alu instid0(VALU_DEP_1) | instskip(NEXT) | instid1(VALU_DEP_1)
	v_mul_f32_e32 v115, v114, v115
	v_and_b32_e32 v116, 0x7f800000, v115
	s_delay_alu instid0(VALU_DEP_1) | instskip(SKIP_2) | instid1(SALU_CYCLE_1)
	v_cmp_ne_u32_e64 s7, 0x7f800000, v116
                                        ; implicit-def: $vgpr116
	s_wait_xcnt 0x0
	s_and_saveexec_b32 s24, s7
	s_xor_b32 s7, exec_lo, s24
; %bb.262:                              ;   in Loop: Header=BB6_261 Depth=2
	v_bfe_u32 v116, v115, 16, 1
	s_delay_alu instid0(VALU_DEP_1)
	v_add3_u32 v116, v115, v116, 0x7fff
                                        ; implicit-def: $vgpr115
; %bb.263:                              ;   in Loop: Header=BB6_261 Depth=2
	s_and_not1_saveexec_b32 s24, s7
; %bb.264:                              ;   in Loop: Header=BB6_261 Depth=2
	v_and_b32_e32 v116, 0xffff, v115
	v_or_b32_e32 v117, 0x10000, v115
	s_delay_alu instid0(VALU_DEP_2) | instskip(NEXT) | instid1(VALU_DEP_1)
	v_cmp_eq_u32_e64 s7, 0, v116
	v_cndmask_b32_e64 v116, v117, v115, s7
; %bb.265:                              ;   in Loop: Header=BB6_261 Depth=2
	s_or_b32 exec_lo, exec_lo, s24
	v_and_b32_e32 v10, 0xffff0000, v10
                                        ; implicit-def: $vgpr42
	s_delay_alu instid0(VALU_DEP_1) | instskip(NEXT) | instid1(VALU_DEP_1)
	v_mul_f32_e32 v10, v114, v10
	v_and_b32_e32 v115, 0x7f800000, v10
	s_delay_alu instid0(VALU_DEP_1) | instskip(SKIP_1) | instid1(SALU_CYCLE_1)
	v_cmp_ne_u32_e64 s7, 0x7f800000, v115
	s_and_saveexec_b32 s24, s7
	s_xor_b32 s7, exec_lo, s24
; %bb.266:                              ;   in Loop: Header=BB6_261 Depth=2
	v_bfe_u32 v115, v10, 16, 1
	s_delay_alu instid0(VALU_DEP_1)
	v_add3_u32 v42, v10, v115, 0x7fff
                                        ; implicit-def: $vgpr10
; %bb.267:                              ;   in Loop: Header=BB6_261 Depth=2
	s_and_not1_saveexec_b32 s24, s7
; %bb.268:                              ;   in Loop: Header=BB6_261 Depth=2
	v_and_b32_e32 v115, 0xffff, v10
	v_or_b32_e32 v117, 0x10000, v10
	s_delay_alu instid0(VALU_DEP_2) | instskip(NEXT) | instid1(VALU_DEP_1)
	v_cmp_eq_u32_e64 s7, 0, v115
	v_cndmask_b32_e64 v42, v117, v10, s7
; %bb.269:                              ;   in Loop: Header=BB6_261 Depth=2
	s_or_b32 exec_lo, exec_lo, s24
	v_lshlrev_b32_e32 v10, 16, v11
                                        ; implicit-def: $vgpr41
	s_delay_alu instid0(VALU_DEP_1) | instskip(NEXT) | instid1(VALU_DEP_1)
	v_mul_f32_e32 v10, v114, v10
	v_and_b32_e32 v115, 0x7f800000, v10
	s_delay_alu instid0(VALU_DEP_1) | instskip(SKIP_1) | instid1(SALU_CYCLE_1)
	v_cmp_ne_u32_e64 s7, 0x7f800000, v115
	s_and_saveexec_b32 s24, s7
	s_xor_b32 s7, exec_lo, s24
; %bb.270:                              ;   in Loop: Header=BB6_261 Depth=2
	v_bfe_u32 v115, v10, 16, 1
	s_delay_alu instid0(VALU_DEP_1)
	v_add3_u32 v41, v10, v115, 0x7fff
                                        ; implicit-def: $vgpr10
; %bb.271:                              ;   in Loop: Header=BB6_261 Depth=2
	s_and_not1_saveexec_b32 s24, s7
; %bb.272:                              ;   in Loop: Header=BB6_261 Depth=2
	v_and_b32_e32 v115, 0xffff, v10
	v_or_b32_e32 v117, 0x10000, v10
	s_delay_alu instid0(VALU_DEP_2) | instskip(NEXT) | instid1(VALU_DEP_1)
	v_cmp_eq_u32_e64 s7, 0, v115
	v_cndmask_b32_e64 v41, v117, v10, s7
; %bb.273:                              ;   in Loop: Header=BB6_261 Depth=2
	s_or_b32 exec_lo, exec_lo, s24
	v_and_b32_e32 v10, 0xffff0000, v11
                                        ; implicit-def: $vgpr40
	s_delay_alu instid0(VALU_DEP_1) | instskip(NEXT) | instid1(VALU_DEP_1)
	v_mul_f32_e32 v10, v114, v10
	v_and_b32_e32 v11, 0x7f800000, v10
	s_delay_alu instid0(VALU_DEP_1) | instskip(SKIP_1) | instid1(SALU_CYCLE_1)
	v_cmp_ne_u32_e64 s7, 0x7f800000, v11
	s_and_saveexec_b32 s24, s7
	s_xor_b32 s7, exec_lo, s24
; %bb.274:                              ;   in Loop: Header=BB6_261 Depth=2
	v_bfe_u32 v11, v10, 16, 1
	s_delay_alu instid0(VALU_DEP_1)
	v_add3_u32 v40, v10, v11, 0x7fff
                                        ; implicit-def: $vgpr10
; %bb.275:                              ;   in Loop: Header=BB6_261 Depth=2
	s_and_not1_saveexec_b32 s24, s7
; %bb.276:                              ;   in Loop: Header=BB6_261 Depth=2
	v_and_b32_e32 v11, 0xffff, v10
	v_or_b32_e32 v115, 0x10000, v10
	s_delay_alu instid0(VALU_DEP_2) | instskip(NEXT) | instid1(VALU_DEP_1)
	v_cmp_eq_u32_e64 s7, 0, v11
	v_cndmask_b32_e64 v40, v115, v10, s7
; %bb.277:                              ;   in Loop: Header=BB6_261 Depth=2
	s_or_b32 exec_lo, exec_lo, s24
	v_lshlrev_b32_e32 v10, 16, v12
                                        ; implicit-def: $vgpr119
	s_delay_alu instid0(VALU_DEP_1) | instskip(NEXT) | instid1(VALU_DEP_1)
	v_mul_f32_e32 v10, v114, v10
	v_and_b32_e32 v11, 0x7f800000, v10
	s_delay_alu instid0(VALU_DEP_1) | instskip(SKIP_1) | instid1(SALU_CYCLE_1)
	v_cmp_ne_u32_e64 s7, 0x7f800000, v11
	s_and_saveexec_b32 s24, s7
	s_xor_b32 s7, exec_lo, s24
; %bb.278:                              ;   in Loop: Header=BB6_261 Depth=2
	v_bfe_u32 v11, v10, 16, 1
	s_delay_alu instid0(VALU_DEP_1)
	v_add3_u32 v119, v10, v11, 0x7fff
                                        ; implicit-def: $vgpr10
; %bb.279:                              ;   in Loop: Header=BB6_261 Depth=2
	s_and_not1_saveexec_b32 s24, s7
; %bb.280:                              ;   in Loop: Header=BB6_261 Depth=2
	v_and_b32_e32 v11, 0xffff, v10
	v_or_b32_e32 v115, 0x10000, v10
	s_delay_alu instid0(VALU_DEP_2) | instskip(NEXT) | instid1(VALU_DEP_1)
	v_cmp_eq_u32_e64 s7, 0, v11
	v_cndmask_b32_e64 v119, v115, v10, s7
; %bb.281:                              ;   in Loop: Header=BB6_261 Depth=2
	s_or_b32 exec_lo, exec_lo, s24
	v_and_b32_e32 v10, 0xffff0000, v12
                                        ; implicit-def: $vgpr118
	s_delay_alu instid0(VALU_DEP_1) | instskip(NEXT) | instid1(VALU_DEP_1)
	v_mul_f32_e32 v10, v114, v10
	v_and_b32_e32 v11, 0x7f800000, v10
	s_delay_alu instid0(VALU_DEP_1) | instskip(SKIP_1) | instid1(SALU_CYCLE_1)
	v_cmp_ne_u32_e64 s7, 0x7f800000, v11
	s_and_saveexec_b32 s24, s7
	s_xor_b32 s7, exec_lo, s24
; %bb.282:                              ;   in Loop: Header=BB6_261 Depth=2
	v_bfe_u32 v11, v10, 16, 1
	s_delay_alu instid0(VALU_DEP_1)
	v_add3_u32 v118, v10, v11, 0x7fff
                                        ; implicit-def: $vgpr10
; %bb.283:                              ;   in Loop: Header=BB6_261 Depth=2
	s_and_not1_saveexec_b32 s24, s7
; %bb.284:                              ;   in Loop: Header=BB6_261 Depth=2
	v_and_b32_e32 v11, 0xffff, v10
	v_or_b32_e32 v12, 0x10000, v10
	s_delay_alu instid0(VALU_DEP_2) | instskip(NEXT) | instid1(VALU_DEP_1)
	v_cmp_eq_u32_e64 s7, 0, v11
	v_cndmask_b32_e64 v118, v12, v10, s7
; %bb.285:                              ;   in Loop: Header=BB6_261 Depth=2
	s_or_b32 exec_lo, exec_lo, s24
	v_lshlrev_b32_e32 v10, 16, v13
                                        ; implicit-def: $vgpr117
	s_delay_alu instid0(VALU_DEP_1) | instskip(NEXT) | instid1(VALU_DEP_1)
	v_mul_f32_e32 v10, v114, v10
	v_and_b32_e32 v11, 0x7f800000, v10
	s_delay_alu instid0(VALU_DEP_1) | instskip(SKIP_1) | instid1(SALU_CYCLE_1)
	v_cmp_ne_u32_e64 s7, 0x7f800000, v11
	s_and_saveexec_b32 s24, s7
	s_xor_b32 s7, exec_lo, s24
; %bb.286:                              ;   in Loop: Header=BB6_261 Depth=2
	v_bfe_u32 v11, v10, 16, 1
	s_delay_alu instid0(VALU_DEP_1)
	v_add3_u32 v117, v10, v11, 0x7fff
                                        ; implicit-def: $vgpr10
; %bb.287:                              ;   in Loop: Header=BB6_261 Depth=2
	s_and_not1_saveexec_b32 s24, s7
; %bb.288:                              ;   in Loop: Header=BB6_261 Depth=2
	v_and_b32_e32 v11, 0xffff, v10
	v_or_b32_e32 v12, 0x10000, v10
	s_delay_alu instid0(VALU_DEP_2) | instskip(NEXT) | instid1(VALU_DEP_1)
	v_cmp_eq_u32_e64 s7, 0, v11
	v_cndmask_b32_e64 v117, v12, v10, s7
; %bb.289:                              ;   in Loop: Header=BB6_261 Depth=2
	s_or_b32 exec_lo, exec_lo, s24
	v_and_b32_e32 v10, 0xffff0000, v13
                                        ; implicit-def: $vgpr115
	s_delay_alu instid0(VALU_DEP_1) | instskip(NEXT) | instid1(VALU_DEP_1)
	v_mul_f32_e32 v10, v114, v10
	v_and_b32_e32 v11, 0x7f800000, v10
	s_delay_alu instid0(VALU_DEP_1) | instskip(SKIP_1) | instid1(SALU_CYCLE_1)
	v_cmp_ne_u32_e64 s7, 0x7f800000, v11
	s_and_saveexec_b32 s24, s7
	s_xor_b32 s7, exec_lo, s24
; %bb.290:                              ;   in Loop: Header=BB6_261 Depth=2
	v_bfe_u32 v11, v10, 16, 1
	s_delay_alu instid0(VALU_DEP_1)
	v_add3_u32 v115, v10, v11, 0x7fff
                                        ; implicit-def: $vgpr10
; %bb.291:                              ;   in Loop: Header=BB6_261 Depth=2
	s_and_not1_saveexec_b32 s24, s7
; %bb.292:                              ;   in Loop: Header=BB6_261 Depth=2
	v_and_b32_e32 v11, 0xffff, v10
	v_or_b32_e32 v12, 0x10000, v10
	s_delay_alu instid0(VALU_DEP_2) | instskip(NEXT) | instid1(VALU_DEP_1)
	v_cmp_eq_u32_e64 s7, 0, v11
	v_cndmask_b32_e64 v115, v12, v10, s7
; %bb.293:                              ;   in Loop: Header=BB6_261 Depth=2
	s_or_b32 exec_lo, exec_lo, s24
	global_load_b128 v[10:13], v[16:17], off th:TH_LOAD_NT
	v_and_b32_e32 v116, 0xffff0000, v116
	s_wait_loadcnt 0x0
	v_lshlrev_b32_e32 v43, 16, v10
	s_delay_alu instid0(VALU_DEP_1) | instskip(NEXT) | instid1(VALU_DEP_1)
	v_add_f32_e32 v43, v116, v43
	v_and_b32_e32 v116, 0x7f800000, v43
	s_delay_alu instid0(VALU_DEP_1) | instskip(SKIP_2) | instid1(SALU_CYCLE_1)
	v_cmp_ne_u32_e64 s7, 0x7f800000, v116
                                        ; implicit-def: $vgpr116
	s_wait_xcnt 0x0
	s_and_saveexec_b32 s24, s7
	s_xor_b32 s7, exec_lo, s24
; %bb.294:                              ;   in Loop: Header=BB6_261 Depth=2
	v_bfe_u32 v116, v43, 16, 1
	s_delay_alu instid0(VALU_DEP_1)
	v_add3_u32 v116, v43, v116, 0x7fff
                                        ; implicit-def: $vgpr43
; %bb.295:                              ;   in Loop: Header=BB6_261 Depth=2
	s_and_not1_saveexec_b32 s24, s7
; %bb.296:                              ;   in Loop: Header=BB6_261 Depth=2
	v_and_b32_e32 v116, 0xffff, v43
	v_or_b32_e32 v44, 0x10000, v43
	s_delay_alu instid0(VALU_DEP_2) | instskip(NEXT) | instid1(VALU_DEP_1)
	v_cmp_eq_u32_e64 s7, 0, v116
	v_cndmask_b32_e64 v116, v44, v43, s7
; %bb.297:                              ;   in Loop: Header=BB6_261 Depth=2
	s_or_b32 exec_lo, exec_lo, s24
	v_and_b32_e32 v42, 0xffff0000, v42
	v_and_b32_e32 v10, 0xffff0000, v10
	s_delay_alu instid0(VALU_DEP_1) | instskip(NEXT) | instid1(VALU_DEP_1)
	v_add_f32_e32 v42, v42, v10
	v_and_b32_e32 v10, 0x7f800000, v42
	s_delay_alu instid0(VALU_DEP_1) | instskip(SKIP_1) | instid1(SALU_CYCLE_1)
	v_cmp_ne_u32_e64 s7, 0x7f800000, v10
                                        ; implicit-def: $vgpr10
	s_and_saveexec_b32 s24, s7
	s_xor_b32 s7, exec_lo, s24
; %bb.298:                              ;   in Loop: Header=BB6_261 Depth=2
	v_bfe_u32 v10, v42, 16, 1
	s_delay_alu instid0(VALU_DEP_1)
	v_add3_u32 v10, v42, v10, 0x7fff
                                        ; implicit-def: $vgpr42
; %bb.299:                              ;   in Loop: Header=BB6_261 Depth=2
	s_and_not1_saveexec_b32 s24, s7
; %bb.300:                              ;   in Loop: Header=BB6_261 Depth=2
	v_and_b32_e32 v10, 0xffff, v42
	v_or_b32_e32 v43, 0x10000, v42
	s_delay_alu instid0(VALU_DEP_2) | instskip(NEXT) | instid1(VALU_DEP_1)
	v_cmp_eq_u32_e64 s7, 0, v10
	v_cndmask_b32_e64 v10, v43, v42, s7
; %bb.301:                              ;   in Loop: Header=BB6_261 Depth=2
	s_or_b32 exec_lo, exec_lo, s24
	v_and_b32_e32 v41, 0xffff0000, v41
	v_lshlrev_b32_e32 v42, 16, v11
	s_delay_alu instid0(VALU_DEP_1) | instskip(NEXT) | instid1(VALU_DEP_1)
	v_add_f32_e32 v42, v41, v42
	v_and_b32_e32 v41, 0x7f800000, v42
	s_delay_alu instid0(VALU_DEP_1) | instskip(SKIP_1) | instid1(SALU_CYCLE_1)
	v_cmp_ne_u32_e64 s7, 0x7f800000, v41
                                        ; implicit-def: $vgpr41
	s_and_saveexec_b32 s24, s7
	s_xor_b32 s7, exec_lo, s24
; %bb.302:                              ;   in Loop: Header=BB6_261 Depth=2
	v_bfe_u32 v41, v42, 16, 1
	s_delay_alu instid0(VALU_DEP_1)
	v_add3_u32 v41, v42, v41, 0x7fff
                                        ; implicit-def: $vgpr42
; %bb.303:                              ;   in Loop: Header=BB6_261 Depth=2
	s_and_not1_saveexec_b32 s24, s7
; %bb.304:                              ;   in Loop: Header=BB6_261 Depth=2
	v_and_b32_e32 v41, 0xffff, v42
	v_or_b32_e32 v43, 0x10000, v42
	s_delay_alu instid0(VALU_DEP_2) | instskip(NEXT) | instid1(VALU_DEP_1)
	v_cmp_eq_u32_e64 s7, 0, v41
	v_cndmask_b32_e64 v41, v43, v42, s7
; %bb.305:                              ;   in Loop: Header=BB6_261 Depth=2
	s_or_b32 exec_lo, exec_lo, s24
	v_and_b32_e32 v40, 0xffff0000, v40
	v_and_b32_e32 v11, 0xffff0000, v11
	s_delay_alu instid0(VALU_DEP_1) | instskip(NEXT) | instid1(VALU_DEP_1)
	v_add_f32_e32 v40, v40, v11
	v_and_b32_e32 v11, 0x7f800000, v40
	s_delay_alu instid0(VALU_DEP_1) | instskip(SKIP_1) | instid1(SALU_CYCLE_1)
	v_cmp_ne_u32_e64 s7, 0x7f800000, v11
                                        ; implicit-def: $vgpr11
	s_and_saveexec_b32 s24, s7
	s_xor_b32 s7, exec_lo, s24
; %bb.306:                              ;   in Loop: Header=BB6_261 Depth=2
	v_bfe_u32 v11, v40, 16, 1
	s_delay_alu instid0(VALU_DEP_1)
	v_add3_u32 v11, v40, v11, 0x7fff
                                        ; implicit-def: $vgpr40
; %bb.307:                              ;   in Loop: Header=BB6_261 Depth=2
	s_and_not1_saveexec_b32 s24, s7
; %bb.308:                              ;   in Loop: Header=BB6_261 Depth=2
	v_and_b32_e32 v11, 0xffff, v40
	v_or_b32_e32 v42, 0x10000, v40
	s_delay_alu instid0(VALU_DEP_2) | instskip(NEXT) | instid1(VALU_DEP_1)
	v_cmp_eq_u32_e64 s7, 0, v11
	v_cndmask_b32_e64 v11, v42, v40, s7
; %bb.309:                              ;   in Loop: Header=BB6_261 Depth=2
	s_or_b32 exec_lo, exec_lo, s24
	v_and_b32_e32 v119, 0xffff0000, v119
	v_lshlrev_b32_e32 v40, 16, v12
	s_delay_alu instid0(VALU_DEP_1) | instskip(NEXT) | instid1(VALU_DEP_1)
	v_add_f32_e32 v40, v119, v40
	v_and_b32_e32 v119, 0x7f800000, v40
	s_delay_alu instid0(VALU_DEP_1) | instskip(SKIP_1) | instid1(SALU_CYCLE_1)
	v_cmp_ne_u32_e64 s7, 0x7f800000, v119
                                        ; implicit-def: $vgpr119
	s_and_saveexec_b32 s24, s7
	s_xor_b32 s7, exec_lo, s24
; %bb.310:                              ;   in Loop: Header=BB6_261 Depth=2
	v_bfe_u32 v119, v40, 16, 1
	s_delay_alu instid0(VALU_DEP_1)
	v_add3_u32 v119, v40, v119, 0x7fff
                                        ; implicit-def: $vgpr40
; %bb.311:                              ;   in Loop: Header=BB6_261 Depth=2
	s_and_not1_saveexec_b32 s24, s7
; %bb.312:                              ;   in Loop: Header=BB6_261 Depth=2
	v_and_b32_e32 v119, 0xffff, v40
	v_or_b32_e32 v42, 0x10000, v40
	s_delay_alu instid0(VALU_DEP_2) | instskip(NEXT) | instid1(VALU_DEP_1)
	v_cmp_eq_u32_e64 s7, 0, v119
	v_cndmask_b32_e64 v119, v42, v40, s7
; %bb.313:                              ;   in Loop: Header=BB6_261 Depth=2
	s_or_b32 exec_lo, exec_lo, s24
	v_and_b32_e32 v118, 0xffff0000, v118
	v_and_b32_e32 v12, 0xffff0000, v12
	s_delay_alu instid0(VALU_DEP_1) | instskip(NEXT) | instid1(VALU_DEP_1)
	v_add_f32_e32 v118, v118, v12
	v_and_b32_e32 v12, 0x7f800000, v118
	s_delay_alu instid0(VALU_DEP_1) | instskip(SKIP_1) | instid1(SALU_CYCLE_1)
	v_cmp_ne_u32_e64 s7, 0x7f800000, v12
                                        ; implicit-def: $vgpr12
	s_and_saveexec_b32 s24, s7
	s_xor_b32 s7, exec_lo, s24
; %bb.314:                              ;   in Loop: Header=BB6_261 Depth=2
	v_bfe_u32 v12, v118, 16, 1
	s_delay_alu instid0(VALU_DEP_1)
	v_add3_u32 v12, v118, v12, 0x7fff
                                        ; implicit-def: $vgpr118
; %bb.315:                              ;   in Loop: Header=BB6_261 Depth=2
	s_and_not1_saveexec_b32 s24, s7
; %bb.316:                              ;   in Loop: Header=BB6_261 Depth=2
	v_and_b32_e32 v12, 0xffff, v118
	v_or_b32_e32 v40, 0x10000, v118
	s_delay_alu instid0(VALU_DEP_2) | instskip(NEXT) | instid1(VALU_DEP_1)
	v_cmp_eq_u32_e64 s7, 0, v12
	v_cndmask_b32_e64 v12, v40, v118, s7
; %bb.317:                              ;   in Loop: Header=BB6_261 Depth=2
	s_or_b32 exec_lo, exec_lo, s24
	v_and_b32_e32 v117, 0xffff0000, v117
	v_lshlrev_b32_e32 v118, 16, v13
	s_delay_alu instid0(VALU_DEP_1) | instskip(NEXT) | instid1(VALU_DEP_1)
	v_add_f32_e32 v118, v117, v118
	v_and_b32_e32 v117, 0x7f800000, v118
	s_delay_alu instid0(VALU_DEP_1) | instskip(SKIP_1) | instid1(SALU_CYCLE_1)
	v_cmp_ne_u32_e64 s7, 0x7f800000, v117
                                        ; implicit-def: $vgpr117
	s_and_saveexec_b32 s24, s7
	s_xor_b32 s7, exec_lo, s24
; %bb.318:                              ;   in Loop: Header=BB6_261 Depth=2
	v_bfe_u32 v117, v118, 16, 1
	s_delay_alu instid0(VALU_DEP_1)
	v_add3_u32 v117, v118, v117, 0x7fff
                                        ; implicit-def: $vgpr118
; %bb.319:                              ;   in Loop: Header=BB6_261 Depth=2
	s_and_not1_saveexec_b32 s24, s7
; %bb.320:                              ;   in Loop: Header=BB6_261 Depth=2
	v_and_b32_e32 v117, 0xffff, v118
	v_or_b32_e32 v40, 0x10000, v118
	s_delay_alu instid0(VALU_DEP_2) | instskip(NEXT) | instid1(VALU_DEP_1)
	v_cmp_eq_u32_e64 s7, 0, v117
	v_cndmask_b32_e64 v117, v40, v118, s7
; %bb.321:                              ;   in Loop: Header=BB6_261 Depth=2
	s_or_b32 exec_lo, exec_lo, s24
	v_and_b32_e32 v115, 0xffff0000, v115
	v_and_b32_e32 v13, 0xffff0000, v13
	s_delay_alu instid0(VALU_DEP_1) | instskip(NEXT) | instid1(VALU_DEP_1)
	v_add_f32_e32 v115, v115, v13
	v_and_b32_e32 v13, 0x7f800000, v115
	s_delay_alu instid0(VALU_DEP_1) | instskip(SKIP_1) | instid1(SALU_CYCLE_1)
	v_cmp_ne_u32_e64 s7, 0x7f800000, v13
                                        ; implicit-def: $vgpr13
	s_and_saveexec_b32 s24, s7
	s_xor_b32 s7, exec_lo, s24
; %bb.322:                              ;   in Loop: Header=BB6_261 Depth=2
	v_bfe_u32 v13, v115, 16, 1
	s_delay_alu instid0(VALU_DEP_1)
	v_add3_u32 v13, v115, v13, 0x7fff
                                        ; implicit-def: $vgpr115
; %bb.323:                              ;   in Loop: Header=BB6_261 Depth=2
	s_and_not1_saveexec_b32 s24, s7
	s_cbranch_execz .LBB6_260
; %bb.324:                              ;   in Loop: Header=BB6_261 Depth=2
	v_and_b32_e32 v13, 0xffff, v115
	v_or_b32_e32 v118, 0x10000, v115
	s_delay_alu instid0(VALU_DEP_2) | instskip(NEXT) | instid1(VALU_DEP_1)
	v_cmp_eq_u32_e64 s7, 0, v13
	v_cndmask_b32_e64 v13, v118, v115, s7
	s_branch .LBB6_260
.LBB6_325:                              ;   in Loop: Header=BB6_49 Depth=1
	s_or_b32 exec_lo, exec_lo, s23
.LBB6_326:                              ;   in Loop: Header=BB6_49 Depth=1
	s_delay_alu instid0(SALU_CYCLE_1) | instskip(NEXT) | instid1(VALU_DEP_2)
	s_or_b32 exec_lo, exec_lo, s22
	v_cmp_lt_i32_e64 s7, 0, v112
	s_delay_alu instid0(VALU_DEP_1) | instskip(NEXT) | instid1(VALU_DEP_1)
	v_dual_cndmask_b32 v12, 0, v48, s7 :: v_dual_bitop2_b32 v10, 14, v103 bitop3:0x40
	v_dual_sub_nc_u32 v11, v97, v10 :: v_dual_cndmask_b32 v103, v97, v10, vcc_lo
	s_delay_alu instid0(VALU_DEP_1) | instskip(NEXT) | instid1(VALU_DEP_2)
	v_dual_cndmask_b32 v10, 0, v11 :: v_dual_sub_nc_u32 v11, v12, v112
	v_cmp_ne_u32_e32 vcc_lo, 0, v103
	s_delay_alu instid0(VALU_DEP_2) | instskip(NEXT) | instid1(VALU_DEP_3)
	v_add3_u32 v16, v96, v86, v10
	v_lshl_add_u32 v17, v11, 5, v87
	s_and_b32 s22, vcc_lo, exec_lo
.LBB6_327:                              ;   in Loop: Header=BB6_49 Depth=1
	s_or_b32 exec_lo, exec_lo, s21
	s_and_saveexec_b32 s7, s22
	s_cbranch_execz .LBB6_408
.LBB6_328:                              ;   in Loop: Header=BB6_49 Depth=1
	s_delay_alu instid0(VALU_DEP_1) | instskip(SKIP_1) | instid1(VALU_DEP_1)
	v_dual_ashrrev_i32 v10, 31, v17 :: v_dual_ashrrev_i32 v11, 31, v103
	s_mov_b32 s21, exec_lo
	v_dual_lshrrev_b32 v10, 27, v10 :: v_dual_lshrrev_b32 v11, 23, v11
	s_delay_alu instid0(VALU_DEP_1) | instskip(NEXT) | instid1(VALU_DEP_1)
	v_dual_add_nc_u32 v10, v17, v10 :: v_dual_add_nc_u32 v11, v103, v11
	v_dual_ashrrev_i32 v84, 5, v10 :: v_dual_ashrrev_i32 v86, 9, v11
	s_delay_alu instid0(VALU_DEP_1) | instskip(NEXT) | instid1(VALU_DEP_1)
	v_sub_nc_u32_e32 v85, v86, v84
	v_cmpx_lt_i32_e32 0, v85
	s_cbranch_execz .LBB6_396
; %bb.329:                              ;   in Loop: Header=BB6_49 Depth=1
	s_trap 2
	ds_load_b64 v[12:13], v0
	ds_load_b32 v87, v0
	v_and_b32_e32 v10, 0x7fffffe0, v10
	v_add_nc_u64_e32 v[96:97], 0x1c0, v[82:83]
	v_lshlrev_b32_e32 v11, 9, v84
	s_mov_b32 s22, 0
	s_delay_alu instid0(VALU_DEP_3) | instskip(SKIP_1) | instid1(VALU_DEP_1)
	v_sub_nc_u32_e32 v10, v17, v10
	s_wait_dscnt 0x0
	v_dual_lshlrev_b32 v10, 1, v10 :: v_dual_lshlrev_b32 v87, 16, v87
	s_delay_alu instid0(VALU_DEP_1) | instskip(NEXT) | instid1(VALU_DEP_1)
	v_add3_u32 v14, v10, v16, v11
	v_ashrrev_i32_e32 v15, 31, v14
	s_delay_alu instid0(VALU_DEP_1)
	v_add_nc_u64_e32 v[10:11], v[14:15], v[80:81]
	v_add_nc_u64_e32 v[12:13], v[12:13], v[14:15]
	;; [unrolled: 1-line block ×3, first 2 shown]
	s_branch .LBB6_331
.LBB6_330:                              ;   in Loop: Header=BB6_331 Depth=2
	s_or_b32 exec_lo, exec_lo, s23
	v_sub_nc_u32_e32 v85, v85, v48
	s_clause 0x7
	flat_store_d16_hi_b16 v[14:15], v96 offset:-448 th:TH_STORE_NT
	flat_store_d16_hi_b16 v[14:15], v97 offset:-384 th:TH_STORE_NT
	;; [unrolled: 1-line block ×7, first 2 shown]
	flat_store_d16_hi_b16 v[14:15], v117 th:TH_STORE_NT
	v_add_nc_u64_e32 v[10:11], v[10:11], v[54:55]
	v_add_nc_u64_e32 v[12:13], v[12:13], v[54:55]
	s_wait_xcnt 0x0
	v_add_nc_u64_e32 v[14:15], v[14:15], v[54:55]
	v_cmp_gt_i32_e32 vcc_lo, 1, v85
	s_or_b32 s22, vcc_lo, s22
	s_delay_alu instid0(SALU_CYCLE_1)
	s_and_not1_b32 exec_lo, exec_lo, s22
	s_cbranch_execz .LBB6_395
.LBB6_331:                              ;   Parent Loop BB6_49 Depth=1
                                        ; =>  This Inner Loop Header: Depth=2
	flat_load_u16 v96, v[10:11] th:TH_LOAD_NT
	s_wait_loadcnt_dscnt 0x0
	v_lshlrev_b32_e32 v96, 16, v96
	s_delay_alu instid0(VALU_DEP_1) | instskip(NEXT) | instid1(VALU_DEP_1)
	v_mul_f32_e32 v97, v87, v96
	v_and_b32_e32 v96, 0x7f800000, v97
	s_delay_alu instid0(VALU_DEP_1) | instskip(SKIP_2) | instid1(SALU_CYCLE_1)
	v_cmp_ne_u32_e32 vcc_lo, 0x7f800000, v96
                                        ; implicit-def: $vgpr96
	s_wait_xcnt 0x0
	s_and_saveexec_b32 s23, vcc_lo
	s_xor_b32 s23, exec_lo, s23
; %bb.332:                              ;   in Loop: Header=BB6_331 Depth=2
	v_bfe_u32 v96, v97, 16, 1
	s_delay_alu instid0(VALU_DEP_1)
	v_add3_u32 v96, v97, v96, 0x7fff
                                        ; implicit-def: $vgpr97
; %bb.333:                              ;   in Loop: Header=BB6_331 Depth=2
	s_and_not1_saveexec_b32 s23, s23
; %bb.334:                              ;   in Loop: Header=BB6_331 Depth=2
	v_and_b32_e32 v96, 0xffff, v97
	v_or_b32_e32 v112, 0x10000, v97
	s_delay_alu instid0(VALU_DEP_2) | instskip(NEXT) | instid1(VALU_DEP_2)
	v_cmp_eq_u32_e32 vcc_lo, 0, v96
	v_cndmask_b32_e32 v96, v112, v97, vcc_lo
; %bb.335:                              ;   in Loop: Header=BB6_331 Depth=2
	s_or_b32 exec_lo, exec_lo, s23
	flat_load_u16 v97, v[10:11] offset:64 th:TH_LOAD_NT
	s_wait_loadcnt_dscnt 0x0
	v_lshlrev_b32_e32 v97, 16, v97
	s_delay_alu instid0(VALU_DEP_1) | instskip(NEXT) | instid1(VALU_DEP_1)
	v_mul_f32_e32 v112, v87, v97
	v_and_b32_e32 v97, 0x7f800000, v112
	s_delay_alu instid0(VALU_DEP_1) | instskip(SKIP_2) | instid1(SALU_CYCLE_1)
	v_cmp_ne_u32_e32 vcc_lo, 0x7f800000, v97
                                        ; implicit-def: $vgpr97
	s_wait_xcnt 0x0
	s_and_saveexec_b32 s23, vcc_lo
	s_xor_b32 s23, exec_lo, s23
; %bb.336:                              ;   in Loop: Header=BB6_331 Depth=2
	v_bfe_u32 v97, v112, 16, 1
	s_delay_alu instid0(VALU_DEP_1)
	v_add3_u32 v97, v112, v97, 0x7fff
                                        ; implicit-def: $vgpr112
; %bb.337:                              ;   in Loop: Header=BB6_331 Depth=2
	s_and_not1_saveexec_b32 s23, s23
; %bb.338:                              ;   in Loop: Header=BB6_331 Depth=2
	v_and_b32_e32 v97, 0xffff, v112
	v_or_b32_e32 v113, 0x10000, v112
	s_delay_alu instid0(VALU_DEP_2) | instskip(NEXT) | instid1(VALU_DEP_2)
	v_cmp_eq_u32_e32 vcc_lo, 0, v97
	v_cndmask_b32_e32 v97, v113, v112, vcc_lo
; %bb.339:                              ;   in Loop: Header=BB6_331 Depth=2
	s_or_b32 exec_lo, exec_lo, s23
	flat_load_u16 v112, v[10:11] offset:128 th:TH_LOAD_NT
	s_wait_loadcnt_dscnt 0x0
	v_lshlrev_b32_e32 v112, 16, v112
	s_delay_alu instid0(VALU_DEP_1) | instskip(NEXT) | instid1(VALU_DEP_1)
	v_mul_f32_e32 v113, v87, v112
	v_and_b32_e32 v112, 0x7f800000, v113
	s_delay_alu instid0(VALU_DEP_1) | instskip(SKIP_2) | instid1(SALU_CYCLE_1)
	v_cmp_ne_u32_e32 vcc_lo, 0x7f800000, v112
                                        ; implicit-def: $vgpr112
	s_wait_xcnt 0x0
	s_and_saveexec_b32 s23, vcc_lo
	s_xor_b32 s23, exec_lo, s23
; %bb.340:                              ;   in Loop: Header=BB6_331 Depth=2
	v_bfe_u32 v112, v113, 16, 1
	s_delay_alu instid0(VALU_DEP_1)
	v_add3_u32 v112, v113, v112, 0x7fff
                                        ; implicit-def: $vgpr113
; %bb.341:                              ;   in Loop: Header=BB6_331 Depth=2
	s_and_not1_saveexec_b32 s23, s23
; %bb.342:                              ;   in Loop: Header=BB6_331 Depth=2
	v_and_b32_e32 v112, 0xffff, v113
	v_or_b32_e32 v114, 0x10000, v113
	s_delay_alu instid0(VALU_DEP_2) | instskip(NEXT) | instid1(VALU_DEP_2)
	v_cmp_eq_u32_e32 vcc_lo, 0, v112
	v_cndmask_b32_e32 v112, v114, v113, vcc_lo
; %bb.343:                              ;   in Loop: Header=BB6_331 Depth=2
	s_or_b32 exec_lo, exec_lo, s23
	flat_load_u16 v113, v[10:11] offset:192 th:TH_LOAD_NT
	s_wait_loadcnt_dscnt 0x0
	v_lshlrev_b32_e32 v113, 16, v113
	s_delay_alu instid0(VALU_DEP_1) | instskip(NEXT) | instid1(VALU_DEP_1)
	v_mul_f32_e32 v114, v87, v113
	v_and_b32_e32 v113, 0x7f800000, v114
	s_delay_alu instid0(VALU_DEP_1) | instskip(SKIP_2) | instid1(SALU_CYCLE_1)
	v_cmp_ne_u32_e32 vcc_lo, 0x7f800000, v113
                                        ; implicit-def: $vgpr113
	s_wait_xcnt 0x0
	s_and_saveexec_b32 s23, vcc_lo
	s_xor_b32 s23, exec_lo, s23
; %bb.344:                              ;   in Loop: Header=BB6_331 Depth=2
	v_bfe_u32 v113, v114, 16, 1
	s_delay_alu instid0(VALU_DEP_1)
	v_add3_u32 v113, v114, v113, 0x7fff
                                        ; implicit-def: $vgpr114
; %bb.345:                              ;   in Loop: Header=BB6_331 Depth=2
	s_and_not1_saveexec_b32 s23, s23
; %bb.346:                              ;   in Loop: Header=BB6_331 Depth=2
	v_and_b32_e32 v113, 0xffff, v114
	v_or_b32_e32 v115, 0x10000, v114
	s_delay_alu instid0(VALU_DEP_2) | instskip(NEXT) | instid1(VALU_DEP_2)
	v_cmp_eq_u32_e32 vcc_lo, 0, v113
	v_cndmask_b32_e32 v113, v115, v114, vcc_lo
; %bb.347:                              ;   in Loop: Header=BB6_331 Depth=2
	s_or_b32 exec_lo, exec_lo, s23
	flat_load_u16 v114, v[10:11] offset:256 th:TH_LOAD_NT
	s_wait_loadcnt_dscnt 0x0
	v_lshlrev_b32_e32 v114, 16, v114
	s_delay_alu instid0(VALU_DEP_1) | instskip(NEXT) | instid1(VALU_DEP_1)
	v_mul_f32_e32 v115, v87, v114
	v_and_b32_e32 v114, 0x7f800000, v115
	s_delay_alu instid0(VALU_DEP_1) | instskip(SKIP_2) | instid1(SALU_CYCLE_1)
	v_cmp_ne_u32_e32 vcc_lo, 0x7f800000, v114
                                        ; implicit-def: $vgpr114
	s_wait_xcnt 0x0
	s_and_saveexec_b32 s23, vcc_lo
	s_xor_b32 s23, exec_lo, s23
; %bb.348:                              ;   in Loop: Header=BB6_331 Depth=2
	v_bfe_u32 v114, v115, 16, 1
	s_delay_alu instid0(VALU_DEP_1)
	v_add3_u32 v114, v115, v114, 0x7fff
                                        ; implicit-def: $vgpr115
; %bb.349:                              ;   in Loop: Header=BB6_331 Depth=2
	s_and_not1_saveexec_b32 s23, s23
; %bb.350:                              ;   in Loop: Header=BB6_331 Depth=2
	v_and_b32_e32 v114, 0xffff, v115
	v_or_b32_e32 v116, 0x10000, v115
	s_delay_alu instid0(VALU_DEP_2) | instskip(NEXT) | instid1(VALU_DEP_2)
	v_cmp_eq_u32_e32 vcc_lo, 0, v114
	v_cndmask_b32_e32 v114, v116, v115, vcc_lo
; %bb.351:                              ;   in Loop: Header=BB6_331 Depth=2
	s_or_b32 exec_lo, exec_lo, s23
	flat_load_u16 v115, v[10:11] offset:320 th:TH_LOAD_NT
	s_wait_loadcnt_dscnt 0x0
	v_lshlrev_b32_e32 v115, 16, v115
	s_delay_alu instid0(VALU_DEP_1) | instskip(NEXT) | instid1(VALU_DEP_1)
	v_mul_f32_e32 v116, v87, v115
	v_and_b32_e32 v115, 0x7f800000, v116
	s_delay_alu instid0(VALU_DEP_1) | instskip(SKIP_2) | instid1(SALU_CYCLE_1)
	v_cmp_ne_u32_e32 vcc_lo, 0x7f800000, v115
                                        ; implicit-def: $vgpr115
	s_wait_xcnt 0x0
	s_and_saveexec_b32 s23, vcc_lo
	s_xor_b32 s23, exec_lo, s23
; %bb.352:                              ;   in Loop: Header=BB6_331 Depth=2
	v_bfe_u32 v115, v116, 16, 1
	s_delay_alu instid0(VALU_DEP_1)
	v_add3_u32 v115, v116, v115, 0x7fff
                                        ; implicit-def: $vgpr116
; %bb.353:                              ;   in Loop: Header=BB6_331 Depth=2
	s_and_not1_saveexec_b32 s23, s23
; %bb.354:                              ;   in Loop: Header=BB6_331 Depth=2
	v_and_b32_e32 v115, 0xffff, v116
	v_or_b32_e32 v117, 0x10000, v116
	s_delay_alu instid0(VALU_DEP_2) | instskip(NEXT) | instid1(VALU_DEP_2)
	v_cmp_eq_u32_e32 vcc_lo, 0, v115
	v_cndmask_b32_e32 v115, v117, v116, vcc_lo
; %bb.355:                              ;   in Loop: Header=BB6_331 Depth=2
	s_or_b32 exec_lo, exec_lo, s23
	flat_load_u16 v116, v[10:11] offset:384 th:TH_LOAD_NT
	s_wait_loadcnt_dscnt 0x0
	v_lshlrev_b32_e32 v116, 16, v116
	s_delay_alu instid0(VALU_DEP_1) | instskip(NEXT) | instid1(VALU_DEP_1)
	v_mul_f32_e32 v117, v87, v116
	v_and_b32_e32 v116, 0x7f800000, v117
	s_delay_alu instid0(VALU_DEP_1) | instskip(SKIP_2) | instid1(SALU_CYCLE_1)
	v_cmp_ne_u32_e32 vcc_lo, 0x7f800000, v116
                                        ; implicit-def: $vgpr116
	s_wait_xcnt 0x0
	s_and_saveexec_b32 s23, vcc_lo
	s_xor_b32 s23, exec_lo, s23
; %bb.356:                              ;   in Loop: Header=BB6_331 Depth=2
	v_bfe_u32 v116, v117, 16, 1
	s_delay_alu instid0(VALU_DEP_1)
	v_add3_u32 v116, v117, v116, 0x7fff
                                        ; implicit-def: $vgpr117
; %bb.357:                              ;   in Loop: Header=BB6_331 Depth=2
	s_and_not1_saveexec_b32 s23, s23
; %bb.358:                              ;   in Loop: Header=BB6_331 Depth=2
	v_and_b32_e32 v116, 0xffff, v117
	v_or_b32_e32 v118, 0x10000, v117
	s_delay_alu instid0(VALU_DEP_2) | instskip(NEXT) | instid1(VALU_DEP_2)
	v_cmp_eq_u32_e32 vcc_lo, 0, v116
	v_cndmask_b32_e32 v116, v118, v117, vcc_lo
; %bb.359:                              ;   in Loop: Header=BB6_331 Depth=2
	s_or_b32 exec_lo, exec_lo, s23
	flat_load_u16 v117, v[10:11] offset:448 th:TH_LOAD_NT
	s_wait_loadcnt_dscnt 0x0
	v_lshlrev_b32_e32 v117, 16, v117
	s_delay_alu instid0(VALU_DEP_1) | instskip(NEXT) | instid1(VALU_DEP_1)
	v_mul_f32_e32 v118, v87, v117
	v_and_b32_e32 v117, 0x7f800000, v118
	s_delay_alu instid0(VALU_DEP_1) | instskip(SKIP_2) | instid1(SALU_CYCLE_1)
	v_cmp_ne_u32_e32 vcc_lo, 0x7f800000, v117
                                        ; implicit-def: $vgpr117
	s_wait_xcnt 0x0
	s_and_saveexec_b32 s23, vcc_lo
	s_xor_b32 s23, exec_lo, s23
; %bb.360:                              ;   in Loop: Header=BB6_331 Depth=2
	v_bfe_u32 v117, v118, 16, 1
	s_delay_alu instid0(VALU_DEP_1)
	v_add3_u32 v117, v118, v117, 0x7fff
                                        ; implicit-def: $vgpr118
; %bb.361:                              ;   in Loop: Header=BB6_331 Depth=2
	s_and_not1_saveexec_b32 s23, s23
; %bb.362:                              ;   in Loop: Header=BB6_331 Depth=2
	v_and_b32_e32 v117, 0xffff, v118
	v_or_b32_e32 v119, 0x10000, v118
	s_delay_alu instid0(VALU_DEP_2) | instskip(NEXT) | instid1(VALU_DEP_2)
	v_cmp_eq_u32_e32 vcc_lo, 0, v117
	v_cndmask_b32_e32 v117, v119, v118, vcc_lo
; %bb.363:                              ;   in Loop: Header=BB6_331 Depth=2
	s_or_b32 exec_lo, exec_lo, s23
	s_clause 0x7
	flat_load_u16 v43, v[12:13] offset:128 th:TH_LOAD_NT
	flat_load_u16 v42, v[12:13] offset:192 th:TH_LOAD_NT
	;; [unrolled: 1-line block ×6, first 2 shown]
	flat_load_u16 v45, v[12:13] th:TH_LOAD_NT
	flat_load_u16 v44, v[12:13] offset:64 th:TH_LOAD_NT
	v_and_b32_e32 v96, 0xffff0000, v96
	s_wait_loadcnt_dscnt 0x101
	v_lshlrev_b32_e32 v45, 16, v45
	s_delay_alu instid0(VALU_DEP_1) | instskip(NEXT) | instid1(VALU_DEP_1)
	v_add_f32_e32 v45, v96, v45
	v_and_b32_e32 v96, 0x7f800000, v45
	s_delay_alu instid0(VALU_DEP_1) | instskip(SKIP_2) | instid1(SALU_CYCLE_1)
	v_cmp_ne_u32_e32 vcc_lo, 0x7f800000, v96
                                        ; implicit-def: $vgpr96
	s_wait_xcnt 0x0
	s_and_saveexec_b32 s23, vcc_lo
	s_xor_b32 s23, exec_lo, s23
; %bb.364:                              ;   in Loop: Header=BB6_331 Depth=2
	v_bfe_u32 v96, v45, 16, 1
	s_delay_alu instid0(VALU_DEP_1)
	v_add3_u32 v96, v45, v96, 0x7fff
                                        ; implicit-def: $vgpr45
; %bb.365:                              ;   in Loop: Header=BB6_331 Depth=2
	s_and_not1_saveexec_b32 s23, s23
; %bb.366:                              ;   in Loop: Header=BB6_331 Depth=2
	v_and_b32_e32 v96, 0xffff, v45
	v_or_b32_e32 v46, 0x10000, v45
	s_delay_alu instid0(VALU_DEP_2) | instskip(NEXT) | instid1(VALU_DEP_2)
	v_cmp_eq_u32_e32 vcc_lo, 0, v96
	v_cndmask_b32_e32 v96, v46, v45, vcc_lo
; %bb.367:                              ;   in Loop: Header=BB6_331 Depth=2
	s_or_b32 exec_lo, exec_lo, s23
	v_and_b32_e32 v97, 0xffff0000, v97
	s_wait_loadcnt_dscnt 0x0
	v_lshlrev_b32_e32 v44, 16, v44
	s_delay_alu instid0(VALU_DEP_1) | instskip(NEXT) | instid1(VALU_DEP_1)
	v_add_f32_e32 v44, v97, v44
	v_and_b32_e32 v97, 0x7f800000, v44
	s_delay_alu instid0(VALU_DEP_1) | instskip(SKIP_1) | instid1(SALU_CYCLE_1)
	v_cmp_ne_u32_e32 vcc_lo, 0x7f800000, v97
                                        ; implicit-def: $vgpr97
	s_and_saveexec_b32 s23, vcc_lo
	s_xor_b32 s23, exec_lo, s23
; %bb.368:                              ;   in Loop: Header=BB6_331 Depth=2
	v_bfe_u32 v97, v44, 16, 1
	s_delay_alu instid0(VALU_DEP_1)
	v_add3_u32 v97, v44, v97, 0x7fff
                                        ; implicit-def: $vgpr44
; %bb.369:                              ;   in Loop: Header=BB6_331 Depth=2
	s_and_not1_saveexec_b32 s23, s23
; %bb.370:                              ;   in Loop: Header=BB6_331 Depth=2
	v_and_b32_e32 v97, 0xffff, v44
	v_or_b32_e32 v45, 0x10000, v44
	s_delay_alu instid0(VALU_DEP_2) | instskip(NEXT) | instid1(VALU_DEP_2)
	v_cmp_eq_u32_e32 vcc_lo, 0, v97
	v_cndmask_b32_e32 v97, v45, v44, vcc_lo
; %bb.371:                              ;   in Loop: Header=BB6_331 Depth=2
	s_or_b32 exec_lo, exec_lo, s23
	v_and_b32_e32 v112, 0xffff0000, v112
	v_lshlrev_b32_e32 v43, 16, v43
	s_delay_alu instid0(VALU_DEP_1) | instskip(NEXT) | instid1(VALU_DEP_1)
	v_add_f32_e32 v43, v112, v43
	v_and_b32_e32 v112, 0x7f800000, v43
	s_delay_alu instid0(VALU_DEP_1) | instskip(SKIP_1) | instid1(SALU_CYCLE_1)
	v_cmp_ne_u32_e32 vcc_lo, 0x7f800000, v112
                                        ; implicit-def: $vgpr112
	s_and_saveexec_b32 s23, vcc_lo
	s_xor_b32 s23, exec_lo, s23
; %bb.372:                              ;   in Loop: Header=BB6_331 Depth=2
	v_bfe_u32 v112, v43, 16, 1
	s_delay_alu instid0(VALU_DEP_1)
	v_add3_u32 v112, v43, v112, 0x7fff
                                        ; implicit-def: $vgpr43
; %bb.373:                              ;   in Loop: Header=BB6_331 Depth=2
	s_and_not1_saveexec_b32 s23, s23
; %bb.374:                              ;   in Loop: Header=BB6_331 Depth=2
	v_and_b32_e32 v112, 0xffff, v43
	v_or_b32_e32 v44, 0x10000, v43
	s_delay_alu instid0(VALU_DEP_2) | instskip(NEXT) | instid1(VALU_DEP_2)
	v_cmp_eq_u32_e32 vcc_lo, 0, v112
	v_cndmask_b32_e32 v112, v44, v43, vcc_lo
; %bb.375:                              ;   in Loop: Header=BB6_331 Depth=2
	s_or_b32 exec_lo, exec_lo, s23
	v_and_b32_e32 v113, 0xffff0000, v113
	v_lshlrev_b32_e32 v42, 16, v42
	s_delay_alu instid0(VALU_DEP_1) | instskip(NEXT) | instid1(VALU_DEP_1)
	v_add_f32_e32 v42, v113, v42
	v_and_b32_e32 v113, 0x7f800000, v42
	s_delay_alu instid0(VALU_DEP_1) | instskip(SKIP_1) | instid1(SALU_CYCLE_1)
	v_cmp_ne_u32_e32 vcc_lo, 0x7f800000, v113
                                        ; implicit-def: $vgpr113
	s_and_saveexec_b32 s23, vcc_lo
	s_xor_b32 s23, exec_lo, s23
; %bb.376:                              ;   in Loop: Header=BB6_331 Depth=2
	v_bfe_u32 v113, v42, 16, 1
	s_delay_alu instid0(VALU_DEP_1)
	v_add3_u32 v113, v42, v113, 0x7fff
                                        ; implicit-def: $vgpr42
; %bb.377:                              ;   in Loop: Header=BB6_331 Depth=2
	s_and_not1_saveexec_b32 s23, s23
; %bb.378:                              ;   in Loop: Header=BB6_331 Depth=2
	v_and_b32_e32 v113, 0xffff, v42
	v_or_b32_e32 v43, 0x10000, v42
	s_delay_alu instid0(VALU_DEP_2) | instskip(NEXT) | instid1(VALU_DEP_2)
	v_cmp_eq_u32_e32 vcc_lo, 0, v113
	v_cndmask_b32_e32 v113, v43, v42, vcc_lo
; %bb.379:                              ;   in Loop: Header=BB6_331 Depth=2
	s_or_b32 exec_lo, exec_lo, s23
	v_and_b32_e32 v114, 0xffff0000, v114
	v_lshlrev_b32_e32 v41, 16, v41
	s_delay_alu instid0(VALU_DEP_1) | instskip(NEXT) | instid1(VALU_DEP_1)
	v_add_f32_e32 v41, v114, v41
	v_and_b32_e32 v114, 0x7f800000, v41
	s_delay_alu instid0(VALU_DEP_1) | instskip(SKIP_1) | instid1(SALU_CYCLE_1)
	v_cmp_ne_u32_e32 vcc_lo, 0x7f800000, v114
                                        ; implicit-def: $vgpr114
	s_and_saveexec_b32 s23, vcc_lo
	s_xor_b32 s23, exec_lo, s23
; %bb.380:                              ;   in Loop: Header=BB6_331 Depth=2
	v_bfe_u32 v114, v41, 16, 1
	s_delay_alu instid0(VALU_DEP_1)
	v_add3_u32 v114, v41, v114, 0x7fff
                                        ; implicit-def: $vgpr41
; %bb.381:                              ;   in Loop: Header=BB6_331 Depth=2
	s_and_not1_saveexec_b32 s23, s23
; %bb.382:                              ;   in Loop: Header=BB6_331 Depth=2
	v_and_b32_e32 v114, 0xffff, v41
	v_or_b32_e32 v42, 0x10000, v41
	s_delay_alu instid0(VALU_DEP_2) | instskip(NEXT) | instid1(VALU_DEP_2)
	v_cmp_eq_u32_e32 vcc_lo, 0, v114
	v_cndmask_b32_e32 v114, v42, v41, vcc_lo
; %bb.383:                              ;   in Loop: Header=BB6_331 Depth=2
	s_or_b32 exec_lo, exec_lo, s23
	v_and_b32_e32 v115, 0xffff0000, v115
	v_lshlrev_b32_e32 v40, 16, v40
	s_delay_alu instid0(VALU_DEP_1) | instskip(NEXT) | instid1(VALU_DEP_1)
	v_add_f32_e32 v40, v115, v40
	v_and_b32_e32 v115, 0x7f800000, v40
	s_delay_alu instid0(VALU_DEP_1) | instskip(SKIP_1) | instid1(SALU_CYCLE_1)
	v_cmp_ne_u32_e32 vcc_lo, 0x7f800000, v115
                                        ; implicit-def: $vgpr115
	s_and_saveexec_b32 s23, vcc_lo
	s_xor_b32 s23, exec_lo, s23
; %bb.384:                              ;   in Loop: Header=BB6_331 Depth=2
	v_bfe_u32 v115, v40, 16, 1
	s_delay_alu instid0(VALU_DEP_1)
	v_add3_u32 v115, v40, v115, 0x7fff
                                        ; implicit-def: $vgpr40
; %bb.385:                              ;   in Loop: Header=BB6_331 Depth=2
	s_and_not1_saveexec_b32 s23, s23
; %bb.386:                              ;   in Loop: Header=BB6_331 Depth=2
	v_and_b32_e32 v115, 0xffff, v40
	v_or_b32_e32 v41, 0x10000, v40
	s_delay_alu instid0(VALU_DEP_2) | instskip(NEXT) | instid1(VALU_DEP_2)
	v_cmp_eq_u32_e32 vcc_lo, 0, v115
	v_cndmask_b32_e32 v115, v41, v40, vcc_lo
; %bb.387:                              ;   in Loop: Header=BB6_331 Depth=2
	s_or_b32 exec_lo, exec_lo, s23
	v_and_b32_e32 v116, 0xffff0000, v116
	v_lshlrev_b32_e32 v119, 16, v119
	s_delay_alu instid0(VALU_DEP_1) | instskip(NEXT) | instid1(VALU_DEP_1)
	v_add_f32_e32 v119, v116, v119
	v_and_b32_e32 v116, 0x7f800000, v119
	s_delay_alu instid0(VALU_DEP_1) | instskip(SKIP_1) | instid1(SALU_CYCLE_1)
	v_cmp_ne_u32_e32 vcc_lo, 0x7f800000, v116
                                        ; implicit-def: $vgpr116
	s_and_saveexec_b32 s23, vcc_lo
	s_xor_b32 s23, exec_lo, s23
; %bb.388:                              ;   in Loop: Header=BB6_331 Depth=2
	v_bfe_u32 v116, v119, 16, 1
	s_delay_alu instid0(VALU_DEP_1)
	v_add3_u32 v116, v119, v116, 0x7fff
                                        ; implicit-def: $vgpr119
; %bb.389:                              ;   in Loop: Header=BB6_331 Depth=2
	s_and_not1_saveexec_b32 s23, s23
; %bb.390:                              ;   in Loop: Header=BB6_331 Depth=2
	v_and_b32_e32 v116, 0xffff, v119
	v_or_b32_e32 v40, 0x10000, v119
	s_delay_alu instid0(VALU_DEP_2) | instskip(NEXT) | instid1(VALU_DEP_2)
	v_cmp_eq_u32_e32 vcc_lo, 0, v116
	v_cndmask_b32_e32 v116, v40, v119, vcc_lo
; %bb.391:                              ;   in Loop: Header=BB6_331 Depth=2
	s_or_b32 exec_lo, exec_lo, s23
	v_and_b32_e32 v117, 0xffff0000, v117
	v_lshlrev_b32_e32 v118, 16, v118
	s_delay_alu instid0(VALU_DEP_1) | instskip(NEXT) | instid1(VALU_DEP_1)
	v_add_f32_e32 v118, v117, v118
	v_and_b32_e32 v117, 0x7f800000, v118
	s_delay_alu instid0(VALU_DEP_1) | instskip(SKIP_1) | instid1(SALU_CYCLE_1)
	v_cmp_ne_u32_e32 vcc_lo, 0x7f800000, v117
                                        ; implicit-def: $vgpr117
	s_and_saveexec_b32 s23, vcc_lo
	s_xor_b32 s23, exec_lo, s23
; %bb.392:                              ;   in Loop: Header=BB6_331 Depth=2
	v_bfe_u32 v117, v118, 16, 1
	s_delay_alu instid0(VALU_DEP_1)
	v_add3_u32 v117, v118, v117, 0x7fff
                                        ; implicit-def: $vgpr118
; %bb.393:                              ;   in Loop: Header=BB6_331 Depth=2
	s_and_not1_saveexec_b32 s23, s23
	s_cbranch_execz .LBB6_330
; %bb.394:                              ;   in Loop: Header=BB6_331 Depth=2
	v_and_b32_e32 v117, 0xffff, v118
	v_or_b32_e32 v119, 0x10000, v118
	s_delay_alu instid0(VALU_DEP_2) | instskip(NEXT) | instid1(VALU_DEP_2)
	v_cmp_eq_u32_e32 vcc_lo, 0, v117
	v_cndmask_b32_e32 v117, v119, v118, vcc_lo
	s_branch .LBB6_330
.LBB6_395:                              ;   in Loop: Header=BB6_49 Depth=1
	s_or_b32 exec_lo, exec_lo, s22
.LBB6_396:                              ;   in Loop: Header=BB6_49 Depth=1
	s_delay_alu instid0(SALU_CYCLE_1) | instskip(SKIP_1) | instid1(VALU_DEP_1)
	s_or_b32 exec_lo, exec_lo, s21
	v_lshlrev_b32_e32 v10, 9, v86
	v_cmp_ne_u32_e32 vcc_lo, v103, v10
	s_and_b32 exec_lo, exec_lo, vcc_lo
	s_cbranch_execz .LBB6_408
; %bb.397:                              ;   in Loop: Header=BB6_49 Depth=1
	v_dual_lshlrev_b32 v11, 5, v84 :: v_dual_lshlrev_b32 v12, 5, v85
	s_delay_alu instid0(VALU_DEP_1) | instskip(NEXT) | instid1(VALU_DEP_1)
	v_sub_nc_u32_e32 v11, v17, v11
	v_sub_nc_u32_e32 v11, v11, v12
	s_delay_alu instid0(VALU_DEP_1) | instskip(NEXT) | instid1(VALU_DEP_1)
	v_ashrrev_i32_e32 v12, 31, v11
	v_lshrrev_b32_e32 v12, 27, v12
	s_delay_alu instid0(VALU_DEP_1) | instskip(NEXT) | instid1(VALU_DEP_1)
	v_add_nc_u32_e32 v12, v11, v12
	v_and_b32_e32 v13, 0x7fffffe0, v12
	s_delay_alu instid0(VALU_DEP_1) | instskip(NEXT) | instid1(VALU_DEP_1)
	v_dual_lshlrev_b32 v12, 1, v12 :: v_dual_sub_nc_u32 v11, v11, v13
	v_and_b32_e32 v12, 0xffffffc0, v12
	s_delay_alu instid0(VALU_DEP_2) | instskip(NEXT) | instid1(VALU_DEP_1)
	v_lshlrev_b32_e32 v11, 1, v11
	v_add3_u32 v10, v12, v11, v10
	s_delay_alu instid0(VALU_DEP_1) | instskip(NEXT) | instid1(VALU_DEP_1)
	v_sub_nc_u32_e32 v17, v103, v10
	v_cmp_lt_i32_e32 vcc_lo, 1, v17
	s_and_b32 exec_lo, exec_lo, vcc_lo
	s_cbranch_execz .LBB6_408
; %bb.398:                              ;   in Loop: Header=BB6_49 Depth=1
	s_trap 2
	ds_load_b64 v[12:13], v0
	ds_load_b32 v84, v0
	v_add_nc_u32_e32 v14, v10, v16
	s_mov_b32 s21, 0
	s_wait_dscnt 0x0
	s_delay_alu instid0(VALU_DEP_1) | instskip(NEXT) | instid1(VALU_DEP_1)
	v_dual_ashrrev_i32 v15, 31, v14 :: v_dual_lshlrev_b32 v16, 16, v84
	v_add_nc_u64_e32 v[10:11], v[14:15], v[80:81]
	v_add_nc_u64_e32 v[12:13], v[12:13], v[14:15]
	;; [unrolled: 1-line block ×3, first 2 shown]
	s_branch .LBB6_400
.LBB6_399:                              ;   in Loop: Header=BB6_400 Depth=2
	s_or_b32 exec_lo, exec_lo, s22
	v_sub_nc_u32_e32 v17, v17, v64
	flat_store_d16_hi_b16 v[14:15], v80 th:TH_STORE_NT
	v_add_nc_u64_e32 v[10:11], v[10:11], v[64:65]
	v_add_nc_u64_e32 v[12:13], v[12:13], v[64:65]
	s_wait_xcnt 0x0
	v_add_nc_u64_e32 v[14:15], v[14:15], v[64:65]
	v_cmp_gt_i32_e32 vcc_lo, 2, v17
	s_or_b32 s21, vcc_lo, s21
	s_delay_alu instid0(SALU_CYCLE_1)
	s_and_not1_b32 exec_lo, exec_lo, s21
	s_cbranch_execz .LBB6_408
.LBB6_400:                              ;   Parent Loop BB6_49 Depth=1
                                        ; =>  This Inner Loop Header: Depth=2
	flat_load_u16 v80, v[10:11] th:TH_LOAD_NT
	s_wait_loadcnt_dscnt 0x0
	v_lshlrev_b32_e32 v80, 16, v80
	s_delay_alu instid0(VALU_DEP_1) | instskip(NEXT) | instid1(VALU_DEP_1)
	v_mul_f32_e32 v80, v16, v80
	v_and_b32_e32 v81, 0x7f800000, v80
	s_delay_alu instid0(VALU_DEP_1) | instskip(SKIP_2) | instid1(SALU_CYCLE_1)
	v_cmp_ne_u32_e32 vcc_lo, 0x7f800000, v81
                                        ; implicit-def: $vgpr81
	s_wait_xcnt 0x0
	s_and_saveexec_b32 s22, vcc_lo
	s_xor_b32 s22, exec_lo, s22
; %bb.401:                              ;   in Loop: Header=BB6_400 Depth=2
	v_bfe_u32 v81, v80, 16, 1
	s_delay_alu instid0(VALU_DEP_1)
	v_add3_u32 v81, v80, v81, 0x7fff
                                        ; implicit-def: $vgpr80
; %bb.402:                              ;   in Loop: Header=BB6_400 Depth=2
	s_and_not1_saveexec_b32 s22, s22
; %bb.403:                              ;   in Loop: Header=BB6_400 Depth=2
	v_and_b32_e32 v81, 0xffff, v80
	v_or_b32_e32 v82, 0x10000, v80
	s_delay_alu instid0(VALU_DEP_2) | instskip(NEXT) | instid1(VALU_DEP_2)
	v_cmp_eq_u32_e32 vcc_lo, 0, v81
	v_cndmask_b32_e32 v81, v82, v80, vcc_lo
; %bb.404:                              ;   in Loop: Header=BB6_400 Depth=2
	s_or_b32 exec_lo, exec_lo, s22
	flat_load_u16 v80, v[12:13] th:TH_LOAD_NT
	v_and_b32_e32 v81, 0xffff0000, v81
	s_wait_loadcnt_dscnt 0x0
	v_lshlrev_b32_e32 v80, 16, v80
	s_delay_alu instid0(VALU_DEP_1) | instskip(NEXT) | instid1(VALU_DEP_1)
	v_add_f32_e32 v81, v81, v80
	v_and_b32_e32 v80, 0x7f800000, v81
	s_delay_alu instid0(VALU_DEP_1) | instskip(SKIP_2) | instid1(SALU_CYCLE_1)
	v_cmp_ne_u32_e32 vcc_lo, 0x7f800000, v80
                                        ; implicit-def: $vgpr80
	s_wait_xcnt 0x0
	s_and_saveexec_b32 s22, vcc_lo
	s_xor_b32 s22, exec_lo, s22
; %bb.405:                              ;   in Loop: Header=BB6_400 Depth=2
	v_bfe_u32 v80, v81, 16, 1
	s_delay_alu instid0(VALU_DEP_1)
	v_add3_u32 v80, v81, v80, 0x7fff
                                        ; implicit-def: $vgpr81
; %bb.406:                              ;   in Loop: Header=BB6_400 Depth=2
	s_and_not1_saveexec_b32 s22, s22
	s_cbranch_execz .LBB6_399
; %bb.407:                              ;   in Loop: Header=BB6_400 Depth=2
	v_and_b32_e32 v80, 0xffff, v81
	v_or_b32_e32 v82, 0x10000, v81
	s_delay_alu instid0(VALU_DEP_2) | instskip(NEXT) | instid1(VALU_DEP_2)
	v_cmp_eq_u32_e32 vcc_lo, 0, v80
	v_cndmask_b32_e32 v80, v82, v81, vcc_lo
	s_branch .LBB6_399
.LBB6_408:                              ;   in Loop: Header=BB6_49 Depth=1
	s_or_b32 exec_lo, exec_lo, s7
	v_cmp_ne_u32_e64 s7, 0, v38
	s_and_saveexec_b32 s21, s2
	s_cbranch_execz .LBB6_427
.LBB6_409:                              ;   in Loop: Header=BB6_49 Depth=1
	s_and_saveexec_b32 s22, s3
	s_delay_alu instid0(SALU_CYCLE_1)
	s_xor_b32 s22, exec_lo, s22
	s_cbranch_execz .LBB6_424
; %bb.410:                              ;   in Loop: Header=BB6_49 Depth=1
	s_and_saveexec_b32 s23, s4
	s_cbranch_execz .LBB6_423
; %bb.411:                              ;   in Loop: Header=BB6_49 Depth=1
	s_mov_b32 s25, exec_lo
	s_mov_b32 s24, exec_lo
	v_mbcnt_lo_u32_b32 v10, s25, 0
	global_wb scope:SCOPE_DEV
	s_wait_storecnt 0x0
	s_wait_loadcnt_dscnt 0x0
	global_inv scope:SCOPE_DEV
	v_cmpx_eq_u32_e32 0, v10
	s_cbranch_execz .LBB6_413
; %bb.412:                              ;   in Loop: Header=BB6_49 Depth=1
	s_bcnt1_i32_b32 s25, s25
	s_delay_alu instid0(SALU_CYCLE_1)
	v_mov_b32_e32 v38, s25
	s_wait_loadcnt 0x0
	ds_add_u64 v0, v[38:39]
	s_trap 2
.LBB6_413:                              ;   in Loop: Header=BB6_49 Depth=1
	s_or_b32 exec_lo, exec_lo, s24
	s_trap 2
	ds_load_b64 v[10:11], v0
	s_wait_dscnt 0x0
	v_add_nc_u64_e32 v[28:29], v[28:29], v[48:49]
	s_mov_b32 s24, exec_lo
	s_delay_alu instid0(VALU_DEP_1)
	v_cmpx_lt_u64_e64 v[10:11], v[28:29]
	s_cbranch_execz .LBB6_422
; %bb.414:                              ;   in Loop: Header=BB6_49 Depth=1
	s_mov_b32 s25, 0
	s_mov_b32 s28, 0
                                        ; implicit-def: $sgpr26
                                        ; implicit-def: $sgpr27
	s_branch .LBB6_416
.LBB6_415:                              ;   in Loop: Header=BB6_416 Depth=2
	s_or_b32 exec_lo, exec_lo, s40
	s_delay_alu instid0(SALU_CYCLE_1) | instskip(NEXT) | instid1(SALU_CYCLE_1)
	s_and_b32 s29, exec_lo, s41
	s_or_b32 s25, s29, s25
	s_and_not1_b32 s26, s26, exec_lo
	s_and_b32 s29, s27, exec_lo
	s_delay_alu instid0(SALU_CYCLE_1)
	s_or_b32 s26, s26, s29
	s_and_not1_b32 exec_lo, exec_lo, s25
	s_cbranch_execz .LBB6_420
.LBB6_416:                              ;   Parent Loop BB6_49 Depth=1
                                        ; =>  This Inner Loop Header: Depth=2
	s_add_co_i32 s28, s28, 1
	s_delay_alu instid0(SALU_CYCLE_1) | instskip(SKIP_1) | instid1(SALU_CYCLE_1)
	s_cmp_lg_u32 s28, 0x2710
	s_cselect_b32 s29, -1, 0
	s_and_b32 vcc_lo, exec_lo, s29
	s_cbranch_vccz .LBB6_418
; %bb.417:                              ;   in Loop: Header=BB6_416 Depth=2
	s_mov_b32 s41, -1
	s_or_b32 s27, s27, exec_lo
	s_and_saveexec_b32 s40, s29
	s_cbranch_execz .LBB6_415
	s_branch .LBB6_419
.LBB6_418:                              ;   in Loop: Header=BB6_416 Depth=2
	s_trap 2
	ds_load_b64 v[10:11], v0
	s_and_not1_b32 s29, s29, exec_lo
	s_mov_b32 s28, 0
	s_wait_loadcnt_dscnt 0x0
	flat_load_b32 v10, v[10:11] scope:SCOPE_SYS
	s_wait_loadcnt_dscnt 0x0
	global_inv scope:SCOPE_SYS
	v_cmp_eq_u32_e32 vcc_lo, 0, v10
	s_and_b32 s40, vcc_lo, exec_lo
	s_delay_alu instid0(SALU_CYCLE_1)
	s_or_b32 s29, s29, s40
	s_mov_b32 s41, -1
	s_or_b32 s27, s27, exec_lo
	s_and_saveexec_b32 s40, s29
	s_cbranch_execz .LBB6_415
.LBB6_419:                              ;   in Loop: Header=BB6_416 Depth=2
	s_sleep 1
	s_trap 2
	ds_load_b64 v[10:11], v0
	s_wait_dscnt 0x0
	s_and_not1_b32 s27, s27, exec_lo
	v_cmp_ge_u64_e32 vcc_lo, v[10:11], v[28:29]
	s_or_not1_b32 s41, vcc_lo, exec_lo
	s_branch .LBB6_415
.LBB6_420:                              ;   in Loop: Header=BB6_49 Depth=1
	s_or_b32 exec_lo, exec_lo, s25
	s_and_saveexec_b32 s25, s26
	s_delay_alu instid0(SALU_CYCLE_1)
	s_xor_b32 s25, exec_lo, s25
	s_cbranch_execz .LBB6_422
; %bb.421:                              ;   in Loop: Header=BB6_49 Depth=1
	ds_store_b32 v0, v101
	s_trap 2
.LBB6_422:                              ;   in Loop: Header=BB6_49 Depth=1
	s_or_b32 exec_lo, exec_lo, s24
	;;#ASMSTART
	s_wakeup
	;;#ASMEND
.LBB6_423:                              ;   in Loop: Header=BB6_49 Depth=1
	s_or_b32 exec_lo, exec_lo, s23
.LBB6_424:                              ;   in Loop: Header=BB6_49 Depth=1
	s_and_not1_saveexec_b32 s22, s22
	s_cbranch_execz .LBB6_426
; %bb.425:                              ;   in Loop: Header=BB6_49 Depth=1
	global_wb scope:SCOPE_DEV
	s_wait_storecnt 0x0
	s_wait_loadcnt_dscnt 0x0
	global_inv scope:SCOPE_DEV
	s_barrier_signal -1
	s_barrier_wait -1
.LBB6_426:                              ;   in Loop: Header=BB6_49 Depth=1
	s_or_b32 exec_lo, exec_lo, s22
.LBB6_427:                              ;   in Loop: Header=BB6_49 Depth=1
	s_delay_alu instid0(SALU_CYCLE_1) | instskip(SKIP_1) | instid1(VALU_DEP_1)
	s_or_b32 exec_lo, exec_lo, s21
	v_and_b32_e32 v10, 16, v30
	v_cmp_ne_u32_e32 vcc_lo, 0, v10
	s_and_b32 s21, vcc_lo, s7
	s_delay_alu instid0(SALU_CYCLE_1)
	s_and_saveexec_b32 s7, s21
	s_cbranch_execz .LBB6_429
; %bb.428:                              ;   in Loop: Header=BB6_49 Depth=1
	global_wb scope:SCOPE_SYS
	s_wait_storecnt 0x0
	s_wait_loadcnt_dscnt 0x0
	global_inv scope:SCOPE_SYS
.LBB6_429:                              ;   in Loop: Header=BB6_49 Depth=1
	s_or_b32 exec_lo, exec_lo, s7
	v_cmp_ne_u32_e32 vcc_lo, 0, v10
	s_and_b32 s21, vcc_lo, s18
	s_delay_alu instid0(SALU_CYCLE_1)
	s_and_saveexec_b32 s7, s21
	s_cbranch_execz .LBB6_431
; %bb.430:                              ;   in Loop: Header=BB6_49 Depth=1
	global_wb scope:SCOPE_SYS
	s_wait_storecnt 0x0
	s_wait_loadcnt_dscnt 0x0
	flat_store_b32 v[36:37], v101 scope:SCOPE_SYS
.LBB6_431:                              ;   in Loop: Header=BB6_49 Depth=1
	s_wait_xcnt 0x0
	s_or_b32 exec_lo, exec_lo, s7
	v_and_b32_e32 v10, 48, v30
	s_mov_b32 s7, exec_lo
	s_delay_alu instid0(VALU_DEP_1)
	v_cmpx_ne_u32_e32 0, v10
	s_cbranch_execz .LBB6_433
; %bb.432:                              ;   in Loop: Header=BB6_49 Depth=1
	v_add_nc_u64_e32 v[8:9], 1, v[8:9]
	global_wb scope:SCOPE_SYS
	s_wait_storecnt 0x0
	s_wait_loadcnt_dscnt 0x0
	flat_store_b64 v[22:23], v[8:9] scope:SCOPE_SYS
.LBB6_433:                              ;   in Loop: Header=BB6_49 Depth=1
	s_wait_xcnt 0x0
	s_or_b32 exec_lo, exec_lo, s7
	v_mov_b32_e32 v10, v71
.LBB6_434:                              ;   in Loop: Header=BB6_49 Depth=1
	s_or_b32 exec_lo, exec_lo, s20
	s_and_saveexec_b32 s20, s19
	s_cbranch_execz .LBB6_48
; %bb.435:                              ;   in Loop: Header=BB6_49 Depth=1
	s_delay_alu instid0(VALU_DEP_1) | instskip(SKIP_2) | instid1(VALU_DEP_2)
	v_sub_nc_u32_e32 v10, v70, v10
	v_and_b32_e32 v11, 12, v30
	s_mov_b32 s19, exec_lo
	v_min_i32_e32 v10, v71, v10
	s_delay_alu instid0(VALU_DEP_2)
	v_cmpx_ne_u32_e32 0, v11
	s_cbranch_execz .LBB6_461
; %bb.436:                              ;   in Loop: Header=BB6_49 Depth=1
	v_and_b32_e32 v38, 8, v30
	v_add_nc_u64_e32 v[12:13], 1, v[8:9]
	s_mov_b32 s21, exec_lo
	s_wait_loadcnt 0x0
	s_delay_alu instid0(VALU_DEP_2) | instskip(NEXT) | instid1(VALU_DEP_1)
	v_add_nc_u64_e32 v[14:15], v[32:33], v[38:39]
	v_cmpx_lt_u64_e64 v[14:15], v[12:13]
	s_cbranch_execz .LBB6_448
; %bb.437:                              ;   in Loop: Header=BB6_49 Depth=1
	v_and_b32_e32 v9, 64, v30
	s_mov_b32 s22, 0
	s_mov_b32 s26, 0
                                        ; implicit-def: $sgpr23
                                        ; implicit-def: $sgpr24
                                        ; implicit-def: $sgpr25
	s_delay_alu instid0(VALU_DEP_1)
	v_cmp_eq_u32_e32 vcc_lo, 0, v9
	s_branch .LBB6_441
.LBB6_438:                              ;   in Loop: Header=BB6_441 Depth=2
	s_wait_loadcnt_dscnt 0x0
	v_add_nc_u64_e32 v[14:15], v[32:33], v[38:39]
	s_or_b32 s29, s29, exec_lo
	s_delay_alu instid0(VALU_DEP_1)
	v_cmp_ge_u64_e64 s7, v[14:15], v[12:13]
	s_or_not1_b32 s28, s7, exec_lo
.LBB6_439:                              ;   in Loop: Header=BB6_441 Depth=2
	s_or_b32 exec_lo, exec_lo, s41
	s_delay_alu instid0(SALU_CYCLE_1)
	s_and_not1_b32 s7, s25, exec_lo
	s_and_b32 s25, s29, exec_lo
	s_and_not1_b32 s24, s24, exec_lo
	s_and_b32 s28, s28, exec_lo
	s_or_b32 s25, s7, s25
	s_or_b32 s24, s24, s28
.LBB6_440:                              ;   in Loop: Header=BB6_441 Depth=2
	s_or_b32 exec_lo, exec_lo, s27
	s_delay_alu instid0(SALU_CYCLE_1) | instskip(NEXT) | instid1(SALU_CYCLE_1)
	s_and_b32 s7, exec_lo, s24
	s_or_b32 s22, s7, s22
	s_and_not1_b32 s7, s23, exec_lo
	s_and_b32 s23, s25, exec_lo
	s_delay_alu instid0(SALU_CYCLE_1)
	s_or_b32 s23, s7, s23
	s_and_not1_b32 exec_lo, exec_lo, s22
	s_cbranch_execz .LBB6_445
.LBB6_441:                              ;   Parent Loop BB6_49 Depth=1
                                        ; =>  This Inner Loop Header: Depth=2
	s_sleep 1
	s_wait_loadcnt_dscnt 0x0
	flat_load_b64 v[32:33], v[22:23] scope:SCOPE_SYS
	s_or_b32 s25, s25, exec_lo
	s_or_b32 s24, s24, exec_lo
                                        ; implicit-def: $vgpr9
	s_wait_xcnt 0x0
	s_and_saveexec_b32 s27, vcc_lo
	s_cbranch_execz .LBB6_440
; %bb.442:                              ;   in Loop: Header=BB6_441 Depth=2
	s_cmp_lt_i32 s26, 0x270f
	s_mov_b32 s28, -1
	s_cselect_b32 s40, -1, 0
	s_cmp_gt_i32 s26, 0x270e
	s_cbranch_scc0 .LBB6_444
; %bb.443:                              ;   in Loop: Header=BB6_441 Depth=2
	s_trap 2
	ds_load_b64 v[14:15], v0
	s_and_not1_b32 s26, s40, exec_lo
	s_mov_b32 s29, 0
	s_wait_storecnt 0x0
	s_wait_loadcnt_dscnt 0x0
	flat_load_b32 v9, v[14:15] scope:SCOPE_SYS
	s_wait_loadcnt_dscnt 0x0
	global_inv scope:SCOPE_SYS
	v_cmp_eq_u32_e64 s7, 0, v9
	s_and_b32 s7, s7, exec_lo
	s_delay_alu instid0(SALU_CYCLE_1)
	s_or_b32 s40, s26, s7
	s_mov_b32 s26, 0
	s_and_saveexec_b32 s41, s40
	s_cbranch_execz .LBB6_439
	s_branch .LBB6_438
.LBB6_444:                              ;   in Loop: Header=BB6_441 Depth=2
	s_add_co_i32 s26, s26, 1
	s_mov_b32 s29, -1
                                        ; implicit-def: $vgpr9
	s_and_saveexec_b32 s41, s40
	s_cbranch_execz .LBB6_439
	s_branch .LBB6_438
.LBB6_445:                              ;   in Loop: Header=BB6_49 Depth=1
	s_or_b32 exec_lo, exec_lo, s22
	s_xor_b32 s7, s23, -1
	s_delay_alu instid0(SALU_CYCLE_1) | instskip(NEXT) | instid1(SALU_CYCLE_1)
	s_and_saveexec_b32 s22, s7
	s_xor_b32 s7, exec_lo, s22
	s_cbranch_execz .LBB6_447
; %bb.446:                              ;   in Loop: Header=BB6_49 Depth=1
	v_or_b32_e32 v30, 64, v30
	s_wait_storecnt 0x0
	s_wait_loadcnt_dscnt 0x0
	ds_store_b32 v0, v9
	s_trap 2
.LBB6_447:                              ;   in Loop: Header=BB6_49 Depth=1
	s_or_b32 exec_lo, exec_lo, s7
.LBB6_448:                              ;   in Loop: Header=BB6_49 Depth=1
	s_delay_alu instid0(SALU_CYCLE_1) | instskip(SKIP_2) | instid1(VALU_DEP_1)
	s_or_b32 exec_lo, exec_lo, s21
	v_and_b32_e32 v9, 0x108, v30
	;;#ASMSTART
	s_wakeup
	;;#ASMEND
	v_cmp_ne_u32_e32 vcc_lo, 0x108, v9
	v_and_b32_e32 v8, 7, v8
	s_and_saveexec_b32 s7, vcc_lo
	s_delay_alu instid0(SALU_CYCLE_1)
	s_xor_b32 s7, exec_lo, s7
; %bb.449:                              ;   in Loop: Header=BB6_49 Depth=1
	v_mov_b32_e32 v9, v39
; %bb.450:                              ;   in Loop: Header=BB6_49 Depth=1
	s_and_not1_saveexec_b32 s7, s7
	s_cbranch_execz .LBB6_452
; %bb.451:                              ;   in Loop: Header=BB6_49 Depth=1
	v_dual_ashrrev_i32 v11, 31, v10 :: v_dual_mov_b32 v9, v39
	v_mad_nc_u64_u32 v[14:15], v8, 24, v[6:7]
	s_delay_alu instid0(VALU_DEP_2)
	v_lshlrev_b64_e32 v[16:17], 1, v[10:11]
	flat_store_b64 v[14:15], v[16:17] offset:8
.LBB6_452:                              ;   in Loop: Header=BB6_49 Depth=1
	s_wait_xcnt 0x0
	s_or_b32 exec_lo, exec_lo, s7
	v_and_b32_e32 v11, 0x100, v30
	s_mov_b32 s7, -1
	s_mov_b32 s21, exec_lo
                                        ; implicit-def: $vgpr14_vgpr15
	s_delay_alu instid0(VALU_DEP_1)
	v_cmpx_ne_u32_e32 0, v11
	s_cbranch_execz .LBB6_456
; %bb.453:                              ;   in Loop: Header=BB6_49 Depth=1
	v_mad_nc_u64_u32 v[16:17], v8, 24, v[6:7]
	s_mov_b32 s22, exec_lo
                                        ; implicit-def: $vgpr14_vgpr15
	s_delay_alu instid0(VALU_DEP_1)
	v_mad_u32 v17, v9, 24, v17
	flat_load_b32 v11, v[16:17]
	s_wait_loadcnt_dscnt 0x0
	v_cmp_ne_u32_e32 vcc_lo, 1, v11
	s_wait_xcnt 0x0
	v_cmpx_eq_u32_e32 1, v11
	s_cbranch_execz .LBB6_455
; %bb.454:                              ;   in Loop: Header=BB6_49 Depth=1
	flat_load_b32 v14, v[16:17] offset:4 scope:SCOPE_SYS
	s_wait_loadcnt_dscnt 0x0
	v_ashrrev_i32_e32 v15, 31, v14
	s_delay_alu instid0(VALU_DEP_1)
	v_lshrrev_b64 v[14:15], 1, v[14:15]
.LBB6_455:                              ;   in Loop: Header=BB6_49 Depth=1
	s_wait_xcnt 0x0
	s_or_b32 exec_lo, exec_lo, s22
	s_delay_alu instid0(SALU_CYCLE_1)
	s_or_not1_b32 s7, vcc_lo, exec_lo
.LBB6_456:                              ;   in Loop: Header=BB6_49 Depth=1
	s_or_b32 exec_lo, exec_lo, s21
	s_and_saveexec_b32 s21, s7
; %bb.457:                              ;   in Loop: Header=BB6_49 Depth=1
	v_mul_u64_e32 v[14:15], v[8:9], v[24:25]
; %bb.458:                              ;   in Loop: Header=BB6_49 Depth=1
	s_or_b32 exec_lo, exec_lo, s21
	v_cmp_eq_u32_e32 vcc_lo, 0, v38
	v_and_b32_e32 v16, 0x2000, v30
	s_delay_alu instid0(VALU_DEP_3) | instskip(SKIP_2) | instid1(VALU_DEP_1)
	v_lshl_add_u64 v[8:9], v[14:15], 1, v[26:27]
	s_mov_b32 s7, exec_lo
	v_cndmask_b32_e32 v11, 0xc8, v102, vcc_lo
	v_add_nc_u32_e32 v11, v0, v11
	ds_store_b64 v11, v[8:9] offset:584
	v_cmpx_ne_u32_e32 0, v16
	s_cbranch_execz .LBB6_460
; %bb.459:                              ;   in Loop: Header=BB6_49 Depth=1
	ds_load_b64 v[8:9], v0 offset:872
	s_wait_dscnt 0x0
	v_add_nc_u64_e32 v[8:9], 1, v[8:9]
	ds_store_b64 v0, v[8:9] offset:872
.LBB6_460:                              ;   in Loop: Header=BB6_49 Depth=1
	s_or_b32 exec_lo, exec_lo, s7
	v_mov_b64_e32 v[8:9], v[12:13]
.LBB6_461:                              ;   in Loop: Header=BB6_49 Depth=1
	s_or_b32 exec_lo, exec_lo, s19
	s_and_saveexec_b32 s7, s2
	s_cbranch_execz .LBB6_480
; %bb.462:                              ;   in Loop: Header=BB6_49 Depth=1
	s_and_saveexec_b32 s19, s3
	s_delay_alu instid0(SALU_CYCLE_1)
	s_xor_b32 s19, exec_lo, s19
	s_cbranch_execz .LBB6_477
; %bb.463:                              ;   in Loop: Header=BB6_49 Depth=1
	s_and_saveexec_b32 s21, s4
	s_cbranch_execz .LBB6_476
; %bb.464:                              ;   in Loop: Header=BB6_49 Depth=1
	s_mov_b32 s23, exec_lo
	s_mov_b32 s22, exec_lo
	v_mbcnt_lo_u32_b32 v11, s23, 0
	global_wb scope:SCOPE_DEV
	s_wait_storecnt 0x0
	s_wait_loadcnt_dscnt 0x0
	global_inv scope:SCOPE_DEV
	v_cmpx_eq_u32_e32 0, v11
	s_cbranch_execz .LBB6_466
; %bb.465:                              ;   in Loop: Header=BB6_49 Depth=1
	s_bcnt1_i32_b32 s23, s23
	s_delay_alu instid0(SALU_CYCLE_1)
	v_mov_b32_e32 v38, s23
	s_wait_loadcnt 0x0
	ds_add_u64 v0, v[38:39]
	s_trap 2
.LBB6_466:                              ;   in Loop: Header=BB6_49 Depth=1
	s_or_b32 exec_lo, exec_lo, s22
	s_trap 2
	ds_load_b64 v[12:13], v0
	s_wait_dscnt 0x0
	v_add_nc_u64_e32 v[28:29], v[28:29], v[48:49]
	s_mov_b32 s22, exec_lo
	s_delay_alu instid0(VALU_DEP_1)
	v_cmpx_lt_u64_e64 v[12:13], v[28:29]
	s_cbranch_execz .LBB6_475
; %bb.467:                              ;   in Loop: Header=BB6_49 Depth=1
	s_mov_b32 s23, 0
	s_mov_b32 s26, 0
                                        ; implicit-def: $sgpr24
                                        ; implicit-def: $sgpr25
	s_branch .LBB6_469
.LBB6_468:                              ;   in Loop: Header=BB6_469 Depth=2
	s_or_b32 exec_lo, exec_lo, s28
	s_delay_alu instid0(SALU_CYCLE_1) | instskip(NEXT) | instid1(SALU_CYCLE_1)
	s_and_b32 s27, exec_lo, s29
	s_or_b32 s23, s27, s23
	s_and_not1_b32 s24, s24, exec_lo
	s_and_b32 s27, s25, exec_lo
	s_delay_alu instid0(SALU_CYCLE_1)
	s_or_b32 s24, s24, s27
	s_and_not1_b32 exec_lo, exec_lo, s23
	s_cbranch_execz .LBB6_473
.LBB6_469:                              ;   Parent Loop BB6_49 Depth=1
                                        ; =>  This Inner Loop Header: Depth=2
	s_add_co_i32 s26, s26, 1
	s_delay_alu instid0(SALU_CYCLE_1) | instskip(SKIP_1) | instid1(SALU_CYCLE_1)
	s_cmp_lg_u32 s26, 0x2710
	s_cselect_b32 s27, -1, 0
	s_and_b32 vcc_lo, exec_lo, s27
	s_cbranch_vccz .LBB6_471
; %bb.470:                              ;   in Loop: Header=BB6_469 Depth=2
	s_mov_b32 s29, -1
	s_or_b32 s25, s25, exec_lo
	s_and_saveexec_b32 s28, s27
	s_cbranch_execz .LBB6_468
	s_branch .LBB6_472
.LBB6_471:                              ;   in Loop: Header=BB6_469 Depth=2
	s_trap 2
	ds_load_b64 v[12:13], v0
	s_and_not1_b32 s27, s27, exec_lo
	s_mov_b32 s26, 0
	s_wait_loadcnt_dscnt 0x0
	flat_load_b32 v11, v[12:13] scope:SCOPE_SYS
	s_wait_loadcnt_dscnt 0x0
	global_inv scope:SCOPE_SYS
	v_cmp_eq_u32_e32 vcc_lo, 0, v11
	s_and_b32 s28, vcc_lo, exec_lo
	s_delay_alu instid0(SALU_CYCLE_1)
	s_or_b32 s27, s27, s28
	s_mov_b32 s29, -1
	s_or_b32 s25, s25, exec_lo
	s_and_saveexec_b32 s28, s27
	s_cbranch_execz .LBB6_468
.LBB6_472:                              ;   in Loop: Header=BB6_469 Depth=2
	s_sleep 1
	s_trap 2
	ds_load_b64 v[12:13], v0
	s_wait_dscnt 0x0
	s_and_not1_b32 s25, s25, exec_lo
	v_cmp_ge_u64_e32 vcc_lo, v[12:13], v[28:29]
	s_or_not1_b32 s29, vcc_lo, exec_lo
	s_branch .LBB6_468
.LBB6_473:                              ;   in Loop: Header=BB6_49 Depth=1
	s_or_b32 exec_lo, exec_lo, s23
	s_and_saveexec_b32 s23, s24
	s_delay_alu instid0(SALU_CYCLE_1)
	s_xor_b32 s23, exec_lo, s23
	s_cbranch_execz .LBB6_475
; %bb.474:                              ;   in Loop: Header=BB6_49 Depth=1
	ds_store_b32 v0, v101
	s_trap 2
.LBB6_475:                              ;   in Loop: Header=BB6_49 Depth=1
	s_or_b32 exec_lo, exec_lo, s22
	;;#ASMSTART
	s_wakeup
	;;#ASMEND
.LBB6_476:                              ;   in Loop: Header=BB6_49 Depth=1
	s_or_b32 exec_lo, exec_lo, s21
.LBB6_477:                              ;   in Loop: Header=BB6_49 Depth=1
	s_and_not1_saveexec_b32 s19, s19
	s_cbranch_execz .LBB6_479
; %bb.478:                              ;   in Loop: Header=BB6_49 Depth=1
	global_wb scope:SCOPE_DEV
	s_wait_storecnt 0x0
	s_wait_loadcnt_dscnt 0x0
	global_inv scope:SCOPE_DEV
	s_barrier_signal -1
	s_barrier_wait -1
.LBB6_479:                              ;   in Loop: Header=BB6_49 Depth=1
	s_or_b32 exec_lo, exec_lo, s19
.LBB6_480:                              ;   in Loop: Header=BB6_49 Depth=1
	s_delay_alu instid0(SALU_CYCLE_1)
	s_or_b32 exec_lo, exec_lo, s7
	s_trap 2
	ds_load_b32 v11, v0
	v_cmp_lt_i32_e32 vcc_lo, 0, v10
	s_wait_dscnt 0x0
	v_readfirstlane_b32 s7, v11
	v_and_b32_e32 v11, 16, v30
	s_cmp_eq_u32 s7, 0
	s_delay_alu instid0(VALU_DEP_1) | instskip(SKIP_1) | instid1(SALU_CYCLE_1)
	v_cmp_ne_u32_e64 s7, 0, v11
	s_cselect_b32 s19, -1, 0
	s_and_b32 s19, vcc_lo, s19
	s_delay_alu instid0(SALU_CYCLE_1) | instskip(NEXT) | instid1(SALU_CYCLE_1)
	s_and_b32 s19, s7, s19
	s_and_saveexec_b32 s7, s19
	s_cbranch_execz .LBB6_482
; %bb.481:                              ;   in Loop: Header=BB6_49 Depth=1
	global_wb scope:SCOPE_SYS
	s_wait_loadcnt 0x0
	s_wait_storecnt 0x0
	global_inv scope:SCOPE_SYS
.LBB6_482:                              ;   in Loop: Header=BB6_49 Depth=1
	s_or_b32 exec_lo, exec_lo, s7
	v_cmp_ne_u32_e32 vcc_lo, 0, v11
	s_and_b32 s19, vcc_lo, s18
	s_delay_alu instid0(SALU_CYCLE_1)
	s_and_saveexec_b32 s7, s19
	s_cbranch_execz .LBB6_484
; %bb.483:                              ;   in Loop: Header=BB6_49 Depth=1
	global_wb scope:SCOPE_SYS
	s_wait_loadcnt 0x0
	s_wait_storecnt 0x0
	flat_store_b32 v[36:37], v101 scope:SCOPE_SYS
.LBB6_484:                              ;   in Loop: Header=BB6_49 Depth=1
	s_wait_xcnt 0x0
	s_or_b32 exec_lo, exec_lo, s7
	v_and_b32_e32 v10, 48, v30
	s_mov_b32 s7, exec_lo
	s_delay_alu instid0(VALU_DEP_1)
	v_cmpx_ne_u32_e32 0, v10
	s_cbranch_execz .LBB6_47
; %bb.485:                              ;   in Loop: Header=BB6_49 Depth=1
	v_add_nc_u64_e32 v[8:9], 1, v[8:9]
	global_wb scope:SCOPE_SYS
	s_wait_storecnt 0x0
	s_wait_loadcnt_dscnt 0x0
	flat_store_b64 v[22:23], v[8:9] scope:SCOPE_SYS
	s_branch .LBB6_47
.LBB6_486:
	s_or_b32 exec_lo, exec_lo, s16
.LBB6_487:
	s_delay_alu instid0(SALU_CYCLE_1)
	s_or_b32 exec_lo, exec_lo, s14
                                        ; implicit-def: $vgpr18_vgpr19
                                        ; implicit-def: $vgpr4_vgpr5
                                        ; implicit-def: $vgpr24
                                        ; implicit-def: $vgpr32_vgpr33
                                        ; implicit-def: $vgpr26_vgpr27
                                        ; implicit-def: $vgpr22_vgpr23
                                        ; implicit-def: $vgpr0
                                        ; implicit-def: $vgpr50
                                        ; implicit-def: $vgpr34_vgpr35
.LBB6_488:
	s_and_not1_saveexec_b32 s13, s13
	s_cbranch_execz .LBB6_920
; %bb.489:
	s_wait_dscnt 0x0
	v_mov_b64_e32 v[28:29], 0
	s_mov_b32 s14, exec_lo
	v_cmpx_ne_u64_e32 0, v[4:5]
	s_cbranch_execz .LBB6_919
; %bb.490:
	v_dual_ashrrev_i32 v25, 31, v24 :: v_dual_bitop2_b32 v10, 31, v31 bitop3:0x40
	v_dual_mov_b32 v37, 0 :: v_dual_lshrrev_b32 v86, 5, v0
	v_dual_lshrrev_b32 v38, 5, v1 :: v_dual_bitop2_b32 v87, 31, v0 bitop3:0x40
	s_delay_alu instid0(VALU_DEP_3) | instskip(NEXT) | instid1(VALU_DEP_3)
	v_cmp_eq_u32_e64 s4, 0, v10
	v_dual_mov_b32 v49, v37 :: v_dual_lshlrev_b32 v10, 10, v86
	s_lshr_b32 s2, s10, 27
	v_cmp_eq_u32_e32 vcc_lo, 32, v1
	v_mov_b64_e32 v[64:65], 0
	s_delay_alu instid0(VALU_DEP_3)
	v_lshl_or_b32 v48, v87, 4, v10
	v_lshlrev_b32_e32 v10, 1, v1
	v_mov_b64_e32 v[28:29], 0
	v_cmp_ge_u32_e64 s1, v0, v1
	s_add_co_i32 s7, s10, s2
	v_cmp_ne_u32_e64 s2, 32, v1
	v_cmp_ne_u32_e64 s3, v1, v98
	v_mov_b32_e32 v39, v37
	v_cmp_le_u32_e64 s5, v87, v50
	v_cmp_eq_u32_e64 s6, 0, v87
	v_dual_mov_b32 v51, v37 :: v_dual_lshlrev_b32 v50, 10, v38
	v_dual_mov_b32 v53, v37 :: v_dual_lshlrev_b32 v52, 9, v38
	v_and_b32_e32 v54, 0x3fc0, v10
	v_dual_mov_b32 v55, v37 :: v_dual_mov_b32 v96, 1
	s_ashr_i32 s16, s7, 5
	s_mov_b32 s15, 0
	s_xor_b32 s17, vcc_lo, -1
	s_trap 2
	s_branch .LBB6_493
.LBB6_491:                              ;   in Loop: Header=BB6_493 Depth=1
	s_wait_xcnt 0x0
	s_or_b32 exec_lo, exec_lo, s7
.LBB6_492:                              ;   in Loop: Header=BB6_493 Depth=1
	s_delay_alu instid0(SALU_CYCLE_1) | instskip(SKIP_1) | instid1(VALU_DEP_1)
	s_or_b32 exec_lo, exec_lo, s19
	v_add_nc_u64_e32 v[64:65], v[64:65], v[34:35]
	v_cmp_ge_u64_e32 vcc_lo, v[64:65], v[4:5]
	s_or_b32 s15, vcc_lo, s15
	s_delay_alu instid0(SALU_CYCLE_1)
	s_and_not1_b32 exec_lo, exec_lo, s15
	s_cbranch_execz .LBB6_918
.LBB6_493:                              ; =>This Loop Header: Depth=1
                                        ;     Child Loop BB6_502 Depth 2
                                        ;     Child Loop BB6_526 Depth 2
	;; [unrolled: 1-line block ×10, first 2 shown]
	v_sub_nc_u64_e32 v[10:11], v[4:5], v[64:65]
	v_mov_b32_e32 v14, 0
	s_delay_alu instid0(VALU_DEP_2) | instskip(NEXT) | instid1(VALU_DEP_1)
	v_min_u64 v[66:67], v[34:35], v[10:11]
	v_add_nc_u32_e32 v10, 15, v66
	s_delay_alu instid0(VALU_DEP_2) | instskip(NEXT) | instid1(VALU_DEP_2)
	v_cmp_eq_u64_e32 vcc_lo, 0, v[66:67]
	v_and_b32_e32 v10, 0x3ffffff0, v10
	s_or_b32 s18, s1, vcc_lo
	s_delay_alu instid0(SALU_CYCLE_1) | instskip(NEXT) | instid1(VALU_DEP_1)
	s_xor_b32 s7, s18, -1
	v_max_i32_e32 v67, s16, v10
	s_and_saveexec_b32 s19, s7
	s_cbranch_execz .LBB6_872
; %bb.494:                              ;   in Loop: Header=BB6_493 Depth=1
	s_and_saveexec_b32 s7, s0
	s_cbranch_execz .LBB6_496
; %bb.495:                              ;   in Loop: Header=BB6_493 Depth=1
	s_trap 2
	ds_load_b64 v[14:15], v0
	ds_load_2addr_b64 v[10:13], v0 offset1:1
	v_add_nc_u64_e32 v[16:17], v[64:65], v[18:19]
	s_delay_alu instid0(VALU_DEP_1) | instskip(SKIP_1) | instid1(VALU_DEP_1)
	v_lshlrev_b64_e32 v[16:17], 1, v[16:17]
	s_wait_dscnt 0x1
	v_add_nc_u64_e32 v[68:69], v[14:15], v[16:17]
	v_cmp_ne_u64_e32 vcc_lo, 0, v[14:15]
	s_wait_dscnt 0x0
	v_add_nc_u64_e32 v[10:11], v[10:11], v[16:17]
	v_add_nc_u64_e32 v[12:13], v[12:13], v[16:17]
	s_delay_alu instid0(VALU_DEP_4)
	v_dual_cndmask_b32 v15, 0, v69 :: v_dual_cndmask_b32 v14, 0, v68
	ds_store_b64 v0, v[10:11]
	ds_store_b64 v0, v[12:13]
	;; [unrolled: 1-line block ×3, first 2 shown]
.LBB6_496:                              ;   in Loop: Header=BB6_493 Depth=1
	s_or_b32 exec_lo, exec_lo, s7
	v_and_b32_e32 v10, 4, v30
	s_mov_b32 s20, exec_lo
	s_delay_alu instid0(VALU_DEP_1)
	v_cmpx_ne_u32_e32 0, v10
	s_cbranch_execz .LBB6_518
; %bb.497:                              ;   in Loop: Header=BB6_493 Depth=1
	v_add_nc_u64_e32 v[10:11], 1, v[8:9]
	s_mov_b32 s21, exec_lo
	s_wait_loadcnt 0x0
	s_delay_alu instid0(VALU_DEP_1)
	v_cmpx_lt_u64_e64 v[32:33], v[10:11]
	s_cbranch_execz .LBB6_509
; %bb.498:                              ;   in Loop: Header=BB6_493 Depth=1
	v_and_b32_e32 v9, 64, v30
	s_mov_b32 s22, 0
	s_mov_b32 s26, 0
                                        ; implicit-def: $sgpr23
                                        ; implicit-def: $sgpr24
                                        ; implicit-def: $sgpr25
	s_delay_alu instid0(VALU_DEP_1)
	v_cmp_eq_u32_e32 vcc_lo, 0, v9
	s_branch .LBB6_502
.LBB6_499:                              ;   in Loop: Header=BB6_502 Depth=2
	s_wait_loadcnt_dscnt 0x0
	v_cmp_ge_u64_e64 s7, v[32:33], v[10:11]
	s_or_b32 s29, s29, exec_lo
	s_or_not1_b32 s28, s7, exec_lo
.LBB6_500:                              ;   in Loop: Header=BB6_502 Depth=2
	s_or_b32 exec_lo, exec_lo, s41
	s_delay_alu instid0(SALU_CYCLE_1)
	s_and_not1_b32 s7, s25, exec_lo
	s_and_b32 s25, s29, exec_lo
	s_and_not1_b32 s24, s24, exec_lo
	s_and_b32 s28, s28, exec_lo
	s_or_b32 s25, s7, s25
	s_or_b32 s24, s24, s28
.LBB6_501:                              ;   in Loop: Header=BB6_502 Depth=2
	s_or_b32 exec_lo, exec_lo, s27
	s_delay_alu instid0(SALU_CYCLE_1) | instskip(NEXT) | instid1(SALU_CYCLE_1)
	s_and_b32 s7, exec_lo, s24
	s_or_b32 s22, s7, s22
	s_and_not1_b32 s7, s23, exec_lo
	s_and_b32 s23, s25, exec_lo
	s_delay_alu instid0(SALU_CYCLE_1)
	s_or_b32 s23, s7, s23
	s_and_not1_b32 exec_lo, exec_lo, s22
	s_cbranch_execz .LBB6_506
.LBB6_502:                              ;   Parent Loop BB6_493 Depth=1
                                        ; =>  This Inner Loop Header: Depth=2
	s_sleep 1
	s_wait_loadcnt_dscnt 0x0
	flat_load_b64 v[32:33], v[22:23] scope:SCOPE_SYS
	s_or_b32 s25, s25, exec_lo
	s_or_b32 s24, s24, exec_lo
                                        ; implicit-def: $vgpr9
	s_wait_xcnt 0x0
	s_and_saveexec_b32 s27, vcc_lo
	s_cbranch_execz .LBB6_501
; %bb.503:                              ;   in Loop: Header=BB6_502 Depth=2
	s_cmp_lt_i32 s26, 0x270f
	s_mov_b32 s28, -1
	s_cselect_b32 s40, -1, 0
	s_cmp_gt_i32 s26, 0x270e
	s_cbranch_scc0 .LBB6_505
; %bb.504:                              ;   in Loop: Header=BB6_502 Depth=2
	s_trap 2
	ds_load_b64 v[12:13], v0
	s_and_not1_b32 s26, s40, exec_lo
	s_mov_b32 s29, 0
	s_wait_storecnt 0x0
	s_wait_loadcnt_dscnt 0x0
	flat_load_b32 v9, v[12:13] scope:SCOPE_SYS
	s_wait_loadcnt_dscnt 0x0
	global_inv scope:SCOPE_SYS
	v_cmp_eq_u32_e64 s7, 0, v9
	s_and_b32 s7, s7, exec_lo
	s_delay_alu instid0(SALU_CYCLE_1)
	s_or_b32 s40, s26, s7
	s_mov_b32 s26, 0
	s_and_saveexec_b32 s41, s40
	s_cbranch_execz .LBB6_500
	s_branch .LBB6_499
.LBB6_505:                              ;   in Loop: Header=BB6_502 Depth=2
	s_add_co_i32 s26, s26, 1
	s_mov_b32 s29, -1
                                        ; implicit-def: $vgpr9
	s_and_saveexec_b32 s41, s40
	s_cbranch_execz .LBB6_500
	s_branch .LBB6_499
.LBB6_506:                              ;   in Loop: Header=BB6_493 Depth=1
	s_or_b32 exec_lo, exec_lo, s22
	s_xor_b32 s7, s23, -1
	s_delay_alu instid0(SALU_CYCLE_1) | instskip(NEXT) | instid1(SALU_CYCLE_1)
	s_and_saveexec_b32 s22, s7
	s_xor_b32 s7, exec_lo, s22
	s_cbranch_execz .LBB6_508
; %bb.507:                              ;   in Loop: Header=BB6_493 Depth=1
	v_or_b32_e32 v30, 64, v30
	s_wait_storecnt 0x0
	s_wait_loadcnt_dscnt 0x0
	ds_store_b32 v0, v9
	s_trap 2
.LBB6_508:                              ;   in Loop: Header=BB6_493 Depth=1
	s_or_b32 exec_lo, exec_lo, s7
.LBB6_509:                              ;   in Loop: Header=BB6_493 Depth=1
	s_delay_alu instid0(SALU_CYCLE_1) | instskip(SKIP_4) | instid1(VALU_DEP_2)
	s_or_b32 exec_lo, exec_lo, s21
	v_and_b32_e32 v9, 0x100, v30
	v_and_b32_e32 v36, 7, v8
	s_mov_b32 s7, -1
	;;#ASMSTART
	s_wakeup
	;;#ASMEND
	v_cmp_ne_u32_e32 vcc_lo, 0, v9
                                        ; implicit-def: $vgpr8_vgpr9
	s_and_saveexec_b32 s21, vcc_lo
	s_cbranch_execz .LBB6_513
; %bb.510:                              ;   in Loop: Header=BB6_493 Depth=1
	v_mad_nc_u64_u32 v[12:13], v36, 24, v[6:7]
	flat_load_b32 v8, v[12:13]
	s_wait_loadcnt_dscnt 0x0
	v_cmp_eq_u32_e64 s7, 1, v8
	v_cmp_ne_u32_e32 vcc_lo, 1, v8
                                        ; implicit-def: $vgpr8_vgpr9
	s_wait_xcnt 0x0
	s_and_saveexec_b32 s22, s7
	s_cbranch_execz .LBB6_512
; %bb.511:                              ;   in Loop: Header=BB6_493 Depth=1
	flat_load_b32 v8, v[12:13] offset:4 scope:SCOPE_SYS
	s_wait_loadcnt_dscnt 0x0
	v_ashrrev_i32_e32 v9, 31, v8
	s_delay_alu instid0(VALU_DEP_1)
	v_lshrrev_b64 v[8:9], 1, v[8:9]
.LBB6_512:                              ;   in Loop: Header=BB6_493 Depth=1
	s_wait_xcnt 0x0
	s_or_b32 exec_lo, exec_lo, s22
	s_delay_alu instid0(SALU_CYCLE_1)
	s_or_not1_b32 s7, vcc_lo, exec_lo
.LBB6_513:                              ;   in Loop: Header=BB6_493 Depth=1
	s_or_b32 exec_lo, exec_lo, s21
	s_and_saveexec_b32 s21, s7
; %bb.514:                              ;   in Loop: Header=BB6_493 Depth=1
	v_mul_u64_e32 v[8:9], v[36:37], v[24:25]
; %bb.515:                              ;   in Loop: Header=BB6_493 Depth=1
	s_or_b32 exec_lo, exec_lo, s21
	v_and_b32_e32 v12, 0x2000, v30
	s_delay_alu instid0(VALU_DEP_2)
	v_lshl_add_u64 v[8:9], v[8:9], 1, v[26:27]
	s_mov_b32 s7, exec_lo
	ds_store_b64 v0, v[8:9] offset:728
	v_cmpx_ne_u32_e32 0, v12
	s_cbranch_execz .LBB6_517
; %bb.516:                              ;   in Loop: Header=BB6_493 Depth=1
	ds_load_b64 v[8:9], v0 offset:872
	s_wait_dscnt 0x0
	v_add_nc_u64_e32 v[8:9], 1, v[8:9]
	ds_store_b64 v0, v[8:9] offset:872
.LBB6_517:                              ;   in Loop: Header=BB6_493 Depth=1
	s_or_b32 exec_lo, exec_lo, s7
	v_mov_b64_e32 v[8:9], v[10:11]
.LBB6_518:                              ;   in Loop: Header=BB6_493 Depth=1
	s_or_b32 exec_lo, exec_lo, s20
	s_and_saveexec_b32 s7, s2
	s_cbranch_execz .LBB6_537
; %bb.519:                              ;   in Loop: Header=BB6_493 Depth=1
	s_and_saveexec_b32 s20, s3
	s_delay_alu instid0(SALU_CYCLE_1)
	s_xor_b32 s20, exec_lo, s20
	s_cbranch_execz .LBB6_534
; %bb.520:                              ;   in Loop: Header=BB6_493 Depth=1
	s_and_saveexec_b32 s21, s4
	s_cbranch_execz .LBB6_533
; %bb.521:                              ;   in Loop: Header=BB6_493 Depth=1
	s_mov_b32 s23, exec_lo
	s_mov_b32 s22, exec_lo
	v_mbcnt_lo_u32_b32 v10, s23, 0
	global_wb scope:SCOPE_DEV
	s_wait_storecnt 0x0
	s_wait_loadcnt_dscnt 0x0
	global_inv scope:SCOPE_DEV
	v_cmpx_eq_u32_e32 0, v10
	s_cbranch_execz .LBB6_523
; %bb.522:                              ;   in Loop: Header=BB6_493 Depth=1
	s_bcnt1_i32_b32 s23, s23
	s_delay_alu instid0(SALU_CYCLE_1)
	v_mov_b32_e32 v36, s23
	s_wait_loadcnt 0x0
	ds_add_u64 v0, v[36:37]
	s_trap 2
.LBB6_523:                              ;   in Loop: Header=BB6_493 Depth=1
	s_or_b32 exec_lo, exec_lo, s22
	s_trap 2
	ds_load_b64 v[10:11], v0
	s_wait_dscnt 0x0
	v_add_nc_u64_e32 v[28:29], v[28:29], v[38:39]
	s_mov_b32 s22, exec_lo
	s_delay_alu instid0(VALU_DEP_1)
	v_cmpx_lt_u64_e64 v[10:11], v[28:29]
	s_cbranch_execz .LBB6_532
; %bb.524:                              ;   in Loop: Header=BB6_493 Depth=1
	s_mov_b32 s23, 0
	s_mov_b32 s26, 0
                                        ; implicit-def: $sgpr24
                                        ; implicit-def: $sgpr25
	s_branch .LBB6_526
.LBB6_525:                              ;   in Loop: Header=BB6_526 Depth=2
	s_or_b32 exec_lo, exec_lo, s28
	s_delay_alu instid0(SALU_CYCLE_1) | instskip(NEXT) | instid1(SALU_CYCLE_1)
	s_and_b32 s27, exec_lo, s29
	s_or_b32 s23, s27, s23
	s_and_not1_b32 s24, s24, exec_lo
	s_and_b32 s27, s25, exec_lo
	s_delay_alu instid0(SALU_CYCLE_1)
	s_or_b32 s24, s24, s27
	s_and_not1_b32 exec_lo, exec_lo, s23
	s_cbranch_execz .LBB6_530
.LBB6_526:                              ;   Parent Loop BB6_493 Depth=1
                                        ; =>  This Inner Loop Header: Depth=2
	s_add_co_i32 s26, s26, 1
	s_delay_alu instid0(SALU_CYCLE_1) | instskip(SKIP_1) | instid1(SALU_CYCLE_1)
	s_cmp_lg_u32 s26, 0x2710
	s_cselect_b32 s27, -1, 0
	s_and_b32 vcc_lo, exec_lo, s27
	s_cbranch_vccz .LBB6_528
; %bb.527:                              ;   in Loop: Header=BB6_526 Depth=2
	s_mov_b32 s29, -1
	s_or_b32 s25, s25, exec_lo
	s_and_saveexec_b32 s28, s27
	s_cbranch_execz .LBB6_525
	s_branch .LBB6_529
.LBB6_528:                              ;   in Loop: Header=BB6_526 Depth=2
	s_trap 2
	ds_load_b64 v[10:11], v0
	s_and_not1_b32 s27, s27, exec_lo
	s_mov_b32 s26, 0
	s_wait_loadcnt_dscnt 0x0
	flat_load_b32 v10, v[10:11] scope:SCOPE_SYS
	s_wait_loadcnt_dscnt 0x0
	global_inv scope:SCOPE_SYS
	v_cmp_eq_u32_e32 vcc_lo, 0, v10
	s_and_b32 s28, vcc_lo, exec_lo
	s_delay_alu instid0(SALU_CYCLE_1)
	s_or_b32 s27, s27, s28
	s_mov_b32 s29, -1
	s_or_b32 s25, s25, exec_lo
	s_and_saveexec_b32 s28, s27
	s_cbranch_execz .LBB6_525
.LBB6_529:                              ;   in Loop: Header=BB6_526 Depth=2
	s_sleep 1
	s_trap 2
	ds_load_b64 v[10:11], v0
	s_wait_dscnt 0x0
	s_and_not1_b32 s25, s25, exec_lo
	v_cmp_ge_u64_e32 vcc_lo, v[10:11], v[28:29]
	s_or_not1_b32 s29, vcc_lo, exec_lo
	s_branch .LBB6_525
.LBB6_530:                              ;   in Loop: Header=BB6_493 Depth=1
	s_or_b32 exec_lo, exec_lo, s23
	s_and_saveexec_b32 s23, s24
	s_delay_alu instid0(SALU_CYCLE_1)
	s_xor_b32 s23, exec_lo, s23
	s_cbranch_execz .LBB6_532
; %bb.531:                              ;   in Loop: Header=BB6_493 Depth=1
	ds_store_b32 v0, v96
	s_trap 2
.LBB6_532:                              ;   in Loop: Header=BB6_493 Depth=1
	s_or_b32 exec_lo, exec_lo, s22
	;;#ASMSTART
	s_wakeup
	;;#ASMEND
.LBB6_533:                              ;   in Loop: Header=BB6_493 Depth=1
	s_or_b32 exec_lo, exec_lo, s21
.LBB6_534:                              ;   in Loop: Header=BB6_493 Depth=1
	s_and_not1_saveexec_b32 s20, s20
	s_cbranch_execz .LBB6_536
; %bb.535:                              ;   in Loop: Header=BB6_493 Depth=1
	global_wb scope:SCOPE_DEV
	s_wait_storecnt 0x0
	s_wait_loadcnt_dscnt 0x0
	global_inv scope:SCOPE_DEV
	s_barrier_signal -1
	s_barrier_wait -1
.LBB6_536:                              ;   in Loop: Header=BB6_493 Depth=1
	s_or_b32 exec_lo, exec_lo, s20
.LBB6_537:                              ;   in Loop: Header=BB6_493 Depth=1
	s_delay_alu instid0(SALU_CYCLE_1) | instskip(SKIP_3) | instid1(VALU_DEP_1)
	s_or_b32 exec_lo, exec_lo, s7
	s_trap 2
	ds_load_b32 v10, v0
	v_and_b32_e32 v11, 0x4000, v30
	v_cmp_ne_u32_e32 vcc_lo, 0, v11
	s_and_b32 s20, s17, vcc_lo
	s_delay_alu instid0(SALU_CYCLE_1)
	s_and_saveexec_b32 s7, s20
	s_cbranch_execz .LBB6_556
; %bb.538:                              ;   in Loop: Header=BB6_493 Depth=1
	s_and_saveexec_b32 s20, s3
	s_delay_alu instid0(SALU_CYCLE_1)
	s_xor_b32 s20, exec_lo, s20
	s_cbranch_execz .LBB6_553
; %bb.539:                              ;   in Loop: Header=BB6_493 Depth=1
	s_and_saveexec_b32 s21, s4
	s_cbranch_execz .LBB6_552
; %bb.540:                              ;   in Loop: Header=BB6_493 Depth=1
	s_mov_b32 s23, exec_lo
	s_mov_b32 s22, exec_lo
	v_mbcnt_lo_u32_b32 v11, s23, 0
	global_wb scope:SCOPE_DEV
	s_wait_storecnt 0x0
	s_wait_loadcnt_dscnt 0x0
	global_inv scope:SCOPE_DEV
	v_cmpx_eq_u32_e32 0, v11
	s_cbranch_execz .LBB6_542
; %bb.541:                              ;   in Loop: Header=BB6_493 Depth=1
	s_bcnt1_i32_b32 s23, s23
	s_delay_alu instid0(SALU_CYCLE_1)
	v_mov_b32_e32 v36, s23
	s_wait_loadcnt 0x0
	ds_add_u64 v0, v[36:37]
	s_trap 2
.LBB6_542:                              ;   in Loop: Header=BB6_493 Depth=1
	s_or_b32 exec_lo, exec_lo, s22
	s_trap 2
	ds_load_b64 v[12:13], v0
	s_wait_dscnt 0x0
	v_add_nc_u64_e32 v[28:29], v[28:29], v[38:39]
	s_mov_b32 s22, exec_lo
	s_delay_alu instid0(VALU_DEP_1)
	v_cmpx_lt_u64_e64 v[12:13], v[28:29]
	s_cbranch_execz .LBB6_551
; %bb.543:                              ;   in Loop: Header=BB6_493 Depth=1
	s_mov_b32 s23, 0
	s_mov_b32 s26, 0
                                        ; implicit-def: $sgpr24
                                        ; implicit-def: $sgpr25
	s_branch .LBB6_545
.LBB6_544:                              ;   in Loop: Header=BB6_545 Depth=2
	s_or_b32 exec_lo, exec_lo, s28
	s_delay_alu instid0(SALU_CYCLE_1) | instskip(NEXT) | instid1(SALU_CYCLE_1)
	s_and_b32 s27, exec_lo, s29
	s_or_b32 s23, s27, s23
	s_and_not1_b32 s24, s24, exec_lo
	s_and_b32 s27, s25, exec_lo
	s_delay_alu instid0(SALU_CYCLE_1)
	s_or_b32 s24, s24, s27
	s_and_not1_b32 exec_lo, exec_lo, s23
	s_cbranch_execz .LBB6_549
.LBB6_545:                              ;   Parent Loop BB6_493 Depth=1
                                        ; =>  This Inner Loop Header: Depth=2
	s_add_co_i32 s26, s26, 1
	s_delay_alu instid0(SALU_CYCLE_1) | instskip(SKIP_1) | instid1(SALU_CYCLE_1)
	s_cmp_lg_u32 s26, 0x2710
	s_cselect_b32 s27, -1, 0
	s_and_b32 vcc_lo, exec_lo, s27
	s_cbranch_vccz .LBB6_547
; %bb.546:                              ;   in Loop: Header=BB6_545 Depth=2
	s_mov_b32 s29, -1
	s_or_b32 s25, s25, exec_lo
	s_and_saveexec_b32 s28, s27
	s_cbranch_execz .LBB6_544
	s_branch .LBB6_548
.LBB6_547:                              ;   in Loop: Header=BB6_545 Depth=2
	s_trap 2
	ds_load_b64 v[12:13], v0
	s_and_not1_b32 s27, s27, exec_lo
	s_mov_b32 s26, 0
	s_wait_loadcnt_dscnt 0x0
	flat_load_b32 v11, v[12:13] scope:SCOPE_SYS
	s_wait_loadcnt_dscnt 0x0
	global_inv scope:SCOPE_SYS
	v_cmp_eq_u32_e32 vcc_lo, 0, v11
	s_and_b32 s28, vcc_lo, exec_lo
	s_delay_alu instid0(SALU_CYCLE_1)
	s_or_b32 s27, s27, s28
	s_mov_b32 s29, -1
	s_or_b32 s25, s25, exec_lo
	s_and_saveexec_b32 s28, s27
	s_cbranch_execz .LBB6_544
.LBB6_548:                              ;   in Loop: Header=BB6_545 Depth=2
	s_sleep 1
	s_trap 2
	ds_load_b64 v[12:13], v0
	s_wait_dscnt 0x0
	s_and_not1_b32 s25, s25, exec_lo
	v_cmp_ge_u64_e32 vcc_lo, v[12:13], v[28:29]
	s_or_not1_b32 s29, vcc_lo, exec_lo
	s_branch .LBB6_544
.LBB6_549:                              ;   in Loop: Header=BB6_493 Depth=1
	s_or_b32 exec_lo, exec_lo, s23
	s_and_saveexec_b32 s23, s24
	s_delay_alu instid0(SALU_CYCLE_1)
	s_xor_b32 s23, exec_lo, s23
	s_cbranch_execz .LBB6_551
; %bb.550:                              ;   in Loop: Header=BB6_493 Depth=1
	ds_store_b32 v0, v96
	s_trap 2
.LBB6_551:                              ;   in Loop: Header=BB6_493 Depth=1
	s_or_b32 exec_lo, exec_lo, s22
	;;#ASMSTART
	s_wakeup
	;;#ASMEND
.LBB6_552:                              ;   in Loop: Header=BB6_493 Depth=1
	s_or_b32 exec_lo, exec_lo, s21
.LBB6_553:                              ;   in Loop: Header=BB6_493 Depth=1
	s_and_not1_saveexec_b32 s20, s20
	s_cbranch_execz .LBB6_555
; %bb.554:                              ;   in Loop: Header=BB6_493 Depth=1
	global_wb scope:SCOPE_DEV
	s_wait_storecnt 0x0
	s_wait_loadcnt_dscnt 0x0
	global_inv scope:SCOPE_DEV
	s_barrier_signal -1
	s_barrier_wait -1
.LBB6_555:                              ;   in Loop: Header=BB6_493 Depth=1
	s_or_b32 exec_lo, exec_lo, s20
.LBB6_556:                              ;   in Loop: Header=BB6_493 Depth=1
	s_delay_alu instid0(SALU_CYCLE_1)
	s_or_b32 exec_lo, exec_lo, s7
	s_trap 2
	ds_load_b64 v[68:69], v0
	v_min_u32_e32 v67, v67, v66
	s_wait_dscnt 0x0
	v_cmp_eq_u64_e32 vcc_lo, 0, v[68:69]
	s_cbranch_vccnz .LBB6_564
; %bb.557:                              ;   in Loop: Header=BB6_493 Depth=1
	s_trap 2
	ds_load_b64 v[70:71], v0
	s_wait_dscnt 0x0
	v_cmp_eq_u64_e32 vcc_lo, 0, v[70:71]
	s_cbranch_vccnz .LBB6_564
; %bb.558:                              ;   in Loop: Header=BB6_493 Depth=1
	s_mov_b32 s7, -1
	s_and_saveexec_b32 s20, s5
	s_cbranch_execz .LBB6_560
; %bb.559:                              ;   in Loop: Header=BB6_493 Depth=1
	ds_load_b32 v11, v0 offset:720
	s_wait_dscnt 0x0
	v_and_b32_e32 v11, 15, v11
	s_delay_alu instid0(VALU_DEP_1)
	v_cmp_eq_u32_e32 vcc_lo, 0, v11
	s_or_not1_b32 s7, vcc_lo, exec_lo
.LBB6_560:                              ;   in Loop: Header=BB6_493 Depth=1
	s_or_b32 exec_lo, exec_lo, s20
	s_and_saveexec_b32 s20, s6
	s_cbranch_execz .LBB6_562
; %bb.561:                              ;   in Loop: Header=BB6_493 Depth=1
	ds_load_b32 v11, v0 offset:784
	s_wait_dscnt 0x0
	v_and_b32_e32 v11, 15, v11
	s_delay_alu instid0(VALU_DEP_1) | instskip(SKIP_3) | instid1(SALU_CYCLE_1)
	v_cmp_eq_u32_e32 vcc_lo, 0, v11
	s_and_b32 s21, s7, vcc_lo
	s_and_not1_b32 s7, s7, exec_lo
	s_and_b32 s21, s21, exec_lo
	s_or_b32 s7, s7, s21
.LBB6_562:                              ;   in Loop: Header=BB6_493 Depth=1
	s_or_b32 exec_lo, exec_lo, s20
	v_cmp_eq_u32_e32 vcc_lo, 0, v10
	s_xor_b32 s7, s7, -1
	s_mov_b32 s21, -1
	v_cndmask_b32_e64 v11, 0, 1, s7
	v_dual_mov_b32 v16, 0 :: v_dual_cndmask_b32 v36, 0, v67, vcc_lo
	s_delay_alu instid0(VALU_DEP_2) | instskip(NEXT) | instid1(VALU_DEP_2)
	v_cmp_ne_u32_e32 vcc_lo, 0, v11
	v_lshlrev_b32_e32 v97, 1, v36
	s_cbranch_vccz .LBB6_565
; %bb.563:                              ;   in Loop: Header=BB6_493 Depth=1
	v_mov_b32_e32 v17, v0
	s_and_saveexec_b32 s7, s21
	s_cbranch_execnz .LBB6_768
	s_branch .LBB6_848
.LBB6_564:                              ;   in Loop: Header=BB6_493 Depth=1
	s_mov_b32 s7, 0
	s_and_saveexec_b32 s20, s2
	s_cbranch_execnz .LBB6_849
	s_branch .LBB6_867
.LBB6_565:                              ;   in Loop: Header=BB6_493 Depth=1
	v_lshrrev_b32_e32 v100, 9, v36
	s_mov_b32 s7, exec_lo
	s_delay_alu instid0(VALU_DEP_1) | instskip(NEXT) | instid1(VALU_DEP_1)
	v_sub_nc_u32_e32 v99, v100, v86
	v_cmpx_lt_i32_e32 0, v99
	s_cbranch_execz .LBB6_697
; %bb.566:                              ;   in Loop: Header=BB6_493 Depth=1
	s_trap 2
	ds_load_b64 v[10:11], v0
	ds_load_b32 v12, v0
	v_add_nc_u64_e32 v[80:81], v[68:69], v[48:49]
	v_add_nc_u64_e32 v[84:85], v[70:71], v[48:49]
	s_mov_b32 s20, 0
	s_wait_dscnt 0x1
	v_add_nc_u64_e32 v[82:83], v[10:11], v[48:49]
	s_wait_dscnt 0x0
	v_lshlrev_b32_e32 v101, 16, v12
	s_branch .LBB6_568
.LBB6_567:                              ;   in Loop: Header=BB6_568 Depth=2
	s_or_b32 exec_lo, exec_lo, s21
	v_dual_lshrrev_b32 v102, 16, v44 :: v_dual_lshrrev_b32 v112, 16, v113
	v_lshrrev_b32_e32 v113, 16, v42
	v_dual_lshrrev_b32 v114, 16, v114 :: v_dual_lshrrev_b32 v103, 16, v103
	s_delay_alu instid0(VALU_DEP_3) | instskip(SKIP_4) | instid1(VALU_DEP_4)
	v_and_or_b32 v15, 0xffff0000, v15, v102
	v_lshrrev_b32_e32 v102, 16, v40
	v_and_or_b32 v14, 0xffff0000, v14, v112
	v_and_or_b32 v16, 0xffff0000, v16, v113
	v_dual_lshrrev_b32 v112, 16, v116 :: v_dual_lshrrev_b32 v113, 16, v118
	v_and_or_b32 v17, 0xffff0000, v17, v102
	v_sub_nc_u32_e32 v99, v99, v38
	v_and_or_b32 v12, 0xffff0000, v12, v114
	s_delay_alu instid0(VALU_DEP_4)
	v_and_or_b32 v11, 0xffff0000, v11, v112
	v_and_or_b32 v10, 0xffff0000, v10, v113
	;; [unrolled: 1-line block ×3, first 2 shown]
	s_clause 0x1
	global_store_b128 v[84:85], v[14:17], off th:TH_STORE_NT
	global_store_b128 v[84:85], v[10:13], off offset:512 th:TH_STORE_NT
	v_add_nc_u64_e32 v[80:81], v[80:81], v[50:51]
	v_add_nc_u64_e32 v[82:83], v[82:83], v[50:51]
	v_cmp_gt_i32_e32 vcc_lo, 1, v99
	s_wait_xcnt 0x0
	v_add_nc_u64_e32 v[84:85], v[84:85], v[50:51]
	s_or_b32 s20, vcc_lo, s20
	s_delay_alu instid0(SALU_CYCLE_1)
	s_and_not1_b32 exec_lo, exec_lo, s20
	s_cbranch_execz .LBB6_696
.LBB6_568:                              ;   Parent Loop BB6_493 Depth=1
                                        ; =>  This Inner Loop Header: Depth=2
	global_load_b128 v[10:13], v[80:81], off th:TH_LOAD_NT
	s_mov_b32 s21, exec_lo
                                        ; implicit-def: $vgpr113
	s_wait_loadcnt 0x0
	v_lshlrev_b32_e32 v14, 16, v10
	s_delay_alu instid0(VALU_DEP_1) | instskip(NEXT) | instid1(VALU_DEP_1)
	v_mul_f32_e32 v14, v101, v14
	v_and_b32_e32 v15, 0x7f800000, v14
	s_wait_xcnt 0x0
	s_delay_alu instid0(VALU_DEP_1)
	v_cmpx_ne_u32_e32 0x7f800000, v15
	s_xor_b32 s21, exec_lo, s21
; %bb.569:                              ;   in Loop: Header=BB6_568 Depth=2
	v_bfe_u32 v15, v14, 16, 1
	s_delay_alu instid0(VALU_DEP_1)
	v_add3_u32 v113, v14, v15, 0x7fff
                                        ; implicit-def: $vgpr14
; %bb.570:                              ;   in Loop: Header=BB6_568 Depth=2
	s_and_not1_saveexec_b32 s21, s21
; %bb.571:                              ;   in Loop: Header=BB6_568 Depth=2
	v_and_b32_e32 v15, 0xffff, v14
	v_or_b32_e32 v16, 0x10000, v14
	s_delay_alu instid0(VALU_DEP_2) | instskip(NEXT) | instid1(VALU_DEP_2)
	v_cmp_eq_u32_e32 vcc_lo, 0, v15
	v_cndmask_b32_e32 v113, v16, v14, vcc_lo
; %bb.572:                              ;   in Loop: Header=BB6_568 Depth=2
	s_or_b32 exec_lo, exec_lo, s21
	v_and_b32_e32 v10, 0xffff0000, v10
	s_mov_b32 s21, exec_lo
                                        ; implicit-def: $vgpr44
	s_delay_alu instid0(VALU_DEP_1) | instskip(NEXT) | instid1(VALU_DEP_1)
	v_mul_f32_e32 v10, v101, v10
	v_and_b32_e32 v14, 0x7f800000, v10
	s_delay_alu instid0(VALU_DEP_1)
	v_cmpx_ne_u32_e32 0x7f800000, v14
	s_xor_b32 s21, exec_lo, s21
; %bb.573:                              ;   in Loop: Header=BB6_568 Depth=2
	v_bfe_u32 v14, v10, 16, 1
	s_delay_alu instid0(VALU_DEP_1)
	v_add3_u32 v44, v10, v14, 0x7fff
                                        ; implicit-def: $vgpr10
; %bb.574:                              ;   in Loop: Header=BB6_568 Depth=2
	s_and_not1_saveexec_b32 s21, s21
; %bb.575:                              ;   in Loop: Header=BB6_568 Depth=2
	v_and_b32_e32 v14, 0xffff, v10
	v_or_b32_e32 v15, 0x10000, v10
	s_delay_alu instid0(VALU_DEP_2) | instskip(NEXT) | instid1(VALU_DEP_2)
	v_cmp_eq_u32_e32 vcc_lo, 0, v14
	v_cndmask_b32_e32 v44, v15, v10, vcc_lo
; %bb.576:                              ;   in Loop: Header=BB6_568 Depth=2
	s_or_b32 exec_lo, exec_lo, s21
	v_lshlrev_b32_e32 v10, 16, v11
	s_mov_b32 s21, exec_lo
                                        ; implicit-def: $vgpr45
	s_delay_alu instid0(VALU_DEP_1) | instskip(NEXT) | instid1(VALU_DEP_1)
	v_mul_f32_e32 v10, v101, v10
	v_and_b32_e32 v14, 0x7f800000, v10
	s_delay_alu instid0(VALU_DEP_1)
	v_cmpx_ne_u32_e32 0x7f800000, v14
	s_xor_b32 s21, exec_lo, s21
; %bb.577:                              ;   in Loop: Header=BB6_568 Depth=2
	v_bfe_u32 v14, v10, 16, 1
	s_delay_alu instid0(VALU_DEP_1)
	v_add3_u32 v45, v10, v14, 0x7fff
                                        ; implicit-def: $vgpr10
; %bb.578:                              ;   in Loop: Header=BB6_568 Depth=2
	s_and_not1_saveexec_b32 s21, s21
; %bb.579:                              ;   in Loop: Header=BB6_568 Depth=2
	v_and_b32_e32 v14, 0xffff, v10
	v_or_b32_e32 v15, 0x10000, v10
	s_delay_alu instid0(VALU_DEP_2) | instskip(NEXT) | instid1(VALU_DEP_2)
	v_cmp_eq_u32_e32 vcc_lo, 0, v14
	v_cndmask_b32_e32 v45, v15, v10, vcc_lo
; %bb.580:                              ;   in Loop: Header=BB6_568 Depth=2
	s_or_b32 exec_lo, exec_lo, s21
	v_and_b32_e32 v10, 0xffff0000, v11
	s_mov_b32 s21, exec_lo
                                        ; implicit-def: $vgpr42
	s_delay_alu instid0(VALU_DEP_1) | instskip(NEXT) | instid1(VALU_DEP_1)
	v_mul_f32_e32 v10, v101, v10
	v_and_b32_e32 v11, 0x7f800000, v10
	s_delay_alu instid0(VALU_DEP_1)
	v_cmpx_ne_u32_e32 0x7f800000, v11
	s_xor_b32 s21, exec_lo, s21
; %bb.581:                              ;   in Loop: Header=BB6_568 Depth=2
	v_bfe_u32 v11, v10, 16, 1
	s_delay_alu instid0(VALU_DEP_1)
	v_add3_u32 v42, v10, v11, 0x7fff
                                        ; implicit-def: $vgpr10
; %bb.582:                              ;   in Loop: Header=BB6_568 Depth=2
	s_and_not1_saveexec_b32 s21, s21
; %bb.583:                              ;   in Loop: Header=BB6_568 Depth=2
	v_and_b32_e32 v11, 0xffff, v10
	v_or_b32_e32 v14, 0x10000, v10
	s_delay_alu instid0(VALU_DEP_2) | instskip(NEXT) | instid1(VALU_DEP_2)
	v_cmp_eq_u32_e32 vcc_lo, 0, v11
	v_cndmask_b32_e32 v42, v14, v10, vcc_lo
; %bb.584:                              ;   in Loop: Header=BB6_568 Depth=2
	s_or_b32 exec_lo, exec_lo, s21
	v_lshlrev_b32_e32 v10, 16, v12
	s_mov_b32 s21, exec_lo
                                        ; implicit-def: $vgpr43
	s_delay_alu instid0(VALU_DEP_1) | instskip(NEXT) | instid1(VALU_DEP_1)
	v_mul_f32_e32 v10, v101, v10
	v_and_b32_e32 v11, 0x7f800000, v10
	s_delay_alu instid0(VALU_DEP_1)
	v_cmpx_ne_u32_e32 0x7f800000, v11
	s_xor_b32 s21, exec_lo, s21
; %bb.585:                              ;   in Loop: Header=BB6_568 Depth=2
	v_bfe_u32 v11, v10, 16, 1
	s_delay_alu instid0(VALU_DEP_1)
	v_add3_u32 v43, v10, v11, 0x7fff
                                        ; implicit-def: $vgpr10
; %bb.586:                              ;   in Loop: Header=BB6_568 Depth=2
	s_and_not1_saveexec_b32 s21, s21
; %bb.587:                              ;   in Loop: Header=BB6_568 Depth=2
	v_and_b32_e32 v11, 0xffff, v10
	v_or_b32_e32 v14, 0x10000, v10
	s_delay_alu instid0(VALU_DEP_2) | instskip(NEXT) | instid1(VALU_DEP_2)
	v_cmp_eq_u32_e32 vcc_lo, 0, v11
	v_cndmask_b32_e32 v43, v14, v10, vcc_lo
; %bb.588:                              ;   in Loop: Header=BB6_568 Depth=2
	s_or_b32 exec_lo, exec_lo, s21
	v_and_b32_e32 v10, 0xffff0000, v12
	s_mov_b32 s21, exec_lo
                                        ; implicit-def: $vgpr40
	s_delay_alu instid0(VALU_DEP_1) | instskip(NEXT) | instid1(VALU_DEP_1)
	v_mul_f32_e32 v10, v101, v10
	v_and_b32_e32 v11, 0x7f800000, v10
	s_delay_alu instid0(VALU_DEP_1)
	v_cmpx_ne_u32_e32 0x7f800000, v11
	s_xor_b32 s21, exec_lo, s21
; %bb.589:                              ;   in Loop: Header=BB6_568 Depth=2
	v_bfe_u32 v11, v10, 16, 1
	s_delay_alu instid0(VALU_DEP_1)
	v_add3_u32 v40, v10, v11, 0x7fff
                                        ; implicit-def: $vgpr10
; %bb.590:                              ;   in Loop: Header=BB6_568 Depth=2
	s_and_not1_saveexec_b32 s21, s21
; %bb.591:                              ;   in Loop: Header=BB6_568 Depth=2
	v_and_b32_e32 v11, 0xffff, v10
	v_or_b32_e32 v12, 0x10000, v10
	s_delay_alu instid0(VALU_DEP_2) | instskip(NEXT) | instid1(VALU_DEP_2)
	v_cmp_eq_u32_e32 vcc_lo, 0, v11
	v_cndmask_b32_e32 v40, v12, v10, vcc_lo
; %bb.592:                              ;   in Loop: Header=BB6_568 Depth=2
	s_or_b32 exec_lo, exec_lo, s21
	v_lshlrev_b32_e32 v10, 16, v13
	s_mov_b32 s21, exec_lo
                                        ; implicit-def: $vgpr41
	s_delay_alu instid0(VALU_DEP_1) | instskip(NEXT) | instid1(VALU_DEP_1)
	v_mul_f32_e32 v10, v101, v10
	v_and_b32_e32 v11, 0x7f800000, v10
	s_delay_alu instid0(VALU_DEP_1)
	v_cmpx_ne_u32_e32 0x7f800000, v11
	s_xor_b32 s21, exec_lo, s21
; %bb.593:                              ;   in Loop: Header=BB6_568 Depth=2
	v_bfe_u32 v11, v10, 16, 1
	s_delay_alu instid0(VALU_DEP_1)
	v_add3_u32 v41, v10, v11, 0x7fff
                                        ; implicit-def: $vgpr10
; %bb.594:                              ;   in Loop: Header=BB6_568 Depth=2
	s_and_not1_saveexec_b32 s21, s21
; %bb.595:                              ;   in Loop: Header=BB6_568 Depth=2
	v_and_b32_e32 v11, 0xffff, v10
	v_or_b32_e32 v12, 0x10000, v10
	s_delay_alu instid0(VALU_DEP_2) | instskip(NEXT) | instid1(VALU_DEP_2)
	v_cmp_eq_u32_e32 vcc_lo, 0, v11
	v_cndmask_b32_e32 v41, v12, v10, vcc_lo
; %bb.596:                              ;   in Loop: Header=BB6_568 Depth=2
	s_or_b32 exec_lo, exec_lo, s21
	v_and_b32_e32 v10, 0xffff0000, v13
	s_mov_b32 s21, exec_lo
                                        ; implicit-def: $vgpr118
	s_delay_alu instid0(VALU_DEP_1) | instskip(NEXT) | instid1(VALU_DEP_1)
	v_mul_f32_e32 v10, v101, v10
	v_and_b32_e32 v11, 0x7f800000, v10
	s_delay_alu instid0(VALU_DEP_1)
	v_cmpx_ne_u32_e32 0x7f800000, v11
	s_xor_b32 s21, exec_lo, s21
; %bb.597:                              ;   in Loop: Header=BB6_568 Depth=2
	v_bfe_u32 v11, v10, 16, 1
	s_delay_alu instid0(VALU_DEP_1)
	v_add3_u32 v118, v10, v11, 0x7fff
                                        ; implicit-def: $vgpr10
; %bb.598:                              ;   in Loop: Header=BB6_568 Depth=2
	s_and_not1_saveexec_b32 s21, s21
; %bb.599:                              ;   in Loop: Header=BB6_568 Depth=2
	v_and_b32_e32 v11, 0xffff, v10
	v_or_b32_e32 v12, 0x10000, v10
	s_delay_alu instid0(VALU_DEP_2) | instskip(NEXT) | instid1(VALU_DEP_2)
	v_cmp_eq_u32_e32 vcc_lo, 0, v11
	v_cndmask_b32_e32 v118, v12, v10, vcc_lo
; %bb.600:                              ;   in Loop: Header=BB6_568 Depth=2
	s_or_b32 exec_lo, exec_lo, s21
	global_load_b128 v[10:13], v[80:81], off offset:512 th:TH_LOAD_NT
	s_mov_b32 s21, exec_lo
                                        ; implicit-def: $vgpr119
	s_wait_loadcnt 0x0
	v_lshlrev_b32_e32 v14, 16, v10
	s_delay_alu instid0(VALU_DEP_1) | instskip(NEXT) | instid1(VALU_DEP_1)
	v_mul_f32_e32 v14, v101, v14
	v_and_b32_e32 v15, 0x7f800000, v14
	s_wait_xcnt 0x0
	s_delay_alu instid0(VALU_DEP_1)
	v_cmpx_ne_u32_e32 0x7f800000, v15
	s_xor_b32 s21, exec_lo, s21
; %bb.601:                              ;   in Loop: Header=BB6_568 Depth=2
	v_bfe_u32 v15, v14, 16, 1
	s_delay_alu instid0(VALU_DEP_1)
	v_add3_u32 v119, v14, v15, 0x7fff
                                        ; implicit-def: $vgpr14
; %bb.602:                              ;   in Loop: Header=BB6_568 Depth=2
	s_and_not1_saveexec_b32 s21, s21
; %bb.603:                              ;   in Loop: Header=BB6_568 Depth=2
	v_and_b32_e32 v15, 0xffff, v14
	v_or_b32_e32 v16, 0x10000, v14
	s_delay_alu instid0(VALU_DEP_2) | instskip(NEXT) | instid1(VALU_DEP_2)
	v_cmp_eq_u32_e32 vcc_lo, 0, v15
	v_cndmask_b32_e32 v119, v16, v14, vcc_lo
; %bb.604:                              ;   in Loop: Header=BB6_568 Depth=2
	s_or_b32 exec_lo, exec_lo, s21
	v_and_b32_e32 v10, 0xffff0000, v10
	s_mov_b32 s21, exec_lo
                                        ; implicit-def: $vgpr116
	s_delay_alu instid0(VALU_DEP_1) | instskip(NEXT) | instid1(VALU_DEP_1)
	v_mul_f32_e32 v10, v101, v10
	v_and_b32_e32 v14, 0x7f800000, v10
	s_delay_alu instid0(VALU_DEP_1)
	v_cmpx_ne_u32_e32 0x7f800000, v14
	s_xor_b32 s21, exec_lo, s21
; %bb.605:                              ;   in Loop: Header=BB6_568 Depth=2
	v_bfe_u32 v14, v10, 16, 1
	s_delay_alu instid0(VALU_DEP_1)
	v_add3_u32 v116, v10, v14, 0x7fff
                                        ; implicit-def: $vgpr10
; %bb.606:                              ;   in Loop: Header=BB6_568 Depth=2
	s_and_not1_saveexec_b32 s21, s21
; %bb.607:                              ;   in Loop: Header=BB6_568 Depth=2
	v_and_b32_e32 v14, 0xffff, v10
	v_or_b32_e32 v15, 0x10000, v10
	s_delay_alu instid0(VALU_DEP_2) | instskip(NEXT) | instid1(VALU_DEP_2)
	v_cmp_eq_u32_e32 vcc_lo, 0, v14
	v_cndmask_b32_e32 v116, v15, v10, vcc_lo
; %bb.608:                              ;   in Loop: Header=BB6_568 Depth=2
	s_or_b32 exec_lo, exec_lo, s21
	v_lshlrev_b32_e32 v10, 16, v11
	s_mov_b32 s21, exec_lo
                                        ; implicit-def: $vgpr117
	s_delay_alu instid0(VALU_DEP_1) | instskip(NEXT) | instid1(VALU_DEP_1)
	v_mul_f32_e32 v10, v101, v10
	v_and_b32_e32 v14, 0x7f800000, v10
	s_delay_alu instid0(VALU_DEP_1)
	v_cmpx_ne_u32_e32 0x7f800000, v14
	s_xor_b32 s21, exec_lo, s21
; %bb.609:                              ;   in Loop: Header=BB6_568 Depth=2
	v_bfe_u32 v14, v10, 16, 1
	s_delay_alu instid0(VALU_DEP_1)
	v_add3_u32 v117, v10, v14, 0x7fff
                                        ; implicit-def: $vgpr10
; %bb.610:                              ;   in Loop: Header=BB6_568 Depth=2
	s_and_not1_saveexec_b32 s21, s21
; %bb.611:                              ;   in Loop: Header=BB6_568 Depth=2
	v_and_b32_e32 v14, 0xffff, v10
	v_or_b32_e32 v15, 0x10000, v10
	s_delay_alu instid0(VALU_DEP_2) | instskip(NEXT) | instid1(VALU_DEP_2)
	v_cmp_eq_u32_e32 vcc_lo, 0, v14
	v_cndmask_b32_e32 v117, v15, v10, vcc_lo
; %bb.612:                              ;   in Loop: Header=BB6_568 Depth=2
	s_or_b32 exec_lo, exec_lo, s21
	v_and_b32_e32 v10, 0xffff0000, v11
	s_mov_b32 s21, exec_lo
                                        ; implicit-def: $vgpr114
	s_delay_alu instid0(VALU_DEP_1) | instskip(NEXT) | instid1(VALU_DEP_1)
	v_mul_f32_e32 v10, v101, v10
	v_and_b32_e32 v11, 0x7f800000, v10
	s_delay_alu instid0(VALU_DEP_1)
	v_cmpx_ne_u32_e32 0x7f800000, v11
	s_xor_b32 s21, exec_lo, s21
; %bb.613:                              ;   in Loop: Header=BB6_568 Depth=2
	v_bfe_u32 v11, v10, 16, 1
	s_delay_alu instid0(VALU_DEP_1)
	v_add3_u32 v114, v10, v11, 0x7fff
                                        ; implicit-def: $vgpr10
; %bb.614:                              ;   in Loop: Header=BB6_568 Depth=2
	s_and_not1_saveexec_b32 s21, s21
; %bb.615:                              ;   in Loop: Header=BB6_568 Depth=2
	v_and_b32_e32 v11, 0xffff, v10
	v_or_b32_e32 v14, 0x10000, v10
	s_delay_alu instid0(VALU_DEP_2) | instskip(NEXT) | instid1(VALU_DEP_2)
	v_cmp_eq_u32_e32 vcc_lo, 0, v11
	v_cndmask_b32_e32 v114, v14, v10, vcc_lo
; %bb.616:                              ;   in Loop: Header=BB6_568 Depth=2
	s_or_b32 exec_lo, exec_lo, s21
	v_lshlrev_b32_e32 v10, 16, v12
	s_mov_b32 s21, exec_lo
                                        ; implicit-def: $vgpr115
	s_delay_alu instid0(VALU_DEP_1) | instskip(NEXT) | instid1(VALU_DEP_1)
	v_mul_f32_e32 v10, v101, v10
	v_and_b32_e32 v11, 0x7f800000, v10
	s_delay_alu instid0(VALU_DEP_1)
	v_cmpx_ne_u32_e32 0x7f800000, v11
	s_xor_b32 s21, exec_lo, s21
; %bb.617:                              ;   in Loop: Header=BB6_568 Depth=2
	v_bfe_u32 v11, v10, 16, 1
	s_delay_alu instid0(VALU_DEP_1)
	v_add3_u32 v115, v10, v11, 0x7fff
                                        ; implicit-def: $vgpr10
; %bb.618:                              ;   in Loop: Header=BB6_568 Depth=2
	s_and_not1_saveexec_b32 s21, s21
; %bb.619:                              ;   in Loop: Header=BB6_568 Depth=2
	v_and_b32_e32 v11, 0xffff, v10
	v_or_b32_e32 v14, 0x10000, v10
	s_delay_alu instid0(VALU_DEP_2) | instskip(NEXT) | instid1(VALU_DEP_2)
	v_cmp_eq_u32_e32 vcc_lo, 0, v11
	v_cndmask_b32_e32 v115, v14, v10, vcc_lo
; %bb.620:                              ;   in Loop: Header=BB6_568 Depth=2
	s_or_b32 exec_lo, exec_lo, s21
	v_and_b32_e32 v10, 0xffff0000, v12
	s_mov_b32 s21, exec_lo
                                        ; implicit-def: $vgpr103
	s_delay_alu instid0(VALU_DEP_1) | instskip(NEXT) | instid1(VALU_DEP_1)
	v_mul_f32_e32 v10, v101, v10
	v_and_b32_e32 v11, 0x7f800000, v10
	s_delay_alu instid0(VALU_DEP_1)
	v_cmpx_ne_u32_e32 0x7f800000, v11
	s_xor_b32 s21, exec_lo, s21
; %bb.621:                              ;   in Loop: Header=BB6_568 Depth=2
	v_bfe_u32 v11, v10, 16, 1
	s_delay_alu instid0(VALU_DEP_1)
	v_add3_u32 v103, v10, v11, 0x7fff
                                        ; implicit-def: $vgpr10
; %bb.622:                              ;   in Loop: Header=BB6_568 Depth=2
	s_and_not1_saveexec_b32 s21, s21
; %bb.623:                              ;   in Loop: Header=BB6_568 Depth=2
	v_and_b32_e32 v11, 0xffff, v10
	v_or_b32_e32 v12, 0x10000, v10
	s_delay_alu instid0(VALU_DEP_2) | instskip(NEXT) | instid1(VALU_DEP_2)
	v_cmp_eq_u32_e32 vcc_lo, 0, v11
	v_cndmask_b32_e32 v103, v12, v10, vcc_lo
; %bb.624:                              ;   in Loop: Header=BB6_568 Depth=2
	s_or_b32 exec_lo, exec_lo, s21
	v_lshlrev_b32_e32 v10, 16, v13
	s_mov_b32 s21, exec_lo
                                        ; implicit-def: $vgpr112
	s_delay_alu instid0(VALU_DEP_1) | instskip(NEXT) | instid1(VALU_DEP_1)
	v_mul_f32_e32 v10, v101, v10
	v_and_b32_e32 v11, 0x7f800000, v10
	s_delay_alu instid0(VALU_DEP_1)
	v_cmpx_ne_u32_e32 0x7f800000, v11
	s_xor_b32 s21, exec_lo, s21
; %bb.625:                              ;   in Loop: Header=BB6_568 Depth=2
	v_bfe_u32 v11, v10, 16, 1
	s_delay_alu instid0(VALU_DEP_1)
	v_add3_u32 v112, v10, v11, 0x7fff
                                        ; implicit-def: $vgpr10
; %bb.626:                              ;   in Loop: Header=BB6_568 Depth=2
	s_and_not1_saveexec_b32 s21, s21
; %bb.627:                              ;   in Loop: Header=BB6_568 Depth=2
	v_and_b32_e32 v11, 0xffff, v10
	v_or_b32_e32 v12, 0x10000, v10
	s_delay_alu instid0(VALU_DEP_2) | instskip(NEXT) | instid1(VALU_DEP_2)
	v_cmp_eq_u32_e32 vcc_lo, 0, v11
	v_cndmask_b32_e32 v112, v12, v10, vcc_lo
; %bb.628:                              ;   in Loop: Header=BB6_568 Depth=2
	s_or_b32 exec_lo, exec_lo, s21
	v_and_b32_e32 v10, 0xffff0000, v13
	s_mov_b32 s21, exec_lo
                                        ; implicit-def: $vgpr102
	s_delay_alu instid0(VALU_DEP_1) | instskip(NEXT) | instid1(VALU_DEP_1)
	v_mul_f32_e32 v10, v101, v10
	v_and_b32_e32 v11, 0x7f800000, v10
	s_delay_alu instid0(VALU_DEP_1)
	v_cmpx_ne_u32_e32 0x7f800000, v11
	s_xor_b32 s21, exec_lo, s21
; %bb.629:                              ;   in Loop: Header=BB6_568 Depth=2
	v_bfe_u32 v11, v10, 16, 1
	s_delay_alu instid0(VALU_DEP_1)
	v_add3_u32 v102, v10, v11, 0x7fff
                                        ; implicit-def: $vgpr10
; %bb.630:                              ;   in Loop: Header=BB6_568 Depth=2
	s_and_not1_saveexec_b32 s21, s21
; %bb.631:                              ;   in Loop: Header=BB6_568 Depth=2
	v_and_b32_e32 v11, 0xffff, v10
	v_or_b32_e32 v12, 0x10000, v10
	s_delay_alu instid0(VALU_DEP_2) | instskip(NEXT) | instid1(VALU_DEP_2)
	v_cmp_eq_u32_e32 vcc_lo, 0, v11
	v_cndmask_b32_e32 v102, v12, v10, vcc_lo
; %bb.632:                              ;   in Loop: Header=BB6_568 Depth=2
	s_or_b32 exec_lo, exec_lo, s21
	s_clause 0x1
	global_load_b128 v[14:17], v[82:83], off th:TH_LOAD_NT
	global_load_b128 v[10:13], v[82:83], off offset:512 th:TH_LOAD_NT
	v_and_b32_e32 v113, 0xffff0000, v113
	s_wait_loadcnt 0x1
	v_lshlrev_b32_e32 v46, 16, v14
	s_delay_alu instid0(VALU_DEP_1) | instskip(NEXT) | instid1(VALU_DEP_1)
	v_add_f32_e32 v46, v113, v46
	v_and_b32_e32 v113, 0x7f800000, v46
	s_delay_alu instid0(VALU_DEP_1) | instskip(SKIP_2) | instid1(SALU_CYCLE_1)
	v_cmp_ne_u32_e32 vcc_lo, 0x7f800000, v113
                                        ; implicit-def: $vgpr113
	s_wait_xcnt 0x0
	s_and_saveexec_b32 s21, vcc_lo
	s_xor_b32 s21, exec_lo, s21
; %bb.633:                              ;   in Loop: Header=BB6_568 Depth=2
	v_bfe_u32 v113, v46, 16, 1
	s_delay_alu instid0(VALU_DEP_1)
	v_add3_u32 v113, v46, v113, 0x7fff
                                        ; implicit-def: $vgpr46
; %bb.634:                              ;   in Loop: Header=BB6_568 Depth=2
	s_and_not1_saveexec_b32 s21, s21
; %bb.635:                              ;   in Loop: Header=BB6_568 Depth=2
	v_and_b32_e32 v113, 0xffff, v46
	v_or_b32_e32 v47, 0x10000, v46
	s_delay_alu instid0(VALU_DEP_2) | instskip(NEXT) | instid1(VALU_DEP_2)
	v_cmp_eq_u32_e32 vcc_lo, 0, v113
	v_cndmask_b32_e32 v113, v47, v46, vcc_lo
; %bb.636:                              ;   in Loop: Header=BB6_568 Depth=2
	s_or_b32 exec_lo, exec_lo, s21
	v_and_b32_e32 v14, 0xffff0000, v14
	v_and_b32_e32 v44, 0xffff0000, v44
	s_delay_alu instid0(VALU_DEP_1) | instskip(NEXT) | instid1(VALU_DEP_1)
	v_add_f32_e32 v44, v44, v14
	v_and_b32_e32 v14, 0x7f800000, v44
	s_delay_alu instid0(VALU_DEP_1) | instskip(SKIP_1) | instid1(SALU_CYCLE_1)
	v_cmp_ne_u32_e32 vcc_lo, 0x7f800000, v14
                                        ; implicit-def: $vgpr14
	s_and_saveexec_b32 s21, vcc_lo
	s_xor_b32 s21, exec_lo, s21
; %bb.637:                              ;   in Loop: Header=BB6_568 Depth=2
	v_bfe_u32 v14, v44, 16, 1
	s_delay_alu instid0(VALU_DEP_1)
	v_add3_u32 v14, v44, v14, 0x7fff
                                        ; implicit-def: $vgpr44
; %bb.638:                              ;   in Loop: Header=BB6_568 Depth=2
	s_and_not1_saveexec_b32 s21, s21
; %bb.639:                              ;   in Loop: Header=BB6_568 Depth=2
	v_and_b32_e32 v14, 0xffff, v44
	v_or_b32_e32 v46, 0x10000, v44
	s_delay_alu instid0(VALU_DEP_2) | instskip(NEXT) | instid1(VALU_DEP_2)
	v_cmp_eq_u32_e32 vcc_lo, 0, v14
	v_cndmask_b32_e32 v14, v46, v44, vcc_lo
; %bb.640:                              ;   in Loop: Header=BB6_568 Depth=2
	s_or_b32 exec_lo, exec_lo, s21
	v_and_b32_e32 v44, 0xffff0000, v45
	v_lshlrev_b32_e32 v45, 16, v15
	s_delay_alu instid0(VALU_DEP_1) | instskip(NEXT) | instid1(VALU_DEP_1)
	v_add_f32_e32 v45, v44, v45
	v_and_b32_e32 v44, 0x7f800000, v45
	s_delay_alu instid0(VALU_DEP_1) | instskip(SKIP_1) | instid1(SALU_CYCLE_1)
	v_cmp_ne_u32_e32 vcc_lo, 0x7f800000, v44
                                        ; implicit-def: $vgpr44
	s_and_saveexec_b32 s21, vcc_lo
	s_xor_b32 s21, exec_lo, s21
; %bb.641:                              ;   in Loop: Header=BB6_568 Depth=2
	v_bfe_u32 v44, v45, 16, 1
	s_delay_alu instid0(VALU_DEP_1)
	v_add3_u32 v44, v45, v44, 0x7fff
                                        ; implicit-def: $vgpr45
; %bb.642:                              ;   in Loop: Header=BB6_568 Depth=2
	s_and_not1_saveexec_b32 s21, s21
; %bb.643:                              ;   in Loop: Header=BB6_568 Depth=2
	v_and_b32_e32 v44, 0xffff, v45
	v_or_b32_e32 v46, 0x10000, v45
	s_delay_alu instid0(VALU_DEP_2) | instskip(NEXT) | instid1(VALU_DEP_2)
	v_cmp_eq_u32_e32 vcc_lo, 0, v44
	v_cndmask_b32_e32 v44, v46, v45, vcc_lo
; %bb.644:                              ;   in Loop: Header=BB6_568 Depth=2
	s_or_b32 exec_lo, exec_lo, s21
	v_and_b32_e32 v15, 0xffff0000, v15
	v_and_b32_e32 v42, 0xffff0000, v42
	s_delay_alu instid0(VALU_DEP_1) | instskip(NEXT) | instid1(VALU_DEP_1)
	v_add_f32_e32 v42, v42, v15
	v_and_b32_e32 v15, 0x7f800000, v42
	s_delay_alu instid0(VALU_DEP_1) | instskip(SKIP_1) | instid1(SALU_CYCLE_1)
	v_cmp_ne_u32_e32 vcc_lo, 0x7f800000, v15
                                        ; implicit-def: $vgpr15
	s_and_saveexec_b32 s21, vcc_lo
	s_xor_b32 s21, exec_lo, s21
; %bb.645:                              ;   in Loop: Header=BB6_568 Depth=2
	v_bfe_u32 v15, v42, 16, 1
	s_delay_alu instid0(VALU_DEP_1)
	v_add3_u32 v15, v42, v15, 0x7fff
                                        ; implicit-def: $vgpr42
; %bb.646:                              ;   in Loop: Header=BB6_568 Depth=2
	s_and_not1_saveexec_b32 s21, s21
; %bb.647:                              ;   in Loop: Header=BB6_568 Depth=2
	v_and_b32_e32 v15, 0xffff, v42
	v_or_b32_e32 v45, 0x10000, v42
	s_delay_alu instid0(VALU_DEP_2) | instskip(NEXT) | instid1(VALU_DEP_2)
	v_cmp_eq_u32_e32 vcc_lo, 0, v15
	v_cndmask_b32_e32 v15, v45, v42, vcc_lo
; %bb.648:                              ;   in Loop: Header=BB6_568 Depth=2
	s_or_b32 exec_lo, exec_lo, s21
	v_and_b32_e32 v42, 0xffff0000, v43
	v_lshlrev_b32_e32 v43, 16, v16
	s_delay_alu instid0(VALU_DEP_1) | instskip(NEXT) | instid1(VALU_DEP_1)
	v_add_f32_e32 v43, v42, v43
	v_and_b32_e32 v42, 0x7f800000, v43
	s_delay_alu instid0(VALU_DEP_1) | instskip(SKIP_1) | instid1(SALU_CYCLE_1)
	v_cmp_ne_u32_e32 vcc_lo, 0x7f800000, v42
                                        ; implicit-def: $vgpr42
	s_and_saveexec_b32 s21, vcc_lo
	s_xor_b32 s21, exec_lo, s21
; %bb.649:                              ;   in Loop: Header=BB6_568 Depth=2
	v_bfe_u32 v42, v43, 16, 1
	s_delay_alu instid0(VALU_DEP_1)
	v_add3_u32 v42, v43, v42, 0x7fff
                                        ; implicit-def: $vgpr43
; %bb.650:                              ;   in Loop: Header=BB6_568 Depth=2
	s_and_not1_saveexec_b32 s21, s21
; %bb.651:                              ;   in Loop: Header=BB6_568 Depth=2
	v_and_b32_e32 v42, 0xffff, v43
	v_or_b32_e32 v45, 0x10000, v43
	s_delay_alu instid0(VALU_DEP_2) | instskip(NEXT) | instid1(VALU_DEP_2)
	v_cmp_eq_u32_e32 vcc_lo, 0, v42
	v_cndmask_b32_e32 v42, v45, v43, vcc_lo
; %bb.652:                              ;   in Loop: Header=BB6_568 Depth=2
	s_or_b32 exec_lo, exec_lo, s21
	v_and_b32_e32 v16, 0xffff0000, v16
	v_and_b32_e32 v40, 0xffff0000, v40
	s_delay_alu instid0(VALU_DEP_1) | instskip(NEXT) | instid1(VALU_DEP_1)
	v_add_f32_e32 v40, v40, v16
	v_and_b32_e32 v16, 0x7f800000, v40
	s_delay_alu instid0(VALU_DEP_1) | instskip(SKIP_1) | instid1(SALU_CYCLE_1)
	v_cmp_ne_u32_e32 vcc_lo, 0x7f800000, v16
                                        ; implicit-def: $vgpr16
	s_and_saveexec_b32 s21, vcc_lo
	s_xor_b32 s21, exec_lo, s21
; %bb.653:                              ;   in Loop: Header=BB6_568 Depth=2
	v_bfe_u32 v16, v40, 16, 1
	s_delay_alu instid0(VALU_DEP_1)
	v_add3_u32 v16, v40, v16, 0x7fff
                                        ; implicit-def: $vgpr40
; %bb.654:                              ;   in Loop: Header=BB6_568 Depth=2
	s_and_not1_saveexec_b32 s21, s21
; %bb.655:                              ;   in Loop: Header=BB6_568 Depth=2
	v_and_b32_e32 v16, 0xffff, v40
	v_or_b32_e32 v43, 0x10000, v40
	s_delay_alu instid0(VALU_DEP_2) | instskip(NEXT) | instid1(VALU_DEP_2)
	v_cmp_eq_u32_e32 vcc_lo, 0, v16
	v_cndmask_b32_e32 v16, v43, v40, vcc_lo
; %bb.656:                              ;   in Loop: Header=BB6_568 Depth=2
	s_or_b32 exec_lo, exec_lo, s21
	v_and_b32_e32 v40, 0xffff0000, v41
	v_lshlrev_b32_e32 v41, 16, v17
	s_delay_alu instid0(VALU_DEP_1) | instskip(NEXT) | instid1(VALU_DEP_1)
	v_add_f32_e32 v41, v40, v41
	v_and_b32_e32 v40, 0x7f800000, v41
	s_delay_alu instid0(VALU_DEP_1) | instskip(SKIP_1) | instid1(SALU_CYCLE_1)
	v_cmp_ne_u32_e32 vcc_lo, 0x7f800000, v40
                                        ; implicit-def: $vgpr40
	s_and_saveexec_b32 s21, vcc_lo
	s_xor_b32 s21, exec_lo, s21
; %bb.657:                              ;   in Loop: Header=BB6_568 Depth=2
	v_bfe_u32 v40, v41, 16, 1
	s_delay_alu instid0(VALU_DEP_1)
	v_add3_u32 v40, v41, v40, 0x7fff
                                        ; implicit-def: $vgpr41
; %bb.658:                              ;   in Loop: Header=BB6_568 Depth=2
	s_and_not1_saveexec_b32 s21, s21
; %bb.659:                              ;   in Loop: Header=BB6_568 Depth=2
	v_and_b32_e32 v40, 0xffff, v41
	v_or_b32_e32 v43, 0x10000, v41
	s_delay_alu instid0(VALU_DEP_2) | instskip(NEXT) | instid1(VALU_DEP_2)
	v_cmp_eq_u32_e32 vcc_lo, 0, v40
	v_cndmask_b32_e32 v40, v43, v41, vcc_lo
; %bb.660:                              ;   in Loop: Header=BB6_568 Depth=2
	s_or_b32 exec_lo, exec_lo, s21
	v_and_b32_e32 v17, 0xffff0000, v17
	v_and_b32_e32 v118, 0xffff0000, v118
	s_delay_alu instid0(VALU_DEP_1) | instskip(NEXT) | instid1(VALU_DEP_1)
	v_add_f32_e32 v118, v118, v17
	v_and_b32_e32 v17, 0x7f800000, v118
	s_delay_alu instid0(VALU_DEP_1) | instskip(SKIP_1) | instid1(SALU_CYCLE_1)
	v_cmp_ne_u32_e32 vcc_lo, 0x7f800000, v17
                                        ; implicit-def: $vgpr17
	s_and_saveexec_b32 s21, vcc_lo
	s_xor_b32 s21, exec_lo, s21
; %bb.661:                              ;   in Loop: Header=BB6_568 Depth=2
	v_bfe_u32 v17, v118, 16, 1
	s_delay_alu instid0(VALU_DEP_1)
	v_add3_u32 v17, v118, v17, 0x7fff
                                        ; implicit-def: $vgpr118
; %bb.662:                              ;   in Loop: Header=BB6_568 Depth=2
	s_and_not1_saveexec_b32 s21, s21
; %bb.663:                              ;   in Loop: Header=BB6_568 Depth=2
	v_and_b32_e32 v17, 0xffff, v118
	v_or_b32_e32 v41, 0x10000, v118
	s_delay_alu instid0(VALU_DEP_2) | instskip(NEXT) | instid1(VALU_DEP_2)
	v_cmp_eq_u32_e32 vcc_lo, 0, v17
	v_cndmask_b32_e32 v17, v41, v118, vcc_lo
; %bb.664:                              ;   in Loop: Header=BB6_568 Depth=2
	s_or_b32 exec_lo, exec_lo, s21
	v_and_b32_e32 v118, 0xffff0000, v119
	s_wait_loadcnt 0x0
	v_lshlrev_b32_e32 v119, 16, v10
	s_delay_alu instid0(VALU_DEP_1) | instskip(NEXT) | instid1(VALU_DEP_1)
	v_add_f32_e32 v119, v118, v119
	v_and_b32_e32 v118, 0x7f800000, v119
	s_delay_alu instid0(VALU_DEP_1) | instskip(SKIP_1) | instid1(SALU_CYCLE_1)
	v_cmp_ne_u32_e32 vcc_lo, 0x7f800000, v118
                                        ; implicit-def: $vgpr118
	s_and_saveexec_b32 s21, vcc_lo
	s_xor_b32 s21, exec_lo, s21
; %bb.665:                              ;   in Loop: Header=BB6_568 Depth=2
	v_bfe_u32 v118, v119, 16, 1
	s_delay_alu instid0(VALU_DEP_1)
	v_add3_u32 v118, v119, v118, 0x7fff
                                        ; implicit-def: $vgpr119
; %bb.666:                              ;   in Loop: Header=BB6_568 Depth=2
	s_and_not1_saveexec_b32 s21, s21
; %bb.667:                              ;   in Loop: Header=BB6_568 Depth=2
	v_and_b32_e32 v118, 0xffff, v119
	v_or_b32_e32 v41, 0x10000, v119
	s_delay_alu instid0(VALU_DEP_2) | instskip(NEXT) | instid1(VALU_DEP_2)
	v_cmp_eq_u32_e32 vcc_lo, 0, v118
	v_cndmask_b32_e32 v118, v41, v119, vcc_lo
; %bb.668:                              ;   in Loop: Header=BB6_568 Depth=2
	s_or_b32 exec_lo, exec_lo, s21
	v_and_b32_e32 v10, 0xffff0000, v10
	v_and_b32_e32 v116, 0xffff0000, v116
	s_delay_alu instid0(VALU_DEP_1) | instskip(NEXT) | instid1(VALU_DEP_1)
	v_add_f32_e32 v116, v116, v10
	v_and_b32_e32 v10, 0x7f800000, v116
	s_delay_alu instid0(VALU_DEP_1) | instskip(SKIP_1) | instid1(SALU_CYCLE_1)
	v_cmp_ne_u32_e32 vcc_lo, 0x7f800000, v10
                                        ; implicit-def: $vgpr10
	s_and_saveexec_b32 s21, vcc_lo
	s_xor_b32 s21, exec_lo, s21
; %bb.669:                              ;   in Loop: Header=BB6_568 Depth=2
	v_bfe_u32 v10, v116, 16, 1
	s_delay_alu instid0(VALU_DEP_1)
	v_add3_u32 v10, v116, v10, 0x7fff
                                        ; implicit-def: $vgpr116
; %bb.670:                              ;   in Loop: Header=BB6_568 Depth=2
	s_and_not1_saveexec_b32 s21, s21
; %bb.671:                              ;   in Loop: Header=BB6_568 Depth=2
	v_and_b32_e32 v10, 0xffff, v116
	v_or_b32_e32 v119, 0x10000, v116
	s_delay_alu instid0(VALU_DEP_2) | instskip(NEXT) | instid1(VALU_DEP_2)
	v_cmp_eq_u32_e32 vcc_lo, 0, v10
	v_cndmask_b32_e32 v10, v119, v116, vcc_lo
; %bb.672:                              ;   in Loop: Header=BB6_568 Depth=2
	s_or_b32 exec_lo, exec_lo, s21
	v_and_b32_e32 v116, 0xffff0000, v117
	v_lshlrev_b32_e32 v117, 16, v11
	s_delay_alu instid0(VALU_DEP_1) | instskip(NEXT) | instid1(VALU_DEP_1)
	v_add_f32_e32 v117, v116, v117
	v_and_b32_e32 v116, 0x7f800000, v117
	s_delay_alu instid0(VALU_DEP_1) | instskip(SKIP_1) | instid1(SALU_CYCLE_1)
	v_cmp_ne_u32_e32 vcc_lo, 0x7f800000, v116
                                        ; implicit-def: $vgpr116
	s_and_saveexec_b32 s21, vcc_lo
	s_xor_b32 s21, exec_lo, s21
; %bb.673:                              ;   in Loop: Header=BB6_568 Depth=2
	v_bfe_u32 v116, v117, 16, 1
	s_delay_alu instid0(VALU_DEP_1)
	v_add3_u32 v116, v117, v116, 0x7fff
                                        ; implicit-def: $vgpr117
; %bb.674:                              ;   in Loop: Header=BB6_568 Depth=2
	s_and_not1_saveexec_b32 s21, s21
; %bb.675:                              ;   in Loop: Header=BB6_568 Depth=2
	v_and_b32_e32 v116, 0xffff, v117
	v_or_b32_e32 v119, 0x10000, v117
	s_delay_alu instid0(VALU_DEP_2) | instskip(NEXT) | instid1(VALU_DEP_2)
	v_cmp_eq_u32_e32 vcc_lo, 0, v116
	v_cndmask_b32_e32 v116, v119, v117, vcc_lo
; %bb.676:                              ;   in Loop: Header=BB6_568 Depth=2
	s_or_b32 exec_lo, exec_lo, s21
	v_and_b32_e32 v11, 0xffff0000, v11
	v_and_b32_e32 v114, 0xffff0000, v114
	s_delay_alu instid0(VALU_DEP_1) | instskip(NEXT) | instid1(VALU_DEP_1)
	v_add_f32_e32 v114, v114, v11
	v_and_b32_e32 v11, 0x7f800000, v114
	s_delay_alu instid0(VALU_DEP_1) | instskip(SKIP_1) | instid1(SALU_CYCLE_1)
	v_cmp_ne_u32_e32 vcc_lo, 0x7f800000, v11
                                        ; implicit-def: $vgpr11
	s_and_saveexec_b32 s21, vcc_lo
	s_xor_b32 s21, exec_lo, s21
; %bb.677:                              ;   in Loop: Header=BB6_568 Depth=2
	v_bfe_u32 v11, v114, 16, 1
	s_delay_alu instid0(VALU_DEP_1)
	v_add3_u32 v11, v114, v11, 0x7fff
                                        ; implicit-def: $vgpr114
; %bb.678:                              ;   in Loop: Header=BB6_568 Depth=2
	s_and_not1_saveexec_b32 s21, s21
; %bb.679:                              ;   in Loop: Header=BB6_568 Depth=2
	v_and_b32_e32 v11, 0xffff, v114
	v_or_b32_e32 v117, 0x10000, v114
	s_delay_alu instid0(VALU_DEP_2) | instskip(NEXT) | instid1(VALU_DEP_2)
	v_cmp_eq_u32_e32 vcc_lo, 0, v11
	v_cndmask_b32_e32 v11, v117, v114, vcc_lo
; %bb.680:                              ;   in Loop: Header=BB6_568 Depth=2
	s_or_b32 exec_lo, exec_lo, s21
	v_and_b32_e32 v114, 0xffff0000, v115
	v_lshlrev_b32_e32 v115, 16, v12
	s_delay_alu instid0(VALU_DEP_1) | instskip(NEXT) | instid1(VALU_DEP_1)
	v_add_f32_e32 v115, v114, v115
	v_and_b32_e32 v114, 0x7f800000, v115
	s_delay_alu instid0(VALU_DEP_1) | instskip(SKIP_1) | instid1(SALU_CYCLE_1)
	v_cmp_ne_u32_e32 vcc_lo, 0x7f800000, v114
                                        ; implicit-def: $vgpr114
	s_and_saveexec_b32 s21, vcc_lo
	s_xor_b32 s21, exec_lo, s21
; %bb.681:                              ;   in Loop: Header=BB6_568 Depth=2
	v_bfe_u32 v114, v115, 16, 1
	s_delay_alu instid0(VALU_DEP_1)
	v_add3_u32 v114, v115, v114, 0x7fff
                                        ; implicit-def: $vgpr115
; %bb.682:                              ;   in Loop: Header=BB6_568 Depth=2
	s_and_not1_saveexec_b32 s21, s21
; %bb.683:                              ;   in Loop: Header=BB6_568 Depth=2
	v_and_b32_e32 v114, 0xffff, v115
	v_or_b32_e32 v117, 0x10000, v115
	s_delay_alu instid0(VALU_DEP_2) | instskip(NEXT) | instid1(VALU_DEP_2)
	v_cmp_eq_u32_e32 vcc_lo, 0, v114
	v_cndmask_b32_e32 v114, v117, v115, vcc_lo
; %bb.684:                              ;   in Loop: Header=BB6_568 Depth=2
	s_or_b32 exec_lo, exec_lo, s21
	v_and_b32_e32 v12, 0xffff0000, v12
	v_and_b32_e32 v103, 0xffff0000, v103
	s_delay_alu instid0(VALU_DEP_1) | instskip(NEXT) | instid1(VALU_DEP_1)
	v_add_f32_e32 v103, v103, v12
	v_and_b32_e32 v12, 0x7f800000, v103
	s_delay_alu instid0(VALU_DEP_1) | instskip(SKIP_1) | instid1(SALU_CYCLE_1)
	v_cmp_ne_u32_e32 vcc_lo, 0x7f800000, v12
                                        ; implicit-def: $vgpr12
	s_and_saveexec_b32 s21, vcc_lo
	s_xor_b32 s21, exec_lo, s21
; %bb.685:                              ;   in Loop: Header=BB6_568 Depth=2
	v_bfe_u32 v12, v103, 16, 1
	s_delay_alu instid0(VALU_DEP_1)
	v_add3_u32 v12, v103, v12, 0x7fff
                                        ; implicit-def: $vgpr103
; %bb.686:                              ;   in Loop: Header=BB6_568 Depth=2
	s_and_not1_saveexec_b32 s21, s21
; %bb.687:                              ;   in Loop: Header=BB6_568 Depth=2
	v_and_b32_e32 v12, 0xffff, v103
	v_or_b32_e32 v115, 0x10000, v103
	s_delay_alu instid0(VALU_DEP_2) | instskip(NEXT) | instid1(VALU_DEP_2)
	v_cmp_eq_u32_e32 vcc_lo, 0, v12
	v_cndmask_b32_e32 v12, v115, v103, vcc_lo
; %bb.688:                              ;   in Loop: Header=BB6_568 Depth=2
	s_or_b32 exec_lo, exec_lo, s21
	v_and_b32_e32 v103, 0xffff0000, v112
	v_lshlrev_b32_e32 v112, 16, v13
	s_delay_alu instid0(VALU_DEP_1) | instskip(NEXT) | instid1(VALU_DEP_1)
	v_add_f32_e32 v112, v103, v112
	v_and_b32_e32 v103, 0x7f800000, v112
	s_delay_alu instid0(VALU_DEP_1) | instskip(SKIP_1) | instid1(SALU_CYCLE_1)
	v_cmp_ne_u32_e32 vcc_lo, 0x7f800000, v103
                                        ; implicit-def: $vgpr103
	s_and_saveexec_b32 s21, vcc_lo
	s_xor_b32 s21, exec_lo, s21
; %bb.689:                              ;   in Loop: Header=BB6_568 Depth=2
	v_bfe_u32 v103, v112, 16, 1
	s_delay_alu instid0(VALU_DEP_1)
	v_add3_u32 v103, v112, v103, 0x7fff
                                        ; implicit-def: $vgpr112
; %bb.690:                              ;   in Loop: Header=BB6_568 Depth=2
	s_and_not1_saveexec_b32 s21, s21
; %bb.691:                              ;   in Loop: Header=BB6_568 Depth=2
	v_and_b32_e32 v103, 0xffff, v112
	v_or_b32_e32 v115, 0x10000, v112
	s_delay_alu instid0(VALU_DEP_2) | instskip(NEXT) | instid1(VALU_DEP_2)
	v_cmp_eq_u32_e32 vcc_lo, 0, v103
	v_cndmask_b32_e32 v103, v115, v112, vcc_lo
; %bb.692:                              ;   in Loop: Header=BB6_568 Depth=2
	s_or_b32 exec_lo, exec_lo, s21
	v_and_b32_e32 v13, 0xffff0000, v13
	v_and_b32_e32 v102, 0xffff0000, v102
	s_delay_alu instid0(VALU_DEP_1) | instskip(NEXT) | instid1(VALU_DEP_1)
	v_add_f32_e32 v102, v102, v13
	v_and_b32_e32 v13, 0x7f800000, v102
	s_delay_alu instid0(VALU_DEP_1) | instskip(SKIP_1) | instid1(SALU_CYCLE_1)
	v_cmp_ne_u32_e32 vcc_lo, 0x7f800000, v13
                                        ; implicit-def: $vgpr13
	s_and_saveexec_b32 s21, vcc_lo
	s_xor_b32 s21, exec_lo, s21
; %bb.693:                              ;   in Loop: Header=BB6_568 Depth=2
	v_bfe_u32 v13, v102, 16, 1
	s_delay_alu instid0(VALU_DEP_1)
	v_add3_u32 v13, v102, v13, 0x7fff
                                        ; implicit-def: $vgpr102
; %bb.694:                              ;   in Loop: Header=BB6_568 Depth=2
	s_and_not1_saveexec_b32 s21, s21
	s_cbranch_execz .LBB6_567
; %bb.695:                              ;   in Loop: Header=BB6_568 Depth=2
	v_and_b32_e32 v13, 0xffff, v102
	v_or_b32_e32 v112, 0x10000, v102
	s_delay_alu instid0(VALU_DEP_2) | instskip(NEXT) | instid1(VALU_DEP_2)
	v_cmp_eq_u32_e32 vcc_lo, 0, v13
	v_cndmask_b32_e32 v13, v112, v102, vcc_lo
	s_branch .LBB6_567
.LBB6_696:                              ;   in Loop: Header=BB6_493 Depth=1
	s_or_b32 exec_lo, exec_lo, s20
.LBB6_697:                              ;   in Loop: Header=BB6_493 Depth=1
	s_delay_alu instid0(SALU_CYCLE_1) | instskip(SKIP_3) | instid1(VALU_DEP_1)
	s_or_b32 exec_lo, exec_lo, s7
	v_dual_lshlrev_b32 v82, 10, v100 :: v_dual_mov_b32 v16, 0
	s_mov_b32 s21, 0
	s_mov_b32 s20, exec_lo
                                        ; implicit-def: $vgpr17
	v_cmpx_ne_u32_e64 v97, v82
	s_cbranch_execz .LBB6_767
; %bb.698:                              ;   in Loop: Header=BB6_493 Depth=1
	v_dual_lshlrev_b32 v10, 5, v99 :: v_dual_sub_nc_u32 v12, v97, v82
	s_mov_b32 s21, exec_lo
	s_delay_alu instid0(VALU_DEP_1) | instskip(NEXT) | instid1(VALU_DEP_1)
	v_dual_sub_nc_u32 v10, v87, v10 :: v_dual_ashrrev_i32 v13, 31, v12
	v_dual_ashrrev_i32 v11, 31, v10 :: v_dual_lshrrev_b32 v13, 23, v13
	s_delay_alu instid0(VALU_DEP_1) | instskip(NEXT) | instid1(VALU_DEP_1)
	v_lshrrev_b32_e32 v11, 27, v11
	v_add_nc_u32_e32 v11, v10, v11
	s_delay_alu instid0(VALU_DEP_1) | instskip(NEXT) | instid1(VALU_DEP_1)
	v_and_b32_e32 v14, 0xffffffe0, v11
	v_dual_add_nc_u32 v13, v12, v13 :: v_dual_sub_nc_u32 v83, v10, v14
	s_delay_alu instid0(VALU_DEP_1) | instskip(SKIP_1) | instid1(VALU_DEP_2)
	v_and_b32_e32 v84, 0xfffffe00, v13
	v_dual_ashrrev_i32 v11, 5, v11 :: v_dual_ashrrev_i32 v13, 9, v13
	v_dual_lshlrev_b32 v10, 4, v83 :: v_dual_sub_nc_u32 v85, v12, v84
	s_delay_alu instid0(VALU_DEP_1) | instskip(NEXT) | instid1(VALU_DEP_2)
	v_lshl_add_u32 v10, v11, 9, v10
	v_cmp_lt_i32_e32 vcc_lo, 15, v85
	s_delay_alu instid0(VALU_DEP_4) | instskip(NEXT) | instid1(VALU_DEP_1)
	v_add_co_ci_u32_e64 v13, null, 0, v13, vcc_lo
	v_dual_sub_nc_u32 v100, v12, v10 :: v_dual_sub_nc_u32 v99, v13, v11
	s_delay_alu instid0(VALU_DEP_1)
	v_cmpx_lt_i32_e32 15, v100
	s_cbranch_execz .LBB6_766
; %bb.699:                              ;   in Loop: Header=BB6_493 Depth=1
	s_trap 2
	ds_load_b64 v[12:13], v0
	ds_load_b32 v101, v0
	v_add_nc_u32_e32 v10, v10, v82
	s_mov_b32 s22, 0
	s_wait_dscnt 0x0
	s_delay_alu instid0(VALU_DEP_1) | instskip(NEXT) | instid1(VALU_DEP_1)
	v_dual_lshlrev_b32 v101, 16, v101 :: v_dual_ashrrev_i32 v11, 31, v10
	v_add_nc_u64_e32 v[14:15], v[10:11], v[68:69]
	v_add_nc_u64_e32 v[16:17], v[12:13], v[10:11]
	;; [unrolled: 1-line block ×3, first 2 shown]
	s_branch .LBB6_701
.LBB6_700:                              ;   in Loop: Header=BB6_701 Depth=2
	s_or_b32 exec_lo, exec_lo, s23
	v_dual_lshrrev_b32 v102, 16, v116 :: v_dual_lshrrev_b32 v103, 16, v103
	v_dual_lshrrev_b32 v113, 16, v114 :: v_dual_lshrrev_b32 v112, 16, v112
	v_dual_sub_nc_u32 v100, v100, v52 :: v_dual_sub_nc_u32 v99, v99, v38
	s_delay_alu instid0(VALU_DEP_3) | instskip(NEXT) | instid1(VALU_DEP_4)
	v_and_or_b32 v11, 0xffff0000, v11, v102
	v_and_or_b32 v10, 0xffff0000, v10, v103
	s_delay_alu instid0(VALU_DEP_4)
	v_and_or_b32 v12, 0xffff0000, v12, v113
	v_and_or_b32 v13, 0xffff0000, v13, v112
	v_add_nc_u64_e32 v[14:15], v[14:15], v[52:53]
	v_add_nc_u64_e32 v[16:17], v[16:17], v[52:53]
	v_cmp_gt_i32_e64 s7, 16, v100
	global_store_b128 v[80:81], v[10:13], off th:TH_STORE_NT
	s_wait_xcnt 0x0
	v_add_nc_u64_e32 v[80:81], v[80:81], v[52:53]
	s_or_b32 s22, s7, s22
	s_delay_alu instid0(SALU_CYCLE_1)
	s_and_not1_b32 exec_lo, exec_lo, s22
	s_cbranch_execz .LBB6_765
.LBB6_701:                              ;   Parent Loop BB6_493 Depth=1
                                        ; =>  This Inner Loop Header: Depth=2
	global_load_b128 v[10:13], v[14:15], off th:TH_LOAD_NT
	s_wait_loadcnt 0x0
	v_lshlrev_b32_e32 v102, 16, v10
	s_delay_alu instid0(VALU_DEP_1) | instskip(NEXT) | instid1(VALU_DEP_1)
	v_mul_f32_e32 v102, v101, v102
	v_and_b32_e32 v103, 0x7f800000, v102
	s_delay_alu instid0(VALU_DEP_1) | instskip(SKIP_2) | instid1(SALU_CYCLE_1)
	v_cmp_ne_u32_e64 s7, 0x7f800000, v103
                                        ; implicit-def: $vgpr103
	s_wait_xcnt 0x0
	s_and_saveexec_b32 s23, s7
	s_xor_b32 s7, exec_lo, s23
; %bb.702:                              ;   in Loop: Header=BB6_701 Depth=2
	v_bfe_u32 v103, v102, 16, 1
	s_delay_alu instid0(VALU_DEP_1)
	v_add3_u32 v103, v102, v103, 0x7fff
                                        ; implicit-def: $vgpr102
; %bb.703:                              ;   in Loop: Header=BB6_701 Depth=2
	s_and_not1_saveexec_b32 s23, s7
; %bb.704:                              ;   in Loop: Header=BB6_701 Depth=2
	v_and_b32_e32 v103, 0xffff, v102
	v_or_b32_e32 v112, 0x10000, v102
	s_delay_alu instid0(VALU_DEP_2) | instskip(NEXT) | instid1(VALU_DEP_1)
	v_cmp_eq_u32_e64 s7, 0, v103
	v_cndmask_b32_e64 v103, v112, v102, s7
; %bb.705:                              ;   in Loop: Header=BB6_701 Depth=2
	s_or_b32 exec_lo, exec_lo, s23
	v_and_b32_e32 v10, 0xffff0000, v10
                                        ; implicit-def: $vgpr117
	s_delay_alu instid0(VALU_DEP_1) | instskip(NEXT) | instid1(VALU_DEP_1)
	v_mul_f32_e32 v10, v101, v10
	v_and_b32_e32 v102, 0x7f800000, v10
	s_delay_alu instid0(VALU_DEP_1) | instskip(SKIP_1) | instid1(SALU_CYCLE_1)
	v_cmp_ne_u32_e64 s7, 0x7f800000, v102
	s_and_saveexec_b32 s23, s7
	s_xor_b32 s7, exec_lo, s23
; %bb.706:                              ;   in Loop: Header=BB6_701 Depth=2
	v_bfe_u32 v102, v10, 16, 1
	s_delay_alu instid0(VALU_DEP_1)
	v_add3_u32 v117, v10, v102, 0x7fff
                                        ; implicit-def: $vgpr10
; %bb.707:                              ;   in Loop: Header=BB6_701 Depth=2
	s_and_not1_saveexec_b32 s23, s7
; %bb.708:                              ;   in Loop: Header=BB6_701 Depth=2
	v_and_b32_e32 v102, 0xffff, v10
	v_or_b32_e32 v112, 0x10000, v10
	s_delay_alu instid0(VALU_DEP_2) | instskip(NEXT) | instid1(VALU_DEP_1)
	v_cmp_eq_u32_e64 s7, 0, v102
	v_cndmask_b32_e64 v117, v112, v10, s7
; %bb.709:                              ;   in Loop: Header=BB6_701 Depth=2
	s_or_b32 exec_lo, exec_lo, s23
	v_lshlrev_b32_e32 v10, 16, v11
                                        ; implicit-def: $vgpr116
	s_delay_alu instid0(VALU_DEP_1) | instskip(NEXT) | instid1(VALU_DEP_1)
	v_mul_f32_e32 v10, v101, v10
	v_and_b32_e32 v102, 0x7f800000, v10
	s_delay_alu instid0(VALU_DEP_1) | instskip(SKIP_1) | instid1(SALU_CYCLE_1)
	v_cmp_ne_u32_e64 s7, 0x7f800000, v102
	s_and_saveexec_b32 s23, s7
	s_xor_b32 s7, exec_lo, s23
; %bb.710:                              ;   in Loop: Header=BB6_701 Depth=2
	v_bfe_u32 v102, v10, 16, 1
	s_delay_alu instid0(VALU_DEP_1)
	v_add3_u32 v116, v10, v102, 0x7fff
                                        ; implicit-def: $vgpr10
; %bb.711:                              ;   in Loop: Header=BB6_701 Depth=2
	s_and_not1_saveexec_b32 s23, s7
; %bb.712:                              ;   in Loop: Header=BB6_701 Depth=2
	v_and_b32_e32 v102, 0xffff, v10
	v_or_b32_e32 v112, 0x10000, v10
	s_delay_alu instid0(VALU_DEP_2) | instskip(NEXT) | instid1(VALU_DEP_1)
	v_cmp_eq_u32_e64 s7, 0, v102
	v_cndmask_b32_e64 v116, v112, v10, s7
; %bb.713:                              ;   in Loop: Header=BB6_701 Depth=2
	s_or_b32 exec_lo, exec_lo, s23
	v_and_b32_e32 v10, 0xffff0000, v11
                                        ; implicit-def: $vgpr115
	s_delay_alu instid0(VALU_DEP_1) | instskip(NEXT) | instid1(VALU_DEP_1)
	v_mul_f32_e32 v10, v101, v10
	v_and_b32_e32 v11, 0x7f800000, v10
	s_delay_alu instid0(VALU_DEP_1) | instskip(SKIP_1) | instid1(SALU_CYCLE_1)
	v_cmp_ne_u32_e64 s7, 0x7f800000, v11
	s_and_saveexec_b32 s23, s7
	s_xor_b32 s7, exec_lo, s23
; %bb.714:                              ;   in Loop: Header=BB6_701 Depth=2
	v_bfe_u32 v11, v10, 16, 1
	s_delay_alu instid0(VALU_DEP_1)
	v_add3_u32 v115, v10, v11, 0x7fff
                                        ; implicit-def: $vgpr10
; %bb.715:                              ;   in Loop: Header=BB6_701 Depth=2
	s_and_not1_saveexec_b32 s23, s7
; %bb.716:                              ;   in Loop: Header=BB6_701 Depth=2
	v_and_b32_e32 v11, 0xffff, v10
	v_or_b32_e32 v102, 0x10000, v10
	s_delay_alu instid0(VALU_DEP_2) | instskip(NEXT) | instid1(VALU_DEP_1)
	v_cmp_eq_u32_e64 s7, 0, v11
	v_cndmask_b32_e64 v115, v102, v10, s7
; %bb.717:                              ;   in Loop: Header=BB6_701 Depth=2
	s_or_b32 exec_lo, exec_lo, s23
	v_lshlrev_b32_e32 v10, 16, v12
                                        ; implicit-def: $vgpr114
	s_delay_alu instid0(VALU_DEP_1) | instskip(NEXT) | instid1(VALU_DEP_1)
	v_mul_f32_e32 v10, v101, v10
	v_and_b32_e32 v11, 0x7f800000, v10
	s_delay_alu instid0(VALU_DEP_1) | instskip(SKIP_1) | instid1(SALU_CYCLE_1)
	v_cmp_ne_u32_e64 s7, 0x7f800000, v11
	s_and_saveexec_b32 s23, s7
	s_xor_b32 s7, exec_lo, s23
; %bb.718:                              ;   in Loop: Header=BB6_701 Depth=2
	v_bfe_u32 v11, v10, 16, 1
	s_delay_alu instid0(VALU_DEP_1)
	v_add3_u32 v114, v10, v11, 0x7fff
                                        ; implicit-def: $vgpr10
; %bb.719:                              ;   in Loop: Header=BB6_701 Depth=2
	s_and_not1_saveexec_b32 s23, s7
; %bb.720:                              ;   in Loop: Header=BB6_701 Depth=2
	v_and_b32_e32 v11, 0xffff, v10
	v_or_b32_e32 v102, 0x10000, v10
	s_delay_alu instid0(VALU_DEP_2) | instskip(NEXT) | instid1(VALU_DEP_1)
	v_cmp_eq_u32_e64 s7, 0, v11
	v_cndmask_b32_e64 v114, v102, v10, s7
; %bb.721:                              ;   in Loop: Header=BB6_701 Depth=2
	s_or_b32 exec_lo, exec_lo, s23
	v_and_b32_e32 v10, 0xffff0000, v12
                                        ; implicit-def: $vgpr113
	s_delay_alu instid0(VALU_DEP_1) | instskip(NEXT) | instid1(VALU_DEP_1)
	v_mul_f32_e32 v10, v101, v10
	v_and_b32_e32 v11, 0x7f800000, v10
	s_delay_alu instid0(VALU_DEP_1) | instskip(SKIP_1) | instid1(SALU_CYCLE_1)
	v_cmp_ne_u32_e64 s7, 0x7f800000, v11
	s_and_saveexec_b32 s23, s7
	s_xor_b32 s7, exec_lo, s23
; %bb.722:                              ;   in Loop: Header=BB6_701 Depth=2
	v_bfe_u32 v11, v10, 16, 1
	s_delay_alu instid0(VALU_DEP_1)
	v_add3_u32 v113, v10, v11, 0x7fff
                                        ; implicit-def: $vgpr10
; %bb.723:                              ;   in Loop: Header=BB6_701 Depth=2
	s_and_not1_saveexec_b32 s23, s7
; %bb.724:                              ;   in Loop: Header=BB6_701 Depth=2
	v_and_b32_e32 v11, 0xffff, v10
	v_or_b32_e32 v12, 0x10000, v10
	s_delay_alu instid0(VALU_DEP_2) | instskip(NEXT) | instid1(VALU_DEP_1)
	v_cmp_eq_u32_e64 s7, 0, v11
	v_cndmask_b32_e64 v113, v12, v10, s7
; %bb.725:                              ;   in Loop: Header=BB6_701 Depth=2
	s_or_b32 exec_lo, exec_lo, s23
	v_lshlrev_b32_e32 v10, 16, v13
                                        ; implicit-def: $vgpr112
	s_delay_alu instid0(VALU_DEP_1) | instskip(NEXT) | instid1(VALU_DEP_1)
	v_mul_f32_e32 v10, v101, v10
	v_and_b32_e32 v11, 0x7f800000, v10
	s_delay_alu instid0(VALU_DEP_1) | instskip(SKIP_1) | instid1(SALU_CYCLE_1)
	v_cmp_ne_u32_e64 s7, 0x7f800000, v11
	s_and_saveexec_b32 s23, s7
	s_xor_b32 s7, exec_lo, s23
; %bb.726:                              ;   in Loop: Header=BB6_701 Depth=2
	v_bfe_u32 v11, v10, 16, 1
	s_delay_alu instid0(VALU_DEP_1)
	v_add3_u32 v112, v10, v11, 0x7fff
                                        ; implicit-def: $vgpr10
; %bb.727:                              ;   in Loop: Header=BB6_701 Depth=2
	s_and_not1_saveexec_b32 s23, s7
; %bb.728:                              ;   in Loop: Header=BB6_701 Depth=2
	v_and_b32_e32 v11, 0xffff, v10
	v_or_b32_e32 v12, 0x10000, v10
	s_delay_alu instid0(VALU_DEP_2) | instskip(NEXT) | instid1(VALU_DEP_1)
	v_cmp_eq_u32_e64 s7, 0, v11
	v_cndmask_b32_e64 v112, v12, v10, s7
; %bb.729:                              ;   in Loop: Header=BB6_701 Depth=2
	s_or_b32 exec_lo, exec_lo, s23
	v_and_b32_e32 v10, 0xffff0000, v13
                                        ; implicit-def: $vgpr102
	s_delay_alu instid0(VALU_DEP_1) | instskip(NEXT) | instid1(VALU_DEP_1)
	v_mul_f32_e32 v10, v101, v10
	v_and_b32_e32 v11, 0x7f800000, v10
	s_delay_alu instid0(VALU_DEP_1) | instskip(SKIP_1) | instid1(SALU_CYCLE_1)
	v_cmp_ne_u32_e64 s7, 0x7f800000, v11
	s_and_saveexec_b32 s23, s7
	s_xor_b32 s7, exec_lo, s23
; %bb.730:                              ;   in Loop: Header=BB6_701 Depth=2
	v_bfe_u32 v11, v10, 16, 1
	s_delay_alu instid0(VALU_DEP_1)
	v_add3_u32 v102, v10, v11, 0x7fff
                                        ; implicit-def: $vgpr10
; %bb.731:                              ;   in Loop: Header=BB6_701 Depth=2
	s_and_not1_saveexec_b32 s23, s7
; %bb.732:                              ;   in Loop: Header=BB6_701 Depth=2
	v_and_b32_e32 v11, 0xffff, v10
	v_or_b32_e32 v12, 0x10000, v10
	s_delay_alu instid0(VALU_DEP_2) | instskip(NEXT) | instid1(VALU_DEP_1)
	v_cmp_eq_u32_e64 s7, 0, v11
	v_cndmask_b32_e64 v102, v12, v10, s7
; %bb.733:                              ;   in Loop: Header=BB6_701 Depth=2
	s_or_b32 exec_lo, exec_lo, s23
	global_load_b128 v[10:13], v[16:17], off th:TH_LOAD_NT
	v_and_b32_e32 v103, 0xffff0000, v103
	s_wait_loadcnt 0x0
	v_lshlrev_b32_e32 v118, 16, v10
	s_delay_alu instid0(VALU_DEP_1) | instskip(NEXT) | instid1(VALU_DEP_1)
	v_add_f32_e32 v118, v103, v118
	v_and_b32_e32 v103, 0x7f800000, v118
	s_delay_alu instid0(VALU_DEP_1) | instskip(SKIP_2) | instid1(SALU_CYCLE_1)
	v_cmp_ne_u32_e64 s7, 0x7f800000, v103
                                        ; implicit-def: $vgpr103
	s_wait_xcnt 0x0
	s_and_saveexec_b32 s23, s7
	s_xor_b32 s7, exec_lo, s23
; %bb.734:                              ;   in Loop: Header=BB6_701 Depth=2
	v_bfe_u32 v103, v118, 16, 1
	s_delay_alu instid0(VALU_DEP_1)
	v_add3_u32 v103, v118, v103, 0x7fff
                                        ; implicit-def: $vgpr118
; %bb.735:                              ;   in Loop: Header=BB6_701 Depth=2
	s_and_not1_saveexec_b32 s23, s7
; %bb.736:                              ;   in Loop: Header=BB6_701 Depth=2
	v_and_b32_e32 v103, 0xffff, v118
	v_or_b32_e32 v119, 0x10000, v118
	s_delay_alu instid0(VALU_DEP_2) | instskip(NEXT) | instid1(VALU_DEP_1)
	v_cmp_eq_u32_e64 s7, 0, v103
	v_cndmask_b32_e64 v103, v119, v118, s7
; %bb.737:                              ;   in Loop: Header=BB6_701 Depth=2
	s_or_b32 exec_lo, exec_lo, s23
	v_and_b32_e32 v117, 0xffff0000, v117
	v_and_b32_e32 v10, 0xffff0000, v10
	s_delay_alu instid0(VALU_DEP_1) | instskip(NEXT) | instid1(VALU_DEP_1)
	v_add_f32_e32 v117, v117, v10
	v_and_b32_e32 v10, 0x7f800000, v117
	s_delay_alu instid0(VALU_DEP_1) | instskip(SKIP_1) | instid1(SALU_CYCLE_1)
	v_cmp_ne_u32_e64 s7, 0x7f800000, v10
                                        ; implicit-def: $vgpr10
	s_and_saveexec_b32 s23, s7
	s_xor_b32 s7, exec_lo, s23
; %bb.738:                              ;   in Loop: Header=BB6_701 Depth=2
	v_bfe_u32 v10, v117, 16, 1
	s_delay_alu instid0(VALU_DEP_1)
	v_add3_u32 v10, v117, v10, 0x7fff
                                        ; implicit-def: $vgpr117
; %bb.739:                              ;   in Loop: Header=BB6_701 Depth=2
	s_and_not1_saveexec_b32 s23, s7
; %bb.740:                              ;   in Loop: Header=BB6_701 Depth=2
	v_and_b32_e32 v10, 0xffff, v117
	v_or_b32_e32 v118, 0x10000, v117
	s_delay_alu instid0(VALU_DEP_2) | instskip(NEXT) | instid1(VALU_DEP_1)
	v_cmp_eq_u32_e64 s7, 0, v10
	v_cndmask_b32_e64 v10, v118, v117, s7
; %bb.741:                              ;   in Loop: Header=BB6_701 Depth=2
	s_or_b32 exec_lo, exec_lo, s23
	v_and_b32_e32 v116, 0xffff0000, v116
	v_lshlrev_b32_e32 v117, 16, v11
	s_delay_alu instid0(VALU_DEP_1) | instskip(NEXT) | instid1(VALU_DEP_1)
	v_add_f32_e32 v117, v116, v117
	v_and_b32_e32 v116, 0x7f800000, v117
	s_delay_alu instid0(VALU_DEP_1) | instskip(SKIP_1) | instid1(SALU_CYCLE_1)
	v_cmp_ne_u32_e64 s7, 0x7f800000, v116
                                        ; implicit-def: $vgpr116
	s_and_saveexec_b32 s23, s7
	s_xor_b32 s7, exec_lo, s23
; %bb.742:                              ;   in Loop: Header=BB6_701 Depth=2
	v_bfe_u32 v116, v117, 16, 1
	s_delay_alu instid0(VALU_DEP_1)
	v_add3_u32 v116, v117, v116, 0x7fff
                                        ; implicit-def: $vgpr117
; %bb.743:                              ;   in Loop: Header=BB6_701 Depth=2
	s_and_not1_saveexec_b32 s23, s7
; %bb.744:                              ;   in Loop: Header=BB6_701 Depth=2
	v_and_b32_e32 v116, 0xffff, v117
	v_or_b32_e32 v118, 0x10000, v117
	s_delay_alu instid0(VALU_DEP_2) | instskip(NEXT) | instid1(VALU_DEP_1)
	v_cmp_eq_u32_e64 s7, 0, v116
	v_cndmask_b32_e64 v116, v118, v117, s7
; %bb.745:                              ;   in Loop: Header=BB6_701 Depth=2
	s_or_b32 exec_lo, exec_lo, s23
	v_and_b32_e32 v115, 0xffff0000, v115
	v_and_b32_e32 v11, 0xffff0000, v11
	s_delay_alu instid0(VALU_DEP_1) | instskip(NEXT) | instid1(VALU_DEP_1)
	v_add_f32_e32 v115, v115, v11
	v_and_b32_e32 v11, 0x7f800000, v115
	s_delay_alu instid0(VALU_DEP_1) | instskip(SKIP_1) | instid1(SALU_CYCLE_1)
	v_cmp_ne_u32_e64 s7, 0x7f800000, v11
                                        ; implicit-def: $vgpr11
	s_and_saveexec_b32 s23, s7
	s_xor_b32 s7, exec_lo, s23
; %bb.746:                              ;   in Loop: Header=BB6_701 Depth=2
	v_bfe_u32 v11, v115, 16, 1
	s_delay_alu instid0(VALU_DEP_1)
	v_add3_u32 v11, v115, v11, 0x7fff
                                        ; implicit-def: $vgpr115
; %bb.747:                              ;   in Loop: Header=BB6_701 Depth=2
	s_and_not1_saveexec_b32 s23, s7
; %bb.748:                              ;   in Loop: Header=BB6_701 Depth=2
	v_and_b32_e32 v11, 0xffff, v115
	v_or_b32_e32 v117, 0x10000, v115
	s_delay_alu instid0(VALU_DEP_2) | instskip(NEXT) | instid1(VALU_DEP_1)
	v_cmp_eq_u32_e64 s7, 0, v11
	v_cndmask_b32_e64 v11, v117, v115, s7
; %bb.749:                              ;   in Loop: Header=BB6_701 Depth=2
	s_or_b32 exec_lo, exec_lo, s23
	v_and_b32_e32 v114, 0xffff0000, v114
	v_lshlrev_b32_e32 v115, 16, v12
	s_delay_alu instid0(VALU_DEP_1) | instskip(NEXT) | instid1(VALU_DEP_1)
	v_add_f32_e32 v115, v114, v115
	v_and_b32_e32 v114, 0x7f800000, v115
	s_delay_alu instid0(VALU_DEP_1) | instskip(SKIP_1) | instid1(SALU_CYCLE_1)
	v_cmp_ne_u32_e64 s7, 0x7f800000, v114
                                        ; implicit-def: $vgpr114
	s_and_saveexec_b32 s23, s7
	s_xor_b32 s7, exec_lo, s23
; %bb.750:                              ;   in Loop: Header=BB6_701 Depth=2
	v_bfe_u32 v114, v115, 16, 1
	s_delay_alu instid0(VALU_DEP_1)
	v_add3_u32 v114, v115, v114, 0x7fff
                                        ; implicit-def: $vgpr115
; %bb.751:                              ;   in Loop: Header=BB6_701 Depth=2
	s_and_not1_saveexec_b32 s23, s7
; %bb.752:                              ;   in Loop: Header=BB6_701 Depth=2
	v_and_b32_e32 v114, 0xffff, v115
	v_or_b32_e32 v117, 0x10000, v115
	s_delay_alu instid0(VALU_DEP_2) | instskip(NEXT) | instid1(VALU_DEP_1)
	v_cmp_eq_u32_e64 s7, 0, v114
	v_cndmask_b32_e64 v114, v117, v115, s7
; %bb.753:                              ;   in Loop: Header=BB6_701 Depth=2
	s_or_b32 exec_lo, exec_lo, s23
	v_and_b32_e32 v113, 0xffff0000, v113
	v_and_b32_e32 v12, 0xffff0000, v12
	s_delay_alu instid0(VALU_DEP_1) | instskip(NEXT) | instid1(VALU_DEP_1)
	v_add_f32_e32 v113, v113, v12
	v_and_b32_e32 v12, 0x7f800000, v113
	s_delay_alu instid0(VALU_DEP_1) | instskip(SKIP_1) | instid1(SALU_CYCLE_1)
	v_cmp_ne_u32_e64 s7, 0x7f800000, v12
                                        ; implicit-def: $vgpr12
	s_and_saveexec_b32 s23, s7
	s_xor_b32 s7, exec_lo, s23
; %bb.754:                              ;   in Loop: Header=BB6_701 Depth=2
	v_bfe_u32 v12, v113, 16, 1
	s_delay_alu instid0(VALU_DEP_1)
	v_add3_u32 v12, v113, v12, 0x7fff
                                        ; implicit-def: $vgpr113
; %bb.755:                              ;   in Loop: Header=BB6_701 Depth=2
	s_and_not1_saveexec_b32 s23, s7
; %bb.756:                              ;   in Loop: Header=BB6_701 Depth=2
	v_and_b32_e32 v12, 0xffff, v113
	v_or_b32_e32 v115, 0x10000, v113
	s_delay_alu instid0(VALU_DEP_2) | instskip(NEXT) | instid1(VALU_DEP_1)
	v_cmp_eq_u32_e64 s7, 0, v12
	v_cndmask_b32_e64 v12, v115, v113, s7
; %bb.757:                              ;   in Loop: Header=BB6_701 Depth=2
	s_or_b32 exec_lo, exec_lo, s23
	v_and_b32_e32 v112, 0xffff0000, v112
	v_lshlrev_b32_e32 v113, 16, v13
	s_delay_alu instid0(VALU_DEP_1) | instskip(NEXT) | instid1(VALU_DEP_1)
	v_add_f32_e32 v113, v112, v113
	v_and_b32_e32 v112, 0x7f800000, v113
	s_delay_alu instid0(VALU_DEP_1) | instskip(SKIP_1) | instid1(SALU_CYCLE_1)
	v_cmp_ne_u32_e64 s7, 0x7f800000, v112
                                        ; implicit-def: $vgpr112
	s_and_saveexec_b32 s23, s7
	s_xor_b32 s7, exec_lo, s23
; %bb.758:                              ;   in Loop: Header=BB6_701 Depth=2
	v_bfe_u32 v112, v113, 16, 1
	s_delay_alu instid0(VALU_DEP_1)
	v_add3_u32 v112, v113, v112, 0x7fff
                                        ; implicit-def: $vgpr113
; %bb.759:                              ;   in Loop: Header=BB6_701 Depth=2
	s_and_not1_saveexec_b32 s23, s7
; %bb.760:                              ;   in Loop: Header=BB6_701 Depth=2
	v_and_b32_e32 v112, 0xffff, v113
	v_or_b32_e32 v115, 0x10000, v113
	s_delay_alu instid0(VALU_DEP_2) | instskip(NEXT) | instid1(VALU_DEP_1)
	v_cmp_eq_u32_e64 s7, 0, v112
	v_cndmask_b32_e64 v112, v115, v113, s7
; %bb.761:                              ;   in Loop: Header=BB6_701 Depth=2
	s_or_b32 exec_lo, exec_lo, s23
	v_and_b32_e32 v102, 0xffff0000, v102
	v_and_b32_e32 v13, 0xffff0000, v13
	s_delay_alu instid0(VALU_DEP_1) | instskip(NEXT) | instid1(VALU_DEP_1)
	v_add_f32_e32 v102, v102, v13
	v_and_b32_e32 v13, 0x7f800000, v102
	s_delay_alu instid0(VALU_DEP_1) | instskip(SKIP_1) | instid1(SALU_CYCLE_1)
	v_cmp_ne_u32_e64 s7, 0x7f800000, v13
                                        ; implicit-def: $vgpr13
	s_and_saveexec_b32 s23, s7
	s_xor_b32 s7, exec_lo, s23
; %bb.762:                              ;   in Loop: Header=BB6_701 Depth=2
	v_bfe_u32 v13, v102, 16, 1
	s_delay_alu instid0(VALU_DEP_1)
	v_add3_u32 v13, v102, v13, 0x7fff
                                        ; implicit-def: $vgpr102
; %bb.763:                              ;   in Loop: Header=BB6_701 Depth=2
	s_and_not1_saveexec_b32 s23, s7
	s_cbranch_execz .LBB6_700
; %bb.764:                              ;   in Loop: Header=BB6_701 Depth=2
	v_and_b32_e32 v13, 0xffff, v102
	v_or_b32_e32 v113, 0x10000, v102
	s_delay_alu instid0(VALU_DEP_2) | instskip(NEXT) | instid1(VALU_DEP_1)
	v_cmp_eq_u32_e64 s7, 0, v13
	v_cndmask_b32_e64 v13, v113, v102, s7
	s_branch .LBB6_700
.LBB6_765:                              ;   in Loop: Header=BB6_493 Depth=1
	s_or_b32 exec_lo, exec_lo, s22
.LBB6_766:                              ;   in Loop: Header=BB6_493 Depth=1
	s_delay_alu instid0(SALU_CYCLE_1) | instskip(NEXT) | instid1(VALU_DEP_2)
	s_or_b32 exec_lo, exec_lo, s21
	v_cmp_lt_i32_e64 s7, 0, v99
	s_delay_alu instid0(VALU_DEP_1) | instskip(NEXT) | instid1(VALU_DEP_1)
	v_dual_cndmask_b32 v12, 0, v38, s7 :: v_dual_bitop2_b32 v10, 14, v97 bitop3:0x40
	v_dual_sub_nc_u32 v11, v85, v10 :: v_dual_cndmask_b32 v97, v85, v10, vcc_lo
	s_delay_alu instid0(VALU_DEP_1) | instskip(NEXT) | instid1(VALU_DEP_3)
	v_cndmask_b32_e32 v10, 0, v11, vcc_lo
	v_sub_nc_u32_e32 v11, v12, v99
	s_delay_alu instid0(VALU_DEP_3) | instskip(NEXT) | instid1(VALU_DEP_3)
	v_cmp_ne_u32_e32 vcc_lo, 0, v97
	v_add3_u32 v16, v84, v82, v10
	s_delay_alu instid0(VALU_DEP_3)
	v_lshl_add_u32 v17, v11, 5, v83
	s_and_b32 s21, vcc_lo, exec_lo
.LBB6_767:                              ;   in Loop: Header=BB6_493 Depth=1
	s_or_b32 exec_lo, exec_lo, s20
	s_and_saveexec_b32 s7, s21
	s_cbranch_execz .LBB6_848
.LBB6_768:                              ;   in Loop: Header=BB6_493 Depth=1
	v_ashrrev_i32_e32 v11, 31, v97
	v_ashrrev_i32_e32 v10, 31, v17
	s_mov_b32 s20, exec_lo
	s_delay_alu instid0(VALU_DEP_1) | instskip(NEXT) | instid1(VALU_DEP_1)
	v_dual_lshrrev_b32 v11, 23, v11 :: v_dual_lshrrev_b32 v10, 27, v10
	v_add_nc_u32_e32 v11, v97, v11
	s_delay_alu instid0(VALU_DEP_1) | instskip(NEXT) | instid1(VALU_DEP_1)
	v_dual_add_nc_u32 v10, v17, v10 :: v_dual_ashrrev_i32 v82, 9, v11
	v_ashrrev_i32_e32 v80, 5, v10
	s_delay_alu instid0(VALU_DEP_1) | instskip(NEXT) | instid1(VALU_DEP_1)
	v_sub_nc_u32_e32 v81, v82, v80
	v_cmpx_lt_i32_e32 0, v81
	s_cbranch_execz .LBB6_836
; %bb.769:                              ;   in Loop: Header=BB6_493 Depth=1
	s_trap 2
	ds_load_b64 v[12:13], v0
	ds_load_b32 v83, v0
	v_and_b32_e32 v10, 0x7fffffe0, v10
	v_add_nc_u64_e32 v[84:85], 0x1c0, v[70:71]
	v_lshlrev_b32_e32 v11, 9, v80
	s_mov_b32 s21, 0
	s_delay_alu instid0(VALU_DEP_3) | instskip(SKIP_1) | instid1(VALU_DEP_1)
	v_sub_nc_u32_e32 v10, v17, v10
	s_wait_dscnt 0x0
	v_dual_lshlrev_b32 v10, 1, v10 :: v_dual_lshlrev_b32 v83, 16, v83
	s_delay_alu instid0(VALU_DEP_1) | instskip(NEXT) | instid1(VALU_DEP_1)
	v_add3_u32 v14, v10, v16, v11
	v_ashrrev_i32_e32 v15, 31, v14
	s_delay_alu instid0(VALU_DEP_1)
	v_add_nc_u64_e32 v[10:11], v[14:15], v[68:69]
	v_add_nc_u64_e32 v[12:13], v[12:13], v[14:15]
	;; [unrolled: 1-line block ×3, first 2 shown]
	s_branch .LBB6_771
.LBB6_770:                              ;   in Loop: Header=BB6_771 Depth=2
	s_or_b32 exec_lo, exec_lo, s22
	v_sub_nc_u32_e32 v81, v81, v38
	s_clause 0x7
	flat_store_d16_hi_b16 v[14:15], v84 offset:-448 th:TH_STORE_NT
	flat_store_d16_hi_b16 v[14:15], v85 offset:-384 th:TH_STORE_NT
	;; [unrolled: 1-line block ×7, first 2 shown]
	flat_store_d16_hi_b16 v[14:15], v112 th:TH_STORE_NT
	v_add_nc_u64_e32 v[10:11], v[10:11], v[52:53]
	v_add_nc_u64_e32 v[12:13], v[12:13], v[52:53]
	s_wait_xcnt 0x0
	v_add_nc_u64_e32 v[14:15], v[14:15], v[52:53]
	v_cmp_gt_i32_e32 vcc_lo, 1, v81
	s_or_b32 s21, vcc_lo, s21
	s_delay_alu instid0(SALU_CYCLE_1)
	s_and_not1_b32 exec_lo, exec_lo, s21
	s_cbranch_execz .LBB6_835
.LBB6_771:                              ;   Parent Loop BB6_493 Depth=1
                                        ; =>  This Inner Loop Header: Depth=2
	flat_load_u16 v84, v[10:11] th:TH_LOAD_NT
	s_wait_loadcnt_dscnt 0x0
	v_lshlrev_b32_e32 v84, 16, v84
	s_delay_alu instid0(VALU_DEP_1) | instskip(NEXT) | instid1(VALU_DEP_1)
	v_mul_f32_e32 v85, v83, v84
	v_and_b32_e32 v84, 0x7f800000, v85
	s_delay_alu instid0(VALU_DEP_1) | instskip(SKIP_2) | instid1(SALU_CYCLE_1)
	v_cmp_ne_u32_e32 vcc_lo, 0x7f800000, v84
                                        ; implicit-def: $vgpr84
	s_wait_xcnt 0x0
	s_and_saveexec_b32 s22, vcc_lo
	s_xor_b32 s22, exec_lo, s22
; %bb.772:                              ;   in Loop: Header=BB6_771 Depth=2
	v_bfe_u32 v84, v85, 16, 1
	s_delay_alu instid0(VALU_DEP_1)
	v_add3_u32 v84, v85, v84, 0x7fff
                                        ; implicit-def: $vgpr85
; %bb.773:                              ;   in Loop: Header=BB6_771 Depth=2
	s_and_not1_saveexec_b32 s22, s22
; %bb.774:                              ;   in Loop: Header=BB6_771 Depth=2
	v_and_b32_e32 v84, 0xffff, v85
	v_or_b32_e32 v99, 0x10000, v85
	s_delay_alu instid0(VALU_DEP_2) | instskip(NEXT) | instid1(VALU_DEP_2)
	v_cmp_eq_u32_e32 vcc_lo, 0, v84
	v_cndmask_b32_e32 v84, v99, v85, vcc_lo
; %bb.775:                              ;   in Loop: Header=BB6_771 Depth=2
	s_or_b32 exec_lo, exec_lo, s22
	flat_load_u16 v85, v[10:11] offset:64 th:TH_LOAD_NT
	s_wait_loadcnt_dscnt 0x0
	v_lshlrev_b32_e32 v85, 16, v85
	s_delay_alu instid0(VALU_DEP_1) | instskip(NEXT) | instid1(VALU_DEP_1)
	v_mul_f32_e32 v99, v83, v85
	v_and_b32_e32 v85, 0x7f800000, v99
	s_delay_alu instid0(VALU_DEP_1) | instskip(SKIP_2) | instid1(SALU_CYCLE_1)
	v_cmp_ne_u32_e32 vcc_lo, 0x7f800000, v85
                                        ; implicit-def: $vgpr85
	s_wait_xcnt 0x0
	s_and_saveexec_b32 s22, vcc_lo
	s_xor_b32 s22, exec_lo, s22
; %bb.776:                              ;   in Loop: Header=BB6_771 Depth=2
	v_bfe_u32 v85, v99, 16, 1
	s_delay_alu instid0(VALU_DEP_1)
	v_add3_u32 v85, v99, v85, 0x7fff
                                        ; implicit-def: $vgpr99
; %bb.777:                              ;   in Loop: Header=BB6_771 Depth=2
	s_and_not1_saveexec_b32 s22, s22
; %bb.778:                              ;   in Loop: Header=BB6_771 Depth=2
	v_and_b32_e32 v85, 0xffff, v99
	v_or_b32_e32 v100, 0x10000, v99
	s_delay_alu instid0(VALU_DEP_2) | instskip(NEXT) | instid1(VALU_DEP_2)
	v_cmp_eq_u32_e32 vcc_lo, 0, v85
	v_cndmask_b32_e32 v85, v100, v99, vcc_lo
; %bb.779:                              ;   in Loop: Header=BB6_771 Depth=2
	s_or_b32 exec_lo, exec_lo, s22
	flat_load_u16 v99, v[10:11] offset:128 th:TH_LOAD_NT
	s_wait_loadcnt_dscnt 0x0
	v_lshlrev_b32_e32 v99, 16, v99
	s_delay_alu instid0(VALU_DEP_1) | instskip(NEXT) | instid1(VALU_DEP_1)
	v_mul_f32_e32 v100, v83, v99
	v_and_b32_e32 v99, 0x7f800000, v100
	s_delay_alu instid0(VALU_DEP_1) | instskip(SKIP_2) | instid1(SALU_CYCLE_1)
	v_cmp_ne_u32_e32 vcc_lo, 0x7f800000, v99
                                        ; implicit-def: $vgpr99
	s_wait_xcnt 0x0
	s_and_saveexec_b32 s22, vcc_lo
	s_xor_b32 s22, exec_lo, s22
; %bb.780:                              ;   in Loop: Header=BB6_771 Depth=2
	v_bfe_u32 v99, v100, 16, 1
	s_delay_alu instid0(VALU_DEP_1)
	v_add3_u32 v99, v100, v99, 0x7fff
                                        ; implicit-def: $vgpr100
; %bb.781:                              ;   in Loop: Header=BB6_771 Depth=2
	s_and_not1_saveexec_b32 s22, s22
; %bb.782:                              ;   in Loop: Header=BB6_771 Depth=2
	v_and_b32_e32 v99, 0xffff, v100
	v_or_b32_e32 v101, 0x10000, v100
	s_delay_alu instid0(VALU_DEP_2) | instskip(NEXT) | instid1(VALU_DEP_2)
	v_cmp_eq_u32_e32 vcc_lo, 0, v99
	v_cndmask_b32_e32 v99, v101, v100, vcc_lo
; %bb.783:                              ;   in Loop: Header=BB6_771 Depth=2
	s_or_b32 exec_lo, exec_lo, s22
	flat_load_u16 v100, v[10:11] offset:192 th:TH_LOAD_NT
	s_wait_loadcnt_dscnt 0x0
	v_lshlrev_b32_e32 v100, 16, v100
	s_delay_alu instid0(VALU_DEP_1) | instskip(NEXT) | instid1(VALU_DEP_1)
	v_mul_f32_e32 v101, v83, v100
	v_and_b32_e32 v100, 0x7f800000, v101
	s_delay_alu instid0(VALU_DEP_1) | instskip(SKIP_2) | instid1(SALU_CYCLE_1)
	v_cmp_ne_u32_e32 vcc_lo, 0x7f800000, v100
                                        ; implicit-def: $vgpr100
	s_wait_xcnt 0x0
	s_and_saveexec_b32 s22, vcc_lo
	s_xor_b32 s22, exec_lo, s22
; %bb.784:                              ;   in Loop: Header=BB6_771 Depth=2
	v_bfe_u32 v100, v101, 16, 1
	s_delay_alu instid0(VALU_DEP_1)
	v_add3_u32 v100, v101, v100, 0x7fff
                                        ; implicit-def: $vgpr101
; %bb.785:                              ;   in Loop: Header=BB6_771 Depth=2
	s_and_not1_saveexec_b32 s22, s22
; %bb.786:                              ;   in Loop: Header=BB6_771 Depth=2
	v_and_b32_e32 v100, 0xffff, v101
	v_or_b32_e32 v102, 0x10000, v101
	s_delay_alu instid0(VALU_DEP_2) | instskip(NEXT) | instid1(VALU_DEP_2)
	v_cmp_eq_u32_e32 vcc_lo, 0, v100
	v_cndmask_b32_e32 v100, v102, v101, vcc_lo
; %bb.787:                              ;   in Loop: Header=BB6_771 Depth=2
	s_or_b32 exec_lo, exec_lo, s22
	flat_load_u16 v101, v[10:11] offset:256 th:TH_LOAD_NT
	s_wait_loadcnt_dscnt 0x0
	v_lshlrev_b32_e32 v101, 16, v101
	s_delay_alu instid0(VALU_DEP_1) | instskip(NEXT) | instid1(VALU_DEP_1)
	v_mul_f32_e32 v102, v83, v101
	v_and_b32_e32 v101, 0x7f800000, v102
	s_delay_alu instid0(VALU_DEP_1) | instskip(SKIP_2) | instid1(SALU_CYCLE_1)
	v_cmp_ne_u32_e32 vcc_lo, 0x7f800000, v101
                                        ; implicit-def: $vgpr101
	s_wait_xcnt 0x0
	s_and_saveexec_b32 s22, vcc_lo
	s_xor_b32 s22, exec_lo, s22
; %bb.788:                              ;   in Loop: Header=BB6_771 Depth=2
	v_bfe_u32 v101, v102, 16, 1
	s_delay_alu instid0(VALU_DEP_1)
	v_add3_u32 v101, v102, v101, 0x7fff
                                        ; implicit-def: $vgpr102
; %bb.789:                              ;   in Loop: Header=BB6_771 Depth=2
	s_and_not1_saveexec_b32 s22, s22
; %bb.790:                              ;   in Loop: Header=BB6_771 Depth=2
	v_and_b32_e32 v101, 0xffff, v102
	v_or_b32_e32 v103, 0x10000, v102
	s_delay_alu instid0(VALU_DEP_2) | instskip(NEXT) | instid1(VALU_DEP_2)
	v_cmp_eq_u32_e32 vcc_lo, 0, v101
	v_cndmask_b32_e32 v101, v103, v102, vcc_lo
; %bb.791:                              ;   in Loop: Header=BB6_771 Depth=2
	s_or_b32 exec_lo, exec_lo, s22
	flat_load_u16 v102, v[10:11] offset:320 th:TH_LOAD_NT
	s_wait_loadcnt_dscnt 0x0
	v_lshlrev_b32_e32 v102, 16, v102
	s_delay_alu instid0(VALU_DEP_1) | instskip(NEXT) | instid1(VALU_DEP_1)
	v_mul_f32_e32 v103, v83, v102
	v_and_b32_e32 v102, 0x7f800000, v103
	s_delay_alu instid0(VALU_DEP_1) | instskip(SKIP_2) | instid1(SALU_CYCLE_1)
	v_cmp_ne_u32_e32 vcc_lo, 0x7f800000, v102
                                        ; implicit-def: $vgpr102
	s_wait_xcnt 0x0
	s_and_saveexec_b32 s22, vcc_lo
	s_xor_b32 s22, exec_lo, s22
; %bb.792:                              ;   in Loop: Header=BB6_771 Depth=2
	v_bfe_u32 v102, v103, 16, 1
	s_delay_alu instid0(VALU_DEP_1)
	v_add3_u32 v102, v103, v102, 0x7fff
                                        ; implicit-def: $vgpr103
; %bb.793:                              ;   in Loop: Header=BB6_771 Depth=2
	s_and_not1_saveexec_b32 s22, s22
; %bb.794:                              ;   in Loop: Header=BB6_771 Depth=2
	v_and_b32_e32 v102, 0xffff, v103
	v_or_b32_e32 v112, 0x10000, v103
	s_delay_alu instid0(VALU_DEP_2) | instskip(NEXT) | instid1(VALU_DEP_2)
	v_cmp_eq_u32_e32 vcc_lo, 0, v102
	v_cndmask_b32_e32 v102, v112, v103, vcc_lo
; %bb.795:                              ;   in Loop: Header=BB6_771 Depth=2
	s_or_b32 exec_lo, exec_lo, s22
	flat_load_u16 v103, v[10:11] offset:384 th:TH_LOAD_NT
	s_wait_loadcnt_dscnt 0x0
	v_lshlrev_b32_e32 v103, 16, v103
	s_delay_alu instid0(VALU_DEP_1) | instskip(NEXT) | instid1(VALU_DEP_1)
	v_mul_f32_e32 v112, v83, v103
	v_and_b32_e32 v103, 0x7f800000, v112
	s_delay_alu instid0(VALU_DEP_1) | instskip(SKIP_2) | instid1(SALU_CYCLE_1)
	v_cmp_ne_u32_e32 vcc_lo, 0x7f800000, v103
                                        ; implicit-def: $vgpr103
	s_wait_xcnt 0x0
	s_and_saveexec_b32 s22, vcc_lo
	s_xor_b32 s22, exec_lo, s22
; %bb.796:                              ;   in Loop: Header=BB6_771 Depth=2
	v_bfe_u32 v103, v112, 16, 1
	s_delay_alu instid0(VALU_DEP_1)
	v_add3_u32 v103, v112, v103, 0x7fff
                                        ; implicit-def: $vgpr112
; %bb.797:                              ;   in Loop: Header=BB6_771 Depth=2
	s_and_not1_saveexec_b32 s22, s22
; %bb.798:                              ;   in Loop: Header=BB6_771 Depth=2
	v_and_b32_e32 v103, 0xffff, v112
	v_or_b32_e32 v113, 0x10000, v112
	s_delay_alu instid0(VALU_DEP_2) | instskip(NEXT) | instid1(VALU_DEP_2)
	v_cmp_eq_u32_e32 vcc_lo, 0, v103
	v_cndmask_b32_e32 v103, v113, v112, vcc_lo
; %bb.799:                              ;   in Loop: Header=BB6_771 Depth=2
	s_or_b32 exec_lo, exec_lo, s22
	flat_load_u16 v112, v[10:11] offset:448 th:TH_LOAD_NT
	s_wait_loadcnt_dscnt 0x0
	v_lshlrev_b32_e32 v112, 16, v112
	s_delay_alu instid0(VALU_DEP_1) | instskip(NEXT) | instid1(VALU_DEP_1)
	v_mul_f32_e32 v113, v83, v112
	v_and_b32_e32 v112, 0x7f800000, v113
	s_delay_alu instid0(VALU_DEP_1) | instskip(SKIP_2) | instid1(SALU_CYCLE_1)
	v_cmp_ne_u32_e32 vcc_lo, 0x7f800000, v112
                                        ; implicit-def: $vgpr112
	s_wait_xcnt 0x0
	s_and_saveexec_b32 s22, vcc_lo
	s_xor_b32 s22, exec_lo, s22
; %bb.800:                              ;   in Loop: Header=BB6_771 Depth=2
	v_bfe_u32 v112, v113, 16, 1
	s_delay_alu instid0(VALU_DEP_1)
	v_add3_u32 v112, v113, v112, 0x7fff
                                        ; implicit-def: $vgpr113
; %bb.801:                              ;   in Loop: Header=BB6_771 Depth=2
	s_and_not1_saveexec_b32 s22, s22
; %bb.802:                              ;   in Loop: Header=BB6_771 Depth=2
	v_and_b32_e32 v112, 0xffff, v113
	v_or_b32_e32 v114, 0x10000, v113
	s_delay_alu instid0(VALU_DEP_2) | instskip(NEXT) | instid1(VALU_DEP_2)
	v_cmp_eq_u32_e32 vcc_lo, 0, v112
	v_cndmask_b32_e32 v112, v114, v113, vcc_lo
; %bb.803:                              ;   in Loop: Header=BB6_771 Depth=2
	s_or_b32 exec_lo, exec_lo, s22
	s_clause 0x7
	flat_load_u16 v118, v[12:13] offset:128 th:TH_LOAD_NT
	flat_load_u16 v117, v[12:13] offset:192 th:TH_LOAD_NT
	;; [unrolled: 1-line block ×6, first 2 shown]
	flat_load_u16 v40, v[12:13] th:TH_LOAD_NT
	flat_load_u16 v119, v[12:13] offset:64 th:TH_LOAD_NT
	v_and_b32_e32 v84, 0xffff0000, v84
	s_wait_loadcnt_dscnt 0x101
	v_lshlrev_b32_e32 v40, 16, v40
	s_delay_alu instid0(VALU_DEP_1) | instskip(NEXT) | instid1(VALU_DEP_1)
	v_add_f32_e32 v40, v84, v40
	v_and_b32_e32 v84, 0x7f800000, v40
	s_delay_alu instid0(VALU_DEP_1) | instskip(SKIP_2) | instid1(SALU_CYCLE_1)
	v_cmp_ne_u32_e32 vcc_lo, 0x7f800000, v84
                                        ; implicit-def: $vgpr84
	s_wait_xcnt 0x0
	s_and_saveexec_b32 s22, vcc_lo
	s_xor_b32 s22, exec_lo, s22
; %bb.804:                              ;   in Loop: Header=BB6_771 Depth=2
	v_bfe_u32 v84, v40, 16, 1
	s_delay_alu instid0(VALU_DEP_1)
	v_add3_u32 v84, v40, v84, 0x7fff
                                        ; implicit-def: $vgpr40
; %bb.805:                              ;   in Loop: Header=BB6_771 Depth=2
	s_and_not1_saveexec_b32 s22, s22
; %bb.806:                              ;   in Loop: Header=BB6_771 Depth=2
	v_and_b32_e32 v84, 0xffff, v40
	v_or_b32_e32 v41, 0x10000, v40
	s_delay_alu instid0(VALU_DEP_2) | instskip(NEXT) | instid1(VALU_DEP_2)
	v_cmp_eq_u32_e32 vcc_lo, 0, v84
	v_cndmask_b32_e32 v84, v41, v40, vcc_lo
; %bb.807:                              ;   in Loop: Header=BB6_771 Depth=2
	s_or_b32 exec_lo, exec_lo, s22
	v_and_b32_e32 v85, 0xffff0000, v85
	s_wait_loadcnt_dscnt 0x0
	v_lshlrev_b32_e32 v119, 16, v119
	s_delay_alu instid0(VALU_DEP_1) | instskip(NEXT) | instid1(VALU_DEP_1)
	v_add_f32_e32 v119, v85, v119
	v_and_b32_e32 v85, 0x7f800000, v119
	s_delay_alu instid0(VALU_DEP_1) | instskip(SKIP_1) | instid1(SALU_CYCLE_1)
	v_cmp_ne_u32_e32 vcc_lo, 0x7f800000, v85
                                        ; implicit-def: $vgpr85
	s_and_saveexec_b32 s22, vcc_lo
	s_xor_b32 s22, exec_lo, s22
; %bb.808:                              ;   in Loop: Header=BB6_771 Depth=2
	v_bfe_u32 v85, v119, 16, 1
	s_delay_alu instid0(VALU_DEP_1)
	v_add3_u32 v85, v119, v85, 0x7fff
                                        ; implicit-def: $vgpr119
; %bb.809:                              ;   in Loop: Header=BB6_771 Depth=2
	s_and_not1_saveexec_b32 s22, s22
; %bb.810:                              ;   in Loop: Header=BB6_771 Depth=2
	v_and_b32_e32 v85, 0xffff, v119
	v_or_b32_e32 v40, 0x10000, v119
	s_delay_alu instid0(VALU_DEP_2) | instskip(NEXT) | instid1(VALU_DEP_2)
	v_cmp_eq_u32_e32 vcc_lo, 0, v85
	v_cndmask_b32_e32 v85, v40, v119, vcc_lo
; %bb.811:                              ;   in Loop: Header=BB6_771 Depth=2
	s_or_b32 exec_lo, exec_lo, s22
	v_and_b32_e32 v99, 0xffff0000, v99
	v_lshlrev_b32_e32 v118, 16, v118
	s_delay_alu instid0(VALU_DEP_1) | instskip(NEXT) | instid1(VALU_DEP_1)
	v_add_f32_e32 v118, v99, v118
	v_and_b32_e32 v99, 0x7f800000, v118
	s_delay_alu instid0(VALU_DEP_1) | instskip(SKIP_1) | instid1(SALU_CYCLE_1)
	v_cmp_ne_u32_e32 vcc_lo, 0x7f800000, v99
                                        ; implicit-def: $vgpr99
	s_and_saveexec_b32 s22, vcc_lo
	s_xor_b32 s22, exec_lo, s22
; %bb.812:                              ;   in Loop: Header=BB6_771 Depth=2
	v_bfe_u32 v99, v118, 16, 1
	s_delay_alu instid0(VALU_DEP_1)
	v_add3_u32 v99, v118, v99, 0x7fff
                                        ; implicit-def: $vgpr118
; %bb.813:                              ;   in Loop: Header=BB6_771 Depth=2
	s_and_not1_saveexec_b32 s22, s22
; %bb.814:                              ;   in Loop: Header=BB6_771 Depth=2
	v_and_b32_e32 v99, 0xffff, v118
	v_or_b32_e32 v119, 0x10000, v118
	s_delay_alu instid0(VALU_DEP_2) | instskip(NEXT) | instid1(VALU_DEP_2)
	v_cmp_eq_u32_e32 vcc_lo, 0, v99
	v_cndmask_b32_e32 v99, v119, v118, vcc_lo
; %bb.815:                              ;   in Loop: Header=BB6_771 Depth=2
	s_or_b32 exec_lo, exec_lo, s22
	v_and_b32_e32 v100, 0xffff0000, v100
	v_lshlrev_b32_e32 v117, 16, v117
	s_delay_alu instid0(VALU_DEP_1) | instskip(NEXT) | instid1(VALU_DEP_1)
	v_add_f32_e32 v117, v100, v117
	v_and_b32_e32 v100, 0x7f800000, v117
	s_delay_alu instid0(VALU_DEP_1) | instskip(SKIP_1) | instid1(SALU_CYCLE_1)
	v_cmp_ne_u32_e32 vcc_lo, 0x7f800000, v100
                                        ; implicit-def: $vgpr100
	s_and_saveexec_b32 s22, vcc_lo
	s_xor_b32 s22, exec_lo, s22
; %bb.816:                              ;   in Loop: Header=BB6_771 Depth=2
	v_bfe_u32 v100, v117, 16, 1
	s_delay_alu instid0(VALU_DEP_1)
	v_add3_u32 v100, v117, v100, 0x7fff
                                        ; implicit-def: $vgpr117
; %bb.817:                              ;   in Loop: Header=BB6_771 Depth=2
	s_and_not1_saveexec_b32 s22, s22
; %bb.818:                              ;   in Loop: Header=BB6_771 Depth=2
	v_and_b32_e32 v100, 0xffff, v117
	v_or_b32_e32 v118, 0x10000, v117
	s_delay_alu instid0(VALU_DEP_2) | instskip(NEXT) | instid1(VALU_DEP_2)
	v_cmp_eq_u32_e32 vcc_lo, 0, v100
	v_cndmask_b32_e32 v100, v118, v117, vcc_lo
; %bb.819:                              ;   in Loop: Header=BB6_771 Depth=2
	s_or_b32 exec_lo, exec_lo, s22
	v_and_b32_e32 v101, 0xffff0000, v101
	v_lshlrev_b32_e32 v116, 16, v116
	s_delay_alu instid0(VALU_DEP_1) | instskip(NEXT) | instid1(VALU_DEP_1)
	v_add_f32_e32 v116, v101, v116
	v_and_b32_e32 v101, 0x7f800000, v116
	s_delay_alu instid0(VALU_DEP_1) | instskip(SKIP_1) | instid1(SALU_CYCLE_1)
	v_cmp_ne_u32_e32 vcc_lo, 0x7f800000, v101
                                        ; implicit-def: $vgpr101
	s_and_saveexec_b32 s22, vcc_lo
	s_xor_b32 s22, exec_lo, s22
; %bb.820:                              ;   in Loop: Header=BB6_771 Depth=2
	v_bfe_u32 v101, v116, 16, 1
	s_delay_alu instid0(VALU_DEP_1)
	v_add3_u32 v101, v116, v101, 0x7fff
                                        ; implicit-def: $vgpr116
; %bb.821:                              ;   in Loop: Header=BB6_771 Depth=2
	s_and_not1_saveexec_b32 s22, s22
; %bb.822:                              ;   in Loop: Header=BB6_771 Depth=2
	v_and_b32_e32 v101, 0xffff, v116
	v_or_b32_e32 v117, 0x10000, v116
	s_delay_alu instid0(VALU_DEP_2) | instskip(NEXT) | instid1(VALU_DEP_2)
	v_cmp_eq_u32_e32 vcc_lo, 0, v101
	v_cndmask_b32_e32 v101, v117, v116, vcc_lo
; %bb.823:                              ;   in Loop: Header=BB6_771 Depth=2
	s_or_b32 exec_lo, exec_lo, s22
	v_and_b32_e32 v102, 0xffff0000, v102
	v_lshlrev_b32_e32 v115, 16, v115
	s_delay_alu instid0(VALU_DEP_1) | instskip(NEXT) | instid1(VALU_DEP_1)
	v_add_f32_e32 v115, v102, v115
	v_and_b32_e32 v102, 0x7f800000, v115
	s_delay_alu instid0(VALU_DEP_1) | instskip(SKIP_1) | instid1(SALU_CYCLE_1)
	v_cmp_ne_u32_e32 vcc_lo, 0x7f800000, v102
                                        ; implicit-def: $vgpr102
	s_and_saveexec_b32 s22, vcc_lo
	s_xor_b32 s22, exec_lo, s22
; %bb.824:                              ;   in Loop: Header=BB6_771 Depth=2
	v_bfe_u32 v102, v115, 16, 1
	s_delay_alu instid0(VALU_DEP_1)
	v_add3_u32 v102, v115, v102, 0x7fff
                                        ; implicit-def: $vgpr115
; %bb.825:                              ;   in Loop: Header=BB6_771 Depth=2
	s_and_not1_saveexec_b32 s22, s22
; %bb.826:                              ;   in Loop: Header=BB6_771 Depth=2
	v_and_b32_e32 v102, 0xffff, v115
	v_or_b32_e32 v116, 0x10000, v115
	s_delay_alu instid0(VALU_DEP_2) | instskip(NEXT) | instid1(VALU_DEP_2)
	v_cmp_eq_u32_e32 vcc_lo, 0, v102
	v_cndmask_b32_e32 v102, v116, v115, vcc_lo
; %bb.827:                              ;   in Loop: Header=BB6_771 Depth=2
	s_or_b32 exec_lo, exec_lo, s22
	v_and_b32_e32 v103, 0xffff0000, v103
	v_lshlrev_b32_e32 v114, 16, v114
	s_delay_alu instid0(VALU_DEP_1) | instskip(NEXT) | instid1(VALU_DEP_1)
	v_add_f32_e32 v114, v103, v114
	v_and_b32_e32 v103, 0x7f800000, v114
	s_delay_alu instid0(VALU_DEP_1) | instskip(SKIP_1) | instid1(SALU_CYCLE_1)
	v_cmp_ne_u32_e32 vcc_lo, 0x7f800000, v103
                                        ; implicit-def: $vgpr103
	s_and_saveexec_b32 s22, vcc_lo
	s_xor_b32 s22, exec_lo, s22
; %bb.828:                              ;   in Loop: Header=BB6_771 Depth=2
	v_bfe_u32 v103, v114, 16, 1
	s_delay_alu instid0(VALU_DEP_1)
	v_add3_u32 v103, v114, v103, 0x7fff
                                        ; implicit-def: $vgpr114
; %bb.829:                              ;   in Loop: Header=BB6_771 Depth=2
	s_and_not1_saveexec_b32 s22, s22
; %bb.830:                              ;   in Loop: Header=BB6_771 Depth=2
	v_and_b32_e32 v103, 0xffff, v114
	v_or_b32_e32 v115, 0x10000, v114
	s_delay_alu instid0(VALU_DEP_2) | instskip(NEXT) | instid1(VALU_DEP_2)
	v_cmp_eq_u32_e32 vcc_lo, 0, v103
	v_cndmask_b32_e32 v103, v115, v114, vcc_lo
; %bb.831:                              ;   in Loop: Header=BB6_771 Depth=2
	s_or_b32 exec_lo, exec_lo, s22
	v_and_b32_e32 v112, 0xffff0000, v112
	v_lshlrev_b32_e32 v113, 16, v113
	s_delay_alu instid0(VALU_DEP_1) | instskip(NEXT) | instid1(VALU_DEP_1)
	v_add_f32_e32 v113, v112, v113
	v_and_b32_e32 v112, 0x7f800000, v113
	s_delay_alu instid0(VALU_DEP_1) | instskip(SKIP_1) | instid1(SALU_CYCLE_1)
	v_cmp_ne_u32_e32 vcc_lo, 0x7f800000, v112
                                        ; implicit-def: $vgpr112
	s_and_saveexec_b32 s22, vcc_lo
	s_xor_b32 s22, exec_lo, s22
; %bb.832:                              ;   in Loop: Header=BB6_771 Depth=2
	v_bfe_u32 v112, v113, 16, 1
	s_delay_alu instid0(VALU_DEP_1)
	v_add3_u32 v112, v113, v112, 0x7fff
                                        ; implicit-def: $vgpr113
; %bb.833:                              ;   in Loop: Header=BB6_771 Depth=2
	s_and_not1_saveexec_b32 s22, s22
	s_cbranch_execz .LBB6_770
; %bb.834:                              ;   in Loop: Header=BB6_771 Depth=2
	v_and_b32_e32 v112, 0xffff, v113
	v_or_b32_e32 v114, 0x10000, v113
	s_delay_alu instid0(VALU_DEP_2) | instskip(NEXT) | instid1(VALU_DEP_2)
	v_cmp_eq_u32_e32 vcc_lo, 0, v112
	v_cndmask_b32_e32 v112, v114, v113, vcc_lo
	s_branch .LBB6_770
.LBB6_835:                              ;   in Loop: Header=BB6_493 Depth=1
	s_or_b32 exec_lo, exec_lo, s21
.LBB6_836:                              ;   in Loop: Header=BB6_493 Depth=1
	s_delay_alu instid0(SALU_CYCLE_1) | instskip(SKIP_1) | instid1(VALU_DEP_1)
	s_or_b32 exec_lo, exec_lo, s20
	v_lshlrev_b32_e32 v10, 9, v82
	v_cmp_ne_u32_e32 vcc_lo, v97, v10
	s_and_b32 exec_lo, exec_lo, vcc_lo
	s_cbranch_execz .LBB6_848
; %bb.837:                              ;   in Loop: Header=BB6_493 Depth=1
	v_dual_lshlrev_b32 v11, 5, v80 :: v_dual_lshlrev_b32 v12, 5, v81
	s_delay_alu instid0(VALU_DEP_1) | instskip(NEXT) | instid1(VALU_DEP_1)
	v_sub_nc_u32_e32 v11, v17, v11
	v_sub_nc_u32_e32 v11, v11, v12
	s_delay_alu instid0(VALU_DEP_1) | instskip(NEXT) | instid1(VALU_DEP_1)
	v_ashrrev_i32_e32 v12, 31, v11
	v_lshrrev_b32_e32 v12, 27, v12
	s_delay_alu instid0(VALU_DEP_1) | instskip(NEXT) | instid1(VALU_DEP_1)
	v_add_nc_u32_e32 v12, v11, v12
	v_and_b32_e32 v13, 0x7fffffe0, v12
	s_delay_alu instid0(VALU_DEP_1) | instskip(NEXT) | instid1(VALU_DEP_1)
	v_dual_lshlrev_b32 v12, 1, v12 :: v_dual_sub_nc_u32 v11, v11, v13
	v_and_b32_e32 v12, 0xffffffc0, v12
	s_delay_alu instid0(VALU_DEP_2) | instskip(NEXT) | instid1(VALU_DEP_1)
	v_lshlrev_b32_e32 v11, 1, v11
	v_add3_u32 v10, v12, v11, v10
	s_delay_alu instid0(VALU_DEP_1) | instskip(NEXT) | instid1(VALU_DEP_1)
	v_sub_nc_u32_e32 v17, v97, v10
	v_cmp_lt_i32_e32 vcc_lo, 1, v17
	s_and_b32 exec_lo, exec_lo, vcc_lo
	s_cbranch_execz .LBB6_848
; %bb.838:                              ;   in Loop: Header=BB6_493 Depth=1
	s_trap 2
	ds_load_b64 v[12:13], v0
	ds_load_b32 v80, v0
	v_add_nc_u32_e32 v14, v10, v16
	s_mov_b32 s20, 0
	s_wait_dscnt 0x0
	s_delay_alu instid0(VALU_DEP_1) | instskip(NEXT) | instid1(VALU_DEP_1)
	v_dual_ashrrev_i32 v15, 31, v14 :: v_dual_lshlrev_b32 v16, 16, v80
	v_add_nc_u64_e32 v[10:11], v[14:15], v[68:69]
	v_add_nc_u64_e32 v[12:13], v[12:13], v[14:15]
	;; [unrolled: 1-line block ×3, first 2 shown]
	s_branch .LBB6_840
.LBB6_839:                              ;   in Loop: Header=BB6_840 Depth=2
	s_or_b32 exec_lo, exec_lo, s21
	v_sub_nc_u32_e32 v17, v17, v54
	flat_store_d16_hi_b16 v[14:15], v68 th:TH_STORE_NT
	v_add_nc_u64_e32 v[10:11], v[10:11], v[54:55]
	v_add_nc_u64_e32 v[12:13], v[12:13], v[54:55]
	s_wait_xcnt 0x0
	v_add_nc_u64_e32 v[14:15], v[14:15], v[54:55]
	v_cmp_gt_i32_e32 vcc_lo, 2, v17
	s_or_b32 s20, vcc_lo, s20
	s_delay_alu instid0(SALU_CYCLE_1)
	s_and_not1_b32 exec_lo, exec_lo, s20
	s_cbranch_execz .LBB6_848
.LBB6_840:                              ;   Parent Loop BB6_493 Depth=1
                                        ; =>  This Inner Loop Header: Depth=2
	flat_load_u16 v68, v[10:11] th:TH_LOAD_NT
	s_wait_loadcnt_dscnt 0x0
	v_lshlrev_b32_e32 v68, 16, v68
	s_delay_alu instid0(VALU_DEP_1) | instskip(NEXT) | instid1(VALU_DEP_1)
	v_mul_f32_e32 v68, v16, v68
	v_and_b32_e32 v69, 0x7f800000, v68
	s_delay_alu instid0(VALU_DEP_1) | instskip(SKIP_2) | instid1(SALU_CYCLE_1)
	v_cmp_ne_u32_e32 vcc_lo, 0x7f800000, v69
                                        ; implicit-def: $vgpr69
	s_wait_xcnt 0x0
	s_and_saveexec_b32 s21, vcc_lo
	s_xor_b32 s21, exec_lo, s21
; %bb.841:                              ;   in Loop: Header=BB6_840 Depth=2
	v_bfe_u32 v69, v68, 16, 1
	s_delay_alu instid0(VALU_DEP_1)
	v_add3_u32 v69, v68, v69, 0x7fff
                                        ; implicit-def: $vgpr68
; %bb.842:                              ;   in Loop: Header=BB6_840 Depth=2
	s_and_not1_saveexec_b32 s21, s21
; %bb.843:                              ;   in Loop: Header=BB6_840 Depth=2
	v_and_b32_e32 v69, 0xffff, v68
	v_or_b32_e32 v70, 0x10000, v68
	s_delay_alu instid0(VALU_DEP_2) | instskip(NEXT) | instid1(VALU_DEP_2)
	v_cmp_eq_u32_e32 vcc_lo, 0, v69
	v_cndmask_b32_e32 v69, v70, v68, vcc_lo
; %bb.844:                              ;   in Loop: Header=BB6_840 Depth=2
	s_or_b32 exec_lo, exec_lo, s21
	flat_load_u16 v68, v[12:13] th:TH_LOAD_NT
	v_and_b32_e32 v69, 0xffff0000, v69
	s_wait_loadcnt_dscnt 0x0
	v_lshlrev_b32_e32 v68, 16, v68
	s_delay_alu instid0(VALU_DEP_1) | instskip(NEXT) | instid1(VALU_DEP_1)
	v_add_f32_e32 v69, v69, v68
	v_and_b32_e32 v68, 0x7f800000, v69
	s_delay_alu instid0(VALU_DEP_1) | instskip(SKIP_2) | instid1(SALU_CYCLE_1)
	v_cmp_ne_u32_e32 vcc_lo, 0x7f800000, v68
                                        ; implicit-def: $vgpr68
	s_wait_xcnt 0x0
	s_and_saveexec_b32 s21, vcc_lo
	s_xor_b32 s21, exec_lo, s21
; %bb.845:                              ;   in Loop: Header=BB6_840 Depth=2
	v_bfe_u32 v68, v69, 16, 1
	s_delay_alu instid0(VALU_DEP_1)
	v_add3_u32 v68, v69, v68, 0x7fff
                                        ; implicit-def: $vgpr69
; %bb.846:                              ;   in Loop: Header=BB6_840 Depth=2
	s_and_not1_saveexec_b32 s21, s21
	s_cbranch_execz .LBB6_839
; %bb.847:                              ;   in Loop: Header=BB6_840 Depth=2
	v_and_b32_e32 v68, 0xffff, v69
	v_or_b32_e32 v70, 0x10000, v69
	s_delay_alu instid0(VALU_DEP_2) | instskip(NEXT) | instid1(VALU_DEP_2)
	v_cmp_eq_u32_e32 vcc_lo, 0, v68
	v_cndmask_b32_e32 v68, v70, v69, vcc_lo
	s_branch .LBB6_839
.LBB6_848:                              ;   in Loop: Header=BB6_493 Depth=1
	s_or_b32 exec_lo, exec_lo, s7
	v_cmp_ne_u32_e64 s7, 0, v36
	s_and_saveexec_b32 s20, s2
	s_cbranch_execz .LBB6_867
.LBB6_849:                              ;   in Loop: Header=BB6_493 Depth=1
	s_and_saveexec_b32 s21, s3
	s_delay_alu instid0(SALU_CYCLE_1)
	s_xor_b32 s21, exec_lo, s21
	s_cbranch_execz .LBB6_864
; %bb.850:                              ;   in Loop: Header=BB6_493 Depth=1
	s_and_saveexec_b32 s22, s4
	s_cbranch_execz .LBB6_863
; %bb.851:                              ;   in Loop: Header=BB6_493 Depth=1
	s_mov_b32 s24, exec_lo
	s_mov_b32 s23, exec_lo
	v_mbcnt_lo_u32_b32 v10, s24, 0
	global_wb scope:SCOPE_DEV
	s_wait_storecnt 0x0
	s_wait_loadcnt_dscnt 0x0
	global_inv scope:SCOPE_DEV
	v_cmpx_eq_u32_e32 0, v10
	s_cbranch_execz .LBB6_853
; %bb.852:                              ;   in Loop: Header=BB6_493 Depth=1
	s_bcnt1_i32_b32 s24, s24
	s_delay_alu instid0(SALU_CYCLE_1)
	v_mov_b32_e32 v36, s24
	s_wait_loadcnt 0x0
	ds_add_u64 v0, v[36:37]
	s_trap 2
.LBB6_853:                              ;   in Loop: Header=BB6_493 Depth=1
	s_or_b32 exec_lo, exec_lo, s23
	s_trap 2
	ds_load_b64 v[10:11], v0
	s_wait_dscnt 0x0
	v_add_nc_u64_e32 v[28:29], v[28:29], v[38:39]
	s_mov_b32 s23, exec_lo
	s_delay_alu instid0(VALU_DEP_1)
	v_cmpx_lt_u64_e64 v[10:11], v[28:29]
	s_cbranch_execz .LBB6_862
; %bb.854:                              ;   in Loop: Header=BB6_493 Depth=1
	s_mov_b32 s24, 0
	s_mov_b32 s27, 0
                                        ; implicit-def: $sgpr25
                                        ; implicit-def: $sgpr26
	s_branch .LBB6_856
.LBB6_855:                              ;   in Loop: Header=BB6_856 Depth=2
	s_or_b32 exec_lo, exec_lo, s29
	s_delay_alu instid0(SALU_CYCLE_1) | instskip(NEXT) | instid1(SALU_CYCLE_1)
	s_and_b32 s28, exec_lo, s40
	s_or_b32 s24, s28, s24
	s_and_not1_b32 s25, s25, exec_lo
	s_and_b32 s28, s26, exec_lo
	s_delay_alu instid0(SALU_CYCLE_1)
	s_or_b32 s25, s25, s28
	s_and_not1_b32 exec_lo, exec_lo, s24
	s_cbranch_execz .LBB6_860
.LBB6_856:                              ;   Parent Loop BB6_493 Depth=1
                                        ; =>  This Inner Loop Header: Depth=2
	s_add_co_i32 s27, s27, 1
	s_delay_alu instid0(SALU_CYCLE_1) | instskip(SKIP_1) | instid1(SALU_CYCLE_1)
	s_cmp_lg_u32 s27, 0x2710
	s_cselect_b32 s28, -1, 0
	s_and_b32 vcc_lo, exec_lo, s28
	s_cbranch_vccz .LBB6_858
; %bb.857:                              ;   in Loop: Header=BB6_856 Depth=2
	s_mov_b32 s40, -1
	s_or_b32 s26, s26, exec_lo
	s_and_saveexec_b32 s29, s28
	s_cbranch_execz .LBB6_855
	s_branch .LBB6_859
.LBB6_858:                              ;   in Loop: Header=BB6_856 Depth=2
	s_trap 2
	ds_load_b64 v[10:11], v0
	s_and_not1_b32 s28, s28, exec_lo
	s_mov_b32 s27, 0
	s_wait_loadcnt_dscnt 0x0
	flat_load_b32 v10, v[10:11] scope:SCOPE_SYS
	s_wait_loadcnt_dscnt 0x0
	global_inv scope:SCOPE_SYS
	v_cmp_eq_u32_e32 vcc_lo, 0, v10
	s_and_b32 s29, vcc_lo, exec_lo
	s_delay_alu instid0(SALU_CYCLE_1)
	s_or_b32 s28, s28, s29
	s_mov_b32 s40, -1
	s_or_b32 s26, s26, exec_lo
	s_and_saveexec_b32 s29, s28
	s_cbranch_execz .LBB6_855
.LBB6_859:                              ;   in Loop: Header=BB6_856 Depth=2
	s_sleep 1
	s_trap 2
	ds_load_b64 v[10:11], v0
	s_wait_dscnt 0x0
	s_and_not1_b32 s26, s26, exec_lo
	v_cmp_ge_u64_e32 vcc_lo, v[10:11], v[28:29]
	s_or_not1_b32 s40, vcc_lo, exec_lo
	s_branch .LBB6_855
.LBB6_860:                              ;   in Loop: Header=BB6_493 Depth=1
	s_or_b32 exec_lo, exec_lo, s24
	s_and_saveexec_b32 s24, s25
	s_delay_alu instid0(SALU_CYCLE_1)
	s_xor_b32 s24, exec_lo, s24
	s_cbranch_execz .LBB6_862
; %bb.861:                              ;   in Loop: Header=BB6_493 Depth=1
	ds_store_b32 v0, v96
	s_trap 2
.LBB6_862:                              ;   in Loop: Header=BB6_493 Depth=1
	s_or_b32 exec_lo, exec_lo, s23
	;;#ASMSTART
	s_wakeup
	;;#ASMEND
.LBB6_863:                              ;   in Loop: Header=BB6_493 Depth=1
	s_or_b32 exec_lo, exec_lo, s22
.LBB6_864:                              ;   in Loop: Header=BB6_493 Depth=1
	s_and_not1_saveexec_b32 s21, s21
	s_cbranch_execz .LBB6_866
; %bb.865:                              ;   in Loop: Header=BB6_493 Depth=1
	global_wb scope:SCOPE_DEV
	s_wait_storecnt 0x0
	s_wait_loadcnt_dscnt 0x0
	global_inv scope:SCOPE_DEV
	s_barrier_signal -1
	s_barrier_wait -1
.LBB6_866:                              ;   in Loop: Header=BB6_493 Depth=1
	s_or_b32 exec_lo, exec_lo, s21
.LBB6_867:                              ;   in Loop: Header=BB6_493 Depth=1
	s_delay_alu instid0(SALU_CYCLE_1) | instskip(SKIP_1) | instid1(VALU_DEP_1)
	s_or_b32 exec_lo, exec_lo, s20
	v_and_b32_e32 v10, 16, v30
	v_cmp_ne_u32_e32 vcc_lo, 0, v10
	s_and_b32 s20, vcc_lo, s7
	s_delay_alu instid0(SALU_CYCLE_1)
	s_and_saveexec_b32 s7, s20
	s_cbranch_execz .LBB6_869
; %bb.868:                              ;   in Loop: Header=BB6_493 Depth=1
	global_wb scope:SCOPE_SYS
	s_wait_storecnt 0x0
	s_wait_loadcnt_dscnt 0x0
	global_inv scope:SCOPE_SYS
.LBB6_869:                              ;   in Loop: Header=BB6_493 Depth=1
	s_or_b32 exec_lo, exec_lo, s7
	v_and_b32_e32 v10, 32, v30
	s_mov_b32 s7, exec_lo
	s_delay_alu instid0(VALU_DEP_1)
	v_cmpx_ne_u32_e32 0, v10
	s_cbranch_execz .LBB6_871
; %bb.870:                              ;   in Loop: Header=BB6_493 Depth=1
	v_add_nc_u64_e32 v[8:9], 1, v[8:9]
	global_wb scope:SCOPE_SYS
	s_wait_storecnt 0x0
	s_wait_loadcnt_dscnt 0x0
	flat_store_b64 v[22:23], v[8:9] scope:SCOPE_SYS
.LBB6_871:                              ;   in Loop: Header=BB6_493 Depth=1
	s_wait_xcnt 0x0
	s_or_b32 exec_lo, exec_lo, s7
	v_mov_b32_e32 v14, v67
.LBB6_872:                              ;   in Loop: Header=BB6_493 Depth=1
	s_or_b32 exec_lo, exec_lo, s19
	s_and_saveexec_b32 s19, s18
	s_cbranch_execz .LBB6_492
; %bb.873:                              ;   in Loop: Header=BB6_493 Depth=1
	v_and_b32_e32 v10, 4, v30
	s_mov_b32 s18, exec_lo
	s_delay_alu instid0(VALU_DEP_1)
	v_cmpx_ne_u32_e32 0, v10
	s_cbranch_execz .LBB6_895
; %bb.874:                              ;   in Loop: Header=BB6_493 Depth=1
	v_add_nc_u64_e32 v[10:11], 1, v[8:9]
	s_mov_b32 s20, exec_lo
	s_wait_loadcnt 0x0
	s_delay_alu instid0(VALU_DEP_1)
	v_cmpx_lt_u64_e64 v[32:33], v[10:11]
	s_cbranch_execz .LBB6_886
; %bb.875:                              ;   in Loop: Header=BB6_493 Depth=1
	v_and_b32_e32 v9, 64, v30
	s_mov_b32 s21, 0
	s_mov_b32 s25, 0
                                        ; implicit-def: $sgpr22
                                        ; implicit-def: $sgpr23
                                        ; implicit-def: $sgpr24
	s_delay_alu instid0(VALU_DEP_1)
	v_cmp_eq_u32_e32 vcc_lo, 0, v9
	s_branch .LBB6_879
.LBB6_876:                              ;   in Loop: Header=BB6_879 Depth=2
	s_wait_loadcnt_dscnt 0x0
	v_cmp_ge_u64_e64 s7, v[32:33], v[10:11]
	s_or_b32 s28, s28, exec_lo
	s_or_not1_b32 s27, s7, exec_lo
.LBB6_877:                              ;   in Loop: Header=BB6_879 Depth=2
	s_or_b32 exec_lo, exec_lo, s40
	s_delay_alu instid0(SALU_CYCLE_1)
	s_and_not1_b32 s7, s24, exec_lo
	s_and_b32 s24, s28, exec_lo
	s_and_not1_b32 s23, s23, exec_lo
	s_and_b32 s27, s27, exec_lo
	s_or_b32 s24, s7, s24
	s_or_b32 s23, s23, s27
.LBB6_878:                              ;   in Loop: Header=BB6_879 Depth=2
	s_or_b32 exec_lo, exec_lo, s26
	s_delay_alu instid0(SALU_CYCLE_1) | instskip(NEXT) | instid1(SALU_CYCLE_1)
	s_and_b32 s7, exec_lo, s23
	s_or_b32 s21, s7, s21
	s_and_not1_b32 s7, s22, exec_lo
	s_and_b32 s22, s24, exec_lo
	s_delay_alu instid0(SALU_CYCLE_1)
	s_or_b32 s22, s7, s22
	s_and_not1_b32 exec_lo, exec_lo, s21
	s_cbranch_execz .LBB6_883
.LBB6_879:                              ;   Parent Loop BB6_493 Depth=1
                                        ; =>  This Inner Loop Header: Depth=2
	s_sleep 1
	s_wait_loadcnt_dscnt 0x0
	flat_load_b64 v[32:33], v[22:23] scope:SCOPE_SYS
	s_or_b32 s24, s24, exec_lo
	s_or_b32 s23, s23, exec_lo
                                        ; implicit-def: $vgpr9
	s_wait_xcnt 0x0
	s_and_saveexec_b32 s26, vcc_lo
	s_cbranch_execz .LBB6_878
; %bb.880:                              ;   in Loop: Header=BB6_879 Depth=2
	s_cmp_lt_i32 s25, 0x270f
	s_mov_b32 s27, -1
	s_cselect_b32 s29, -1, 0
	s_cmp_gt_i32 s25, 0x270e
	s_cbranch_scc0 .LBB6_882
; %bb.881:                              ;   in Loop: Header=BB6_879 Depth=2
	s_trap 2
	ds_load_b64 v[12:13], v0
	s_and_not1_b32 s25, s29, exec_lo
	s_mov_b32 s28, 0
	s_wait_storecnt 0x0
	s_wait_loadcnt_dscnt 0x0
	flat_load_b32 v9, v[12:13] scope:SCOPE_SYS
	s_wait_loadcnt_dscnt 0x0
	global_inv scope:SCOPE_SYS
	v_cmp_eq_u32_e64 s7, 0, v9
	s_and_b32 s7, s7, exec_lo
	s_delay_alu instid0(SALU_CYCLE_1)
	s_or_b32 s29, s25, s7
	s_mov_b32 s25, 0
	s_and_saveexec_b32 s40, s29
	s_cbranch_execz .LBB6_877
	s_branch .LBB6_876
.LBB6_882:                              ;   in Loop: Header=BB6_879 Depth=2
	s_add_co_i32 s25, s25, 1
	s_mov_b32 s28, -1
                                        ; implicit-def: $vgpr9
	s_and_saveexec_b32 s40, s29
	s_cbranch_execz .LBB6_877
	s_branch .LBB6_876
.LBB6_883:                              ;   in Loop: Header=BB6_493 Depth=1
	s_or_b32 exec_lo, exec_lo, s21
	s_xor_b32 s7, s22, -1
	s_delay_alu instid0(SALU_CYCLE_1) | instskip(NEXT) | instid1(SALU_CYCLE_1)
	s_and_saveexec_b32 s21, s7
	s_xor_b32 s7, exec_lo, s21
	s_cbranch_execz .LBB6_885
; %bb.884:                              ;   in Loop: Header=BB6_493 Depth=1
	v_or_b32_e32 v30, 64, v30
	s_wait_storecnt 0x0
	s_wait_loadcnt_dscnt 0x0
	ds_store_b32 v0, v9
	s_trap 2
.LBB6_885:                              ;   in Loop: Header=BB6_493 Depth=1
	s_or_b32 exec_lo, exec_lo, s7
.LBB6_886:                              ;   in Loop: Header=BB6_493 Depth=1
	s_delay_alu instid0(SALU_CYCLE_1) | instskip(SKIP_4) | instid1(VALU_DEP_2)
	s_or_b32 exec_lo, exec_lo, s20
	v_and_b32_e32 v9, 0x100, v30
	v_and_b32_e32 v36, 7, v8
	s_mov_b32 s7, -1
	;;#ASMSTART
	s_wakeup
	;;#ASMEND
	v_cmp_ne_u32_e32 vcc_lo, 0, v9
                                        ; implicit-def: $vgpr8_vgpr9
	s_and_saveexec_b32 s20, vcc_lo
	s_cbranch_execz .LBB6_890
; %bb.887:                              ;   in Loop: Header=BB6_493 Depth=1
	v_mad_nc_u64_u32 v[12:13], v36, 24, v[6:7]
	flat_load_b32 v8, v[12:13]
	s_wait_loadcnt_dscnt 0x0
	v_cmp_eq_u32_e64 s7, 1, v8
	v_cmp_ne_u32_e32 vcc_lo, 1, v8
                                        ; implicit-def: $vgpr8_vgpr9
	s_wait_xcnt 0x0
	s_and_saveexec_b32 s21, s7
	s_cbranch_execz .LBB6_889
; %bb.888:                              ;   in Loop: Header=BB6_493 Depth=1
	flat_load_b32 v8, v[12:13] offset:4 scope:SCOPE_SYS
	s_wait_loadcnt_dscnt 0x0
	v_ashrrev_i32_e32 v9, 31, v8
	s_delay_alu instid0(VALU_DEP_1)
	v_lshrrev_b64 v[8:9], 1, v[8:9]
.LBB6_889:                              ;   in Loop: Header=BB6_493 Depth=1
	s_wait_xcnt 0x0
	s_or_b32 exec_lo, exec_lo, s21
	s_delay_alu instid0(SALU_CYCLE_1)
	s_or_not1_b32 s7, vcc_lo, exec_lo
.LBB6_890:                              ;   in Loop: Header=BB6_493 Depth=1
	s_or_b32 exec_lo, exec_lo, s20
	s_and_saveexec_b32 s20, s7
; %bb.891:                              ;   in Loop: Header=BB6_493 Depth=1
	v_mul_u64_e32 v[8:9], v[36:37], v[24:25]
; %bb.892:                              ;   in Loop: Header=BB6_493 Depth=1
	s_or_b32 exec_lo, exec_lo, s20
	v_and_b32_e32 v12, 0x2000, v30
	s_delay_alu instid0(VALU_DEP_2)
	v_lshl_add_u64 v[8:9], v[8:9], 1, v[26:27]
	s_mov_b32 s7, exec_lo
	ds_store_b64 v0, v[8:9] offset:728
	v_cmpx_ne_u32_e32 0, v12
	s_cbranch_execz .LBB6_894
; %bb.893:                              ;   in Loop: Header=BB6_493 Depth=1
	ds_load_b64 v[8:9], v0 offset:872
	s_wait_dscnt 0x0
	v_add_nc_u64_e32 v[8:9], 1, v[8:9]
	ds_store_b64 v0, v[8:9] offset:872
.LBB6_894:                              ;   in Loop: Header=BB6_493 Depth=1
	s_or_b32 exec_lo, exec_lo, s7
	v_mov_b64_e32 v[8:9], v[10:11]
.LBB6_895:                              ;   in Loop: Header=BB6_493 Depth=1
	s_or_b32 exec_lo, exec_lo, s18
	s_and_saveexec_b32 s7, s2
	s_cbranch_execz .LBB6_914
; %bb.896:                              ;   in Loop: Header=BB6_493 Depth=1
	s_and_saveexec_b32 s18, s3
	s_delay_alu instid0(SALU_CYCLE_1)
	s_xor_b32 s18, exec_lo, s18
	s_cbranch_execz .LBB6_911
; %bb.897:                              ;   in Loop: Header=BB6_493 Depth=1
	s_and_saveexec_b32 s20, s4
	s_cbranch_execz .LBB6_910
; %bb.898:                              ;   in Loop: Header=BB6_493 Depth=1
	s_mov_b32 s22, exec_lo
	s_mov_b32 s21, exec_lo
	v_mbcnt_lo_u32_b32 v10, s22, 0
	global_wb scope:SCOPE_DEV
	s_wait_storecnt 0x0
	s_wait_loadcnt_dscnt 0x0
	global_inv scope:SCOPE_DEV
	v_cmpx_eq_u32_e32 0, v10
	s_cbranch_execz .LBB6_900
; %bb.899:                              ;   in Loop: Header=BB6_493 Depth=1
	s_bcnt1_i32_b32 s22, s22
	s_delay_alu instid0(SALU_CYCLE_1)
	v_mov_b32_e32 v36, s22
	s_wait_loadcnt 0x0
	ds_add_u64 v0, v[36:37]
	s_trap 2
.LBB6_900:                              ;   in Loop: Header=BB6_493 Depth=1
	s_or_b32 exec_lo, exec_lo, s21
	s_trap 2
	ds_load_b64 v[10:11], v0
	s_wait_dscnt 0x0
	v_add_nc_u64_e32 v[28:29], v[28:29], v[38:39]
	s_mov_b32 s21, exec_lo
	s_delay_alu instid0(VALU_DEP_1)
	v_cmpx_lt_u64_e64 v[10:11], v[28:29]
	s_cbranch_execz .LBB6_909
; %bb.901:                              ;   in Loop: Header=BB6_493 Depth=1
	s_mov_b32 s22, 0
	s_mov_b32 s25, 0
                                        ; implicit-def: $sgpr23
                                        ; implicit-def: $sgpr24
	s_branch .LBB6_903
.LBB6_902:                              ;   in Loop: Header=BB6_903 Depth=2
	s_or_b32 exec_lo, exec_lo, s27
	s_delay_alu instid0(SALU_CYCLE_1) | instskip(NEXT) | instid1(SALU_CYCLE_1)
	s_and_b32 s26, exec_lo, s28
	s_or_b32 s22, s26, s22
	s_and_not1_b32 s23, s23, exec_lo
	s_and_b32 s26, s24, exec_lo
	s_delay_alu instid0(SALU_CYCLE_1)
	s_or_b32 s23, s23, s26
	s_and_not1_b32 exec_lo, exec_lo, s22
	s_cbranch_execz .LBB6_907
.LBB6_903:                              ;   Parent Loop BB6_493 Depth=1
                                        ; =>  This Inner Loop Header: Depth=2
	s_add_co_i32 s25, s25, 1
	s_delay_alu instid0(SALU_CYCLE_1) | instskip(SKIP_1) | instid1(SALU_CYCLE_1)
	s_cmp_lg_u32 s25, 0x2710
	s_cselect_b32 s26, -1, 0
	s_and_b32 vcc_lo, exec_lo, s26
	s_cbranch_vccz .LBB6_905
; %bb.904:                              ;   in Loop: Header=BB6_903 Depth=2
	s_mov_b32 s28, -1
	s_or_b32 s24, s24, exec_lo
	s_and_saveexec_b32 s27, s26
	s_cbranch_execz .LBB6_902
	s_branch .LBB6_906
.LBB6_905:                              ;   in Loop: Header=BB6_903 Depth=2
	s_trap 2
	ds_load_b64 v[10:11], v0
	s_and_not1_b32 s26, s26, exec_lo
	s_mov_b32 s25, 0
	s_wait_loadcnt_dscnt 0x0
	flat_load_b32 v10, v[10:11] scope:SCOPE_SYS
	s_wait_loadcnt_dscnt 0x0
	global_inv scope:SCOPE_SYS
	v_cmp_eq_u32_e32 vcc_lo, 0, v10
	s_and_b32 s27, vcc_lo, exec_lo
	s_delay_alu instid0(SALU_CYCLE_1)
	s_or_b32 s26, s26, s27
	s_mov_b32 s28, -1
	s_or_b32 s24, s24, exec_lo
	s_and_saveexec_b32 s27, s26
	s_cbranch_execz .LBB6_902
.LBB6_906:                              ;   in Loop: Header=BB6_903 Depth=2
	s_sleep 1
	s_trap 2
	ds_load_b64 v[10:11], v0
	s_wait_dscnt 0x0
	s_and_not1_b32 s24, s24, exec_lo
	v_cmp_ge_u64_e32 vcc_lo, v[10:11], v[28:29]
	s_or_not1_b32 s28, vcc_lo, exec_lo
	s_branch .LBB6_902
.LBB6_907:                              ;   in Loop: Header=BB6_493 Depth=1
	s_or_b32 exec_lo, exec_lo, s22
	s_and_saveexec_b32 s22, s23
	s_delay_alu instid0(SALU_CYCLE_1)
	s_xor_b32 s22, exec_lo, s22
	s_cbranch_execz .LBB6_909
; %bb.908:                              ;   in Loop: Header=BB6_493 Depth=1
	ds_store_b32 v0, v96
	s_trap 2
.LBB6_909:                              ;   in Loop: Header=BB6_493 Depth=1
	s_or_b32 exec_lo, exec_lo, s21
	;;#ASMSTART
	s_wakeup
	;;#ASMEND
.LBB6_910:                              ;   in Loop: Header=BB6_493 Depth=1
	s_or_b32 exec_lo, exec_lo, s20
.LBB6_911:                              ;   in Loop: Header=BB6_493 Depth=1
	s_and_not1_saveexec_b32 s18, s18
	s_cbranch_execz .LBB6_913
; %bb.912:                              ;   in Loop: Header=BB6_493 Depth=1
	global_wb scope:SCOPE_DEV
	s_wait_storecnt 0x0
	s_wait_loadcnt_dscnt 0x0
	global_inv scope:SCOPE_DEV
	s_barrier_signal -1
	s_barrier_wait -1
.LBB6_913:                              ;   in Loop: Header=BB6_493 Depth=1
	s_or_b32 exec_lo, exec_lo, s18
.LBB6_914:                              ;   in Loop: Header=BB6_493 Depth=1
	s_delay_alu instid0(SALU_CYCLE_1) | instskip(SKIP_3) | instid1(VALU_DEP_1)
	s_or_b32 exec_lo, exec_lo, s7
	s_trap 2
	ds_load_b32 v10, v0
	v_sub_nc_u32_e32 v11, v66, v14
	v_min_i32_e32 v11, v67, v11
	s_delay_alu instid0(VALU_DEP_1) | instskip(SKIP_4) | instid1(VALU_DEP_1)
	v_cmp_lt_i32_e32 vcc_lo, 0, v11
	s_wait_dscnt 0x0
	v_readfirstlane_b32 s7, v10
	v_and_b32_e32 v10, 16, v30
	s_cmp_eq_u32 s7, 0
	v_cmp_ne_u32_e64 s7, 0, v10
	s_cselect_b32 s18, -1, 0
	s_delay_alu instid0(SALU_CYCLE_1) | instskip(NEXT) | instid1(SALU_CYCLE_1)
	s_and_b32 s18, vcc_lo, s18
	s_and_b32 s18, s7, s18
	s_delay_alu instid0(SALU_CYCLE_1)
	s_and_saveexec_b32 s7, s18
	s_cbranch_execz .LBB6_916
; %bb.915:                              ;   in Loop: Header=BB6_493 Depth=1
	global_wb scope:SCOPE_SYS
	s_wait_loadcnt 0x0
	s_wait_storecnt 0x0
	global_inv scope:SCOPE_SYS
.LBB6_916:                              ;   in Loop: Header=BB6_493 Depth=1
	s_or_b32 exec_lo, exec_lo, s7
	v_and_b32_e32 v10, 32, v30
	s_mov_b32 s7, exec_lo
	s_delay_alu instid0(VALU_DEP_1)
	v_cmpx_ne_u32_e32 0, v10
	s_cbranch_execz .LBB6_491
; %bb.917:                              ;   in Loop: Header=BB6_493 Depth=1
	v_add_nc_u64_e32 v[8:9], 1, v[8:9]
	global_wb scope:SCOPE_SYS
	s_wait_loadcnt 0x0
	s_wait_storecnt 0x0
	flat_store_b64 v[22:23], v[8:9] scope:SCOPE_SYS
	s_branch .LBB6_491
.LBB6_918:
	s_or_b32 exec_lo, exec_lo, s15
.LBB6_919:
	s_delay_alu instid0(SALU_CYCLE_1)
	s_or_b32 exec_lo, exec_lo, s14
.LBB6_920:
	s_delay_alu instid0(SALU_CYCLE_1)
	s_or_b32 exec_lo, exec_lo, s13
                                        ; implicit-def: $vgpr18_vgpr19
                                        ; implicit-def: $vgpr4_vgpr5
                                        ; implicit-def: $vgpr36_vgpr37
                                        ; implicit-def: $vgpr24
                                        ; implicit-def: $vgpr32_vgpr33
                                        ; implicit-def: $vgpr26_vgpr27
                                        ; implicit-def: $vgpr22_vgpr23
                                        ; implicit-def: $vgpr0
                                        ; implicit-def: $vgpr50
                                        ; implicit-def: $vgpr34_vgpr35
.LBB6_921:
	s_and_not1_saveexec_b32 s12, s12
	s_cbranch_execz .LBB6_1291
; %bb.922:
	s_wait_dscnt 0x0
	v_mov_b64_e32 v[28:29], 0
	s_mov_b32 s13, exec_lo
	v_cmpx_ne_u64_e32 0, v[4:5]
	s_cbranch_execz .LBB6_1290
; %bb.923:
	v_dual_ashrrev_i32 v25, 31, v24 :: v_dual_bitop2_b32 v10, 31, v31 bitop3:0x40
	v_dual_mov_b32 v15, 0 :: v_dual_bitop2_b32 v84, 31, v0 bitop3:0x40
	v_dual_lshrrev_b32 v16, 5, v1 :: v_dual_lshrrev_b32 v85, 5, v0
	v_lshlrev_b32_e32 v11, 1, v1
	s_delay_alu instid0(VALU_DEP_4) | instskip(NEXT) | instid1(VALU_DEP_4)
	v_cmp_eq_u32_e64 s4, 0, v10
	v_dual_mov_b32 v39, v15 :: v_dual_lshlrev_b32 v10, 4, v84
	s_lshr_b32 s2, s10, 27
	v_cmp_eq_u32_e32 vcc_lo, 32, v1
	v_cmp_ne_u64_e64 s7, 0, v[36:37]
	v_mov_b64_e32 v[54:55], 0
	v_mov_b64_e32 v[28:29], 0
	v_cmp_ge_u32_e64 s1, v0, v1
	s_add_co_i32 s10, s10, s2
	v_cmp_ne_u32_e64 s2, 32, v1
	v_cmp_ne_u32_e64 s3, v1, v98
	v_mov_b32_e32 v17, v15
	v_cmp_eq_u32_e64 s5, 0, v84
	v_cmp_lt_u32_e64 s6, v84, v50
	v_dual_lshlrev_b32 v38, 11, v16 :: v_dual_lshlrev_b32 v48, 9, v16
	v_dual_mov_b32 v49, v15 :: v_dual_mov_b32 v51, v15
	v_and_b32_e32 v50, 0x3fc0, v11
	v_lshl_or_b32 v52, v85, 11, v10
	v_dual_mov_b32 v53, v15 :: v_dual_mov_b32 v86, 1
	s_ashr_i32 s15, s10, 5
	s_mov_b32 s14, 0
	s_xor_b32 s16, vcc_lo, -1
	s_trap 2
	s_branch .LBB6_927
.LBB6_924:                              ;   in Loop: Header=BB6_927 Depth=1
	s_wait_xcnt 0x0
	s_or_b32 exec_lo, exec_lo, s17
	v_add_nc_u64_e32 v[8:9], 1, v[8:9]
	global_wb scope:SCOPE_SYS
	s_wait_storecnt 0x0
	s_wait_loadcnt_dscnt 0x0
	flat_store_b64 v[22:23], v[8:9] scope:SCOPE_SYS
.LBB6_925:                              ;   in Loop: Header=BB6_927 Depth=1
	s_wait_xcnt 0x0
	s_or_b32 exec_lo, exec_lo, s10
.LBB6_926:                              ;   in Loop: Header=BB6_927 Depth=1
	s_delay_alu instid0(SALU_CYCLE_1) | instskip(SKIP_1) | instid1(VALU_DEP_1)
	s_or_b32 exec_lo, exec_lo, s18
	v_add_nc_u64_e32 v[54:55], v[54:55], v[34:35]
	v_cmp_ge_u64_e32 vcc_lo, v[54:55], v[4:5]
	s_or_b32 s14, vcc_lo, s14
	s_delay_alu instid0(SALU_CYCLE_1)
	s_and_not1_b32 exec_lo, exec_lo, s14
	s_cbranch_execz .LBB6_1289
.LBB6_927:                              ; =>This Loop Header: Depth=1
                                        ;     Child Loop BB6_936 Depth 2
                                        ;     Child Loop BB6_960 Depth 2
	;; [unrolled: 1-line block ×10, first 2 shown]
	v_sub_nc_u64_e32 v[10:11], v[4:5], v[54:55]
	s_delay_alu instid0(VALU_DEP_1) | instskip(NEXT) | instid1(VALU_DEP_1)
	v_min_u64 v[64:65], v[34:35], v[10:11]
	v_add_nc_u32_e32 v10, 15, v64
	s_delay_alu instid0(VALU_DEP_2) | instskip(NEXT) | instid1(VALU_DEP_2)
	v_cmp_eq_u64_e32 vcc_lo, 0, v[64:65]
	v_and_b32_e32 v10, 0x3ffffff0, v10
	s_or_b32 s17, s1, vcc_lo
	s_delay_alu instid0(SALU_CYCLE_1) | instskip(NEXT) | instid1(VALU_DEP_1)
	s_xor_b32 s10, s17, -1
	v_dual_mov_b32 v10, 0 :: v_dual_max_i32 v65, s15, v10
	s_and_saveexec_b32 s18, s10
	s_cbranch_execz .LBB6_1240
; %bb.928:                              ;   in Loop: Header=BB6_927 Depth=1
	s_and_saveexec_b32 s10, s0
	s_cbranch_execz .LBB6_930
; %bb.929:                              ;   in Loop: Header=BB6_927 Depth=1
	s_trap 2
	ds_load_b64 v[10:11], v0
	v_mov_b64_e32 v[12:13], 0
	s_wait_dscnt 0x0
	v_lshl_add_u64 v[10:11], v[18:19], 1, v[10:11]
	s_delay_alu instid0(VALU_DEP_1)
	v_lshl_add_u64 v[10:11], v[54:55], 1, v[10:11]
	ds_store_b64 v0, v[10:11]
	ds_store_b64 v0, v[12:13]
.LBB6_930:                              ;   in Loop: Header=BB6_927 Depth=1
	s_or_b32 exec_lo, exec_lo, s10
	v_and_b32_e32 v10, 8, v30
	v_min_u32_e32 v65, v65, v64
	s_mov_b32 s19, exec_lo
	s_delay_alu instid0(VALU_DEP_2)
	v_cmpx_ne_u32_e32 0, v10
	s_cbranch_execz .LBB6_952
; %bb.931:                              ;   in Loop: Header=BB6_927 Depth=1
	s_wait_loadcnt 0x0
	v_add_nc_u64_e32 v[12:13], 8, v[32:33]
	v_add_nc_u64_e32 v[10:11], 1, v[8:9]
	s_mov_b32 s20, exec_lo
	s_delay_alu instid0(VALU_DEP_1)
	v_cmpx_lt_u64_e64 v[12:13], v[10:11]
	s_cbranch_execz .LBB6_943
; %bb.932:                              ;   in Loop: Header=BB6_927 Depth=1
	v_and_b32_e32 v9, 64, v30
	s_mov_b32 s21, 0
	s_mov_b32 s25, 0
                                        ; implicit-def: $sgpr22
                                        ; implicit-def: $sgpr23
                                        ; implicit-def: $sgpr24
	s_delay_alu instid0(VALU_DEP_1)
	v_cmp_eq_u32_e32 vcc_lo, 0, v9
	s_branch .LBB6_936
.LBB6_933:                              ;   in Loop: Header=BB6_936 Depth=2
	s_wait_loadcnt_dscnt 0x0
	v_add_nc_u64_e32 v[12:13], 8, v[32:33]
	s_or_b32 s28, s28, exec_lo
	s_delay_alu instid0(VALU_DEP_1)
	v_cmp_ge_u64_e64 s10, v[12:13], v[10:11]
	s_or_not1_b32 s27, s10, exec_lo
.LBB6_934:                              ;   in Loop: Header=BB6_936 Depth=2
	s_or_b32 exec_lo, exec_lo, s40
	s_delay_alu instid0(SALU_CYCLE_1)
	s_and_not1_b32 s10, s24, exec_lo
	s_and_b32 s24, s28, exec_lo
	s_and_not1_b32 s23, s23, exec_lo
	s_and_b32 s27, s27, exec_lo
	s_or_b32 s24, s10, s24
	s_or_b32 s23, s23, s27
.LBB6_935:                              ;   in Loop: Header=BB6_936 Depth=2
	s_or_b32 exec_lo, exec_lo, s26
	s_delay_alu instid0(SALU_CYCLE_1) | instskip(NEXT) | instid1(SALU_CYCLE_1)
	s_and_b32 s10, exec_lo, s23
	s_or_b32 s21, s10, s21
	s_and_not1_b32 s10, s22, exec_lo
	s_and_b32 s22, s24, exec_lo
	s_delay_alu instid0(SALU_CYCLE_1)
	s_or_b32 s22, s10, s22
	s_and_not1_b32 exec_lo, exec_lo, s21
	s_cbranch_execz .LBB6_940
.LBB6_936:                              ;   Parent Loop BB6_927 Depth=1
                                        ; =>  This Inner Loop Header: Depth=2
	s_sleep 1
	s_wait_loadcnt_dscnt 0x0
	flat_load_b64 v[32:33], v[22:23] scope:SCOPE_SYS
	s_or_b32 s24, s24, exec_lo
	s_or_b32 s23, s23, exec_lo
                                        ; implicit-def: $vgpr9
	s_wait_xcnt 0x0
	s_and_saveexec_b32 s26, vcc_lo
	s_cbranch_execz .LBB6_935
; %bb.937:                              ;   in Loop: Header=BB6_936 Depth=2
	s_cmp_lt_i32 s25, 0x270f
	s_mov_b32 s27, -1
	s_cselect_b32 s29, -1, 0
	s_cmp_gt_i32 s25, 0x270e
	s_cbranch_scc0 .LBB6_939
; %bb.938:                              ;   in Loop: Header=BB6_936 Depth=2
	s_trap 2
	ds_load_b64 v[12:13], v0
	s_and_not1_b32 s25, s29, exec_lo
	s_mov_b32 s28, 0
	s_wait_storecnt 0x0
	s_wait_loadcnt_dscnt 0x0
	flat_load_b32 v9, v[12:13] scope:SCOPE_SYS
	s_wait_loadcnt_dscnt 0x0
	global_inv scope:SCOPE_SYS
	v_cmp_eq_u32_e64 s10, 0, v9
	s_and_b32 s10, s10, exec_lo
	s_delay_alu instid0(SALU_CYCLE_1)
	s_or_b32 s29, s25, s10
	s_mov_b32 s25, 0
	s_and_saveexec_b32 s40, s29
	s_cbranch_execz .LBB6_934
	s_branch .LBB6_933
.LBB6_939:                              ;   in Loop: Header=BB6_936 Depth=2
	s_add_co_i32 s25, s25, 1
	s_mov_b32 s28, -1
                                        ; implicit-def: $vgpr9
	s_and_saveexec_b32 s40, s29
	s_cbranch_execz .LBB6_934
	s_branch .LBB6_933
.LBB6_940:                              ;   in Loop: Header=BB6_927 Depth=1
	s_or_b32 exec_lo, exec_lo, s21
	s_xor_b32 s10, s22, -1
	s_delay_alu instid0(SALU_CYCLE_1) | instskip(NEXT) | instid1(SALU_CYCLE_1)
	s_and_saveexec_b32 s21, s10
	s_xor_b32 s10, exec_lo, s21
	s_cbranch_execz .LBB6_942
; %bb.941:                              ;   in Loop: Header=BB6_927 Depth=1
	v_or_b32_e32 v30, 64, v30
	s_wait_storecnt 0x0
	s_wait_loadcnt_dscnt 0x0
	ds_store_b32 v0, v9
	s_trap 2
.LBB6_942:                              ;   in Loop: Header=BB6_927 Depth=1
	s_or_b32 exec_lo, exec_lo, s10
.LBB6_943:                              ;   in Loop: Header=BB6_927 Depth=1
	s_delay_alu instid0(SALU_CYCLE_1) | instskip(SKIP_4) | instid1(VALU_DEP_2)
	s_or_b32 exec_lo, exec_lo, s20
	v_and_b32_e32 v9, 0x100, v30
	v_and_b32_e32 v14, 7, v8
	s_mov_b32 s10, -1
	;;#ASMSTART
	s_wakeup
	;;#ASMEND
	v_cmp_ne_u32_e32 vcc_lo, 0, v9
                                        ; implicit-def: $vgpr8_vgpr9
	s_and_saveexec_b32 s20, vcc_lo
	s_cbranch_execz .LBB6_947
; %bb.944:                              ;   in Loop: Header=BB6_927 Depth=1
	v_mad_nc_u64_u32 v[12:13], v14, 24, v[6:7]
	v_dual_mov_b32 v9, v15 :: v_dual_lshlrev_b32 v8, 1, v65
	s_mov_b32 s21, exec_lo
	s_clause 0x1
	flat_load_b32 v66, v[12:13]
	flat_store_b64 v[12:13], v[8:9] offset:8
                                        ; implicit-def: $vgpr8_vgpr9
	s_wait_loadcnt_dscnt 0x1
	v_cmp_ne_u32_e32 vcc_lo, 1, v66
	s_wait_xcnt 0x0
	v_cmpx_eq_u32_e32 1, v66
	s_cbranch_execz .LBB6_946
; %bb.945:                              ;   in Loop: Header=BB6_927 Depth=1
	flat_load_b32 v8, v[12:13] offset:4 scope:SCOPE_SYS
	s_wait_loadcnt_dscnt 0x0
	v_ashrrev_i32_e32 v9, 31, v8
	s_delay_alu instid0(VALU_DEP_1)
	v_lshrrev_b64 v[8:9], 1, v[8:9]
.LBB6_946:                              ;   in Loop: Header=BB6_927 Depth=1
	s_wait_xcnt 0x0
	s_or_b32 exec_lo, exec_lo, s21
	s_delay_alu instid0(SALU_CYCLE_1)
	s_or_not1_b32 s10, vcc_lo, exec_lo
.LBB6_947:                              ;   in Loop: Header=BB6_927 Depth=1
	s_or_b32 exec_lo, exec_lo, s20
	s_and_saveexec_b32 s20, s10
; %bb.948:                              ;   in Loop: Header=BB6_927 Depth=1
	v_mul_u64_e32 v[8:9], v[14:15], v[24:25]
; %bb.949:                              ;   in Loop: Header=BB6_927 Depth=1
	s_or_b32 exec_lo, exec_lo, s20
	v_and_b32_e32 v12, 0x2000, v30
	s_delay_alu instid0(VALU_DEP_2)
	v_lshl_add_u64 v[8:9], v[8:9], 1, v[26:27]
	s_mov_b32 s10, exec_lo
	ds_store_b64 v0, v[8:9] offset:784
	v_cmpx_ne_u32_e32 0, v12
	s_cbranch_execz .LBB6_951
; %bb.950:                              ;   in Loop: Header=BB6_927 Depth=1
	ds_load_b64 v[8:9], v0 offset:872
	s_wait_dscnt 0x0
	v_add_nc_u64_e32 v[8:9], 1, v[8:9]
	ds_store_b64 v0, v[8:9] offset:872
.LBB6_951:                              ;   in Loop: Header=BB6_927 Depth=1
	s_or_b32 exec_lo, exec_lo, s10
	v_mov_b64_e32 v[8:9], v[10:11]
.LBB6_952:                              ;   in Loop: Header=BB6_927 Depth=1
	s_or_b32 exec_lo, exec_lo, s19
	s_and_saveexec_b32 s10, s2
	s_cbranch_execz .LBB6_971
; %bb.953:                              ;   in Loop: Header=BB6_927 Depth=1
	s_and_saveexec_b32 s19, s3
	s_delay_alu instid0(SALU_CYCLE_1)
	s_xor_b32 s19, exec_lo, s19
	s_cbranch_execz .LBB6_968
; %bb.954:                              ;   in Loop: Header=BB6_927 Depth=1
	s_and_saveexec_b32 s20, s4
	s_cbranch_execz .LBB6_967
; %bb.955:                              ;   in Loop: Header=BB6_927 Depth=1
	s_mov_b32 s22, exec_lo
	s_mov_b32 s21, exec_lo
	v_mbcnt_lo_u32_b32 v10, s22, 0
	global_wb scope:SCOPE_DEV
	s_wait_storecnt 0x0
	s_wait_loadcnt_dscnt 0x0
	global_inv scope:SCOPE_DEV
	v_cmpx_eq_u32_e32 0, v10
	s_cbranch_execz .LBB6_957
; %bb.956:                              ;   in Loop: Header=BB6_927 Depth=1
	s_bcnt1_i32_b32 s22, s22
	s_delay_alu instid0(SALU_CYCLE_1)
	v_mov_b32_e32 v14, s22
	s_wait_loadcnt 0x0
	ds_add_u64 v0, v[14:15]
	s_trap 2
.LBB6_957:                              ;   in Loop: Header=BB6_927 Depth=1
	s_or_b32 exec_lo, exec_lo, s21
	s_trap 2
	ds_load_b64 v[10:11], v0
	s_wait_dscnt 0x0
	v_add_nc_u64_e32 v[28:29], v[28:29], v[16:17]
	s_mov_b32 s21, exec_lo
	s_delay_alu instid0(VALU_DEP_1)
	v_cmpx_lt_u64_e64 v[10:11], v[28:29]
	s_cbranch_execz .LBB6_966
; %bb.958:                              ;   in Loop: Header=BB6_927 Depth=1
	s_mov_b32 s22, 0
	s_mov_b32 s25, 0
                                        ; implicit-def: $sgpr23
                                        ; implicit-def: $sgpr24
	s_branch .LBB6_960
.LBB6_959:                              ;   in Loop: Header=BB6_960 Depth=2
	s_or_b32 exec_lo, exec_lo, s27
	s_delay_alu instid0(SALU_CYCLE_1) | instskip(NEXT) | instid1(SALU_CYCLE_1)
	s_and_b32 s26, exec_lo, s28
	s_or_b32 s22, s26, s22
	s_and_not1_b32 s23, s23, exec_lo
	s_and_b32 s26, s24, exec_lo
	s_delay_alu instid0(SALU_CYCLE_1)
	s_or_b32 s23, s23, s26
	s_and_not1_b32 exec_lo, exec_lo, s22
	s_cbranch_execz .LBB6_964
.LBB6_960:                              ;   Parent Loop BB6_927 Depth=1
                                        ; =>  This Inner Loop Header: Depth=2
	s_add_co_i32 s25, s25, 1
	s_delay_alu instid0(SALU_CYCLE_1) | instskip(SKIP_1) | instid1(SALU_CYCLE_1)
	s_cmp_lg_u32 s25, 0x2710
	s_cselect_b32 s26, -1, 0
	s_and_b32 vcc_lo, exec_lo, s26
	s_cbranch_vccz .LBB6_962
; %bb.961:                              ;   in Loop: Header=BB6_960 Depth=2
	s_mov_b32 s28, -1
	s_or_b32 s24, s24, exec_lo
	s_and_saveexec_b32 s27, s26
	s_cbranch_execz .LBB6_959
	s_branch .LBB6_963
.LBB6_962:                              ;   in Loop: Header=BB6_960 Depth=2
	s_trap 2
	ds_load_b64 v[10:11], v0
	s_and_not1_b32 s26, s26, exec_lo
	s_mov_b32 s25, 0
	s_wait_loadcnt_dscnt 0x0
	flat_load_b32 v10, v[10:11] scope:SCOPE_SYS
	s_wait_loadcnt_dscnt 0x0
	global_inv scope:SCOPE_SYS
	v_cmp_eq_u32_e32 vcc_lo, 0, v10
	s_and_b32 s27, vcc_lo, exec_lo
	s_delay_alu instid0(SALU_CYCLE_1)
	s_or_b32 s26, s26, s27
	s_mov_b32 s28, -1
	s_or_b32 s24, s24, exec_lo
	s_and_saveexec_b32 s27, s26
	s_cbranch_execz .LBB6_959
.LBB6_963:                              ;   in Loop: Header=BB6_960 Depth=2
	s_sleep 1
	s_trap 2
	ds_load_b64 v[10:11], v0
	s_wait_dscnt 0x0
	s_and_not1_b32 s24, s24, exec_lo
	v_cmp_ge_u64_e32 vcc_lo, v[10:11], v[28:29]
	s_or_not1_b32 s28, vcc_lo, exec_lo
	s_branch .LBB6_959
.LBB6_964:                              ;   in Loop: Header=BB6_927 Depth=1
	s_or_b32 exec_lo, exec_lo, s22
	s_and_saveexec_b32 s22, s23
	s_delay_alu instid0(SALU_CYCLE_1)
	s_xor_b32 s22, exec_lo, s22
	s_cbranch_execz .LBB6_966
; %bb.965:                              ;   in Loop: Header=BB6_927 Depth=1
	ds_store_b32 v0, v86
	s_trap 2
.LBB6_966:                              ;   in Loop: Header=BB6_927 Depth=1
	s_or_b32 exec_lo, exec_lo, s21
	;;#ASMSTART
	s_wakeup
	;;#ASMEND
.LBB6_967:                              ;   in Loop: Header=BB6_927 Depth=1
	s_or_b32 exec_lo, exec_lo, s20
.LBB6_968:                              ;   in Loop: Header=BB6_927 Depth=1
	s_and_not1_saveexec_b32 s19, s19
	s_cbranch_execz .LBB6_970
; %bb.969:                              ;   in Loop: Header=BB6_927 Depth=1
	global_wb scope:SCOPE_DEV
	s_wait_storecnt 0x0
	s_wait_loadcnt_dscnt 0x0
	global_inv scope:SCOPE_DEV
	s_barrier_signal -1
	s_barrier_wait -1
.LBB6_970:                              ;   in Loop: Header=BB6_927 Depth=1
	s_or_b32 exec_lo, exec_lo, s19
.LBB6_971:                              ;   in Loop: Header=BB6_927 Depth=1
	s_delay_alu instid0(SALU_CYCLE_1) | instskip(SKIP_3) | instid1(VALU_DEP_1)
	s_or_b32 exec_lo, exec_lo, s10
	s_trap 2
	ds_load_b32 v10, v0
	v_and_b32_e32 v11, 0x4000, v30
	v_cmp_ne_u32_e32 vcc_lo, 0, v11
	s_and_b32 s19, s16, vcc_lo
	s_delay_alu instid0(SALU_CYCLE_1)
	s_and_saveexec_b32 s10, s19
	s_cbranch_execz .LBB6_990
; %bb.972:                              ;   in Loop: Header=BB6_927 Depth=1
	s_and_saveexec_b32 s19, s3
	s_delay_alu instid0(SALU_CYCLE_1)
	s_xor_b32 s19, exec_lo, s19
	s_cbranch_execz .LBB6_987
; %bb.973:                              ;   in Loop: Header=BB6_927 Depth=1
	s_and_saveexec_b32 s20, s4
	s_cbranch_execz .LBB6_986
; %bb.974:                              ;   in Loop: Header=BB6_927 Depth=1
	s_mov_b32 s22, exec_lo
	s_mov_b32 s21, exec_lo
	v_mbcnt_lo_u32_b32 v11, s22, 0
	global_wb scope:SCOPE_DEV
	s_wait_storecnt 0x0
	s_wait_loadcnt_dscnt 0x0
	global_inv scope:SCOPE_DEV
	v_cmpx_eq_u32_e32 0, v11
	s_cbranch_execz .LBB6_976
; %bb.975:                              ;   in Loop: Header=BB6_927 Depth=1
	s_bcnt1_i32_b32 s22, s22
	s_delay_alu instid0(SALU_CYCLE_1)
	v_mov_b32_e32 v14, s22
	s_wait_loadcnt 0x0
	ds_add_u64 v0, v[14:15]
	s_trap 2
.LBB6_976:                              ;   in Loop: Header=BB6_927 Depth=1
	s_or_b32 exec_lo, exec_lo, s21
	s_trap 2
	ds_load_b64 v[12:13], v0
	s_wait_dscnt 0x0
	v_add_nc_u64_e32 v[28:29], v[28:29], v[16:17]
	s_mov_b32 s21, exec_lo
	s_delay_alu instid0(VALU_DEP_1)
	v_cmpx_lt_u64_e64 v[12:13], v[28:29]
	s_cbranch_execz .LBB6_985
; %bb.977:                              ;   in Loop: Header=BB6_927 Depth=1
	s_mov_b32 s22, 0
	s_mov_b32 s25, 0
                                        ; implicit-def: $sgpr23
                                        ; implicit-def: $sgpr24
	s_branch .LBB6_979
.LBB6_978:                              ;   in Loop: Header=BB6_979 Depth=2
	s_or_b32 exec_lo, exec_lo, s27
	s_delay_alu instid0(SALU_CYCLE_1) | instskip(NEXT) | instid1(SALU_CYCLE_1)
	s_and_b32 s26, exec_lo, s28
	s_or_b32 s22, s26, s22
	s_and_not1_b32 s23, s23, exec_lo
	s_and_b32 s26, s24, exec_lo
	s_delay_alu instid0(SALU_CYCLE_1)
	s_or_b32 s23, s23, s26
	s_and_not1_b32 exec_lo, exec_lo, s22
	s_cbranch_execz .LBB6_983
.LBB6_979:                              ;   Parent Loop BB6_927 Depth=1
                                        ; =>  This Inner Loop Header: Depth=2
	s_add_co_i32 s25, s25, 1
	s_delay_alu instid0(SALU_CYCLE_1) | instskip(SKIP_1) | instid1(SALU_CYCLE_1)
	s_cmp_lg_u32 s25, 0x2710
	s_cselect_b32 s26, -1, 0
	s_and_b32 vcc_lo, exec_lo, s26
	s_cbranch_vccz .LBB6_981
; %bb.980:                              ;   in Loop: Header=BB6_979 Depth=2
	s_mov_b32 s28, -1
	s_or_b32 s24, s24, exec_lo
	s_and_saveexec_b32 s27, s26
	s_cbranch_execz .LBB6_978
	s_branch .LBB6_982
.LBB6_981:                              ;   in Loop: Header=BB6_979 Depth=2
	s_trap 2
	ds_load_b64 v[12:13], v0
	s_and_not1_b32 s26, s26, exec_lo
	s_mov_b32 s25, 0
	s_wait_loadcnt_dscnt 0x0
	flat_load_b32 v11, v[12:13] scope:SCOPE_SYS
	s_wait_loadcnt_dscnt 0x0
	global_inv scope:SCOPE_SYS
	v_cmp_eq_u32_e32 vcc_lo, 0, v11
	s_and_b32 s27, vcc_lo, exec_lo
	s_delay_alu instid0(SALU_CYCLE_1)
	s_or_b32 s26, s26, s27
	s_mov_b32 s28, -1
	s_or_b32 s24, s24, exec_lo
	s_and_saveexec_b32 s27, s26
	s_cbranch_execz .LBB6_978
.LBB6_982:                              ;   in Loop: Header=BB6_979 Depth=2
	s_sleep 1
	s_trap 2
	ds_load_b64 v[12:13], v0
	s_wait_dscnt 0x0
	s_and_not1_b32 s24, s24, exec_lo
	v_cmp_ge_u64_e32 vcc_lo, v[12:13], v[28:29]
	s_or_not1_b32 s28, vcc_lo, exec_lo
	s_branch .LBB6_978
.LBB6_983:                              ;   in Loop: Header=BB6_927 Depth=1
	s_or_b32 exec_lo, exec_lo, s22
	s_and_saveexec_b32 s22, s23
	s_delay_alu instid0(SALU_CYCLE_1)
	s_xor_b32 s22, exec_lo, s22
	s_cbranch_execz .LBB6_985
; %bb.984:                              ;   in Loop: Header=BB6_927 Depth=1
	ds_store_b32 v0, v86
	s_trap 2
.LBB6_985:                              ;   in Loop: Header=BB6_927 Depth=1
	s_or_b32 exec_lo, exec_lo, s21
	;;#ASMSTART
	s_wakeup
	;;#ASMEND
.LBB6_986:                              ;   in Loop: Header=BB6_927 Depth=1
	s_or_b32 exec_lo, exec_lo, s20
.LBB6_987:                              ;   in Loop: Header=BB6_927 Depth=1
	s_and_not1_saveexec_b32 s19, s19
	s_cbranch_execz .LBB6_989
; %bb.988:                              ;   in Loop: Header=BB6_927 Depth=1
	global_wb scope:SCOPE_DEV
	s_wait_storecnt 0x0
	s_wait_loadcnt_dscnt 0x0
	global_inv scope:SCOPE_DEV
	s_barrier_signal -1
	s_barrier_wait -1
.LBB6_989:                              ;   in Loop: Header=BB6_927 Depth=1
	s_or_b32 exec_lo, exec_lo, s19
.LBB6_990:                              ;   in Loop: Header=BB6_927 Depth=1
	s_delay_alu instid0(SALU_CYCLE_1)
	s_or_b32 exec_lo, exec_lo, s10
	s_trap 2
	ds_load_b64 v[66:67], v0
	s_wait_dscnt 0x0
	v_cmp_eq_u64_e32 vcc_lo, 0, v[66:67]
	s_cbranch_vccnz .LBB6_998
; %bb.991:                              ;   in Loop: Header=BB6_927 Depth=1
	s_trap 2
	ds_load_b64 v[68:69], v0
	s_wait_dscnt 0x0
	v_cmp_eq_u64_e32 vcc_lo, 0, v[68:69]
	s_cbranch_vccnz .LBB6_998
; %bb.992:                              ;   in Loop: Header=BB6_927 Depth=1
	s_mov_b32 s10, -1
	s_and_saveexec_b32 s19, s5
	s_cbranch_execz .LBB6_994
; %bb.993:                              ;   in Loop: Header=BB6_927 Depth=1
	ds_load_b32 v11, v0 offset:720
	s_wait_dscnt 0x0
	v_and_b32_e32 v11, 15, v11
	s_delay_alu instid0(VALU_DEP_1)
	v_cmp_eq_u32_e32 vcc_lo, 0, v11
	s_or_not1_b32 s10, vcc_lo, exec_lo
.LBB6_994:                              ;   in Loop: Header=BB6_927 Depth=1
	s_or_b32 exec_lo, exec_lo, s19
	s_and_saveexec_b32 s19, s6
	s_cbranch_execz .LBB6_996
; %bb.995:                              ;   in Loop: Header=BB6_927 Depth=1
	ds_load_b32 v11, v0 offset:784
	s_wait_dscnt 0x0
	v_and_b32_e32 v11, 15, v11
	s_delay_alu instid0(VALU_DEP_1) | instskip(SKIP_3) | instid1(SALU_CYCLE_1)
	v_cmp_eq_u32_e32 vcc_lo, 0, v11
	s_and_b32 s20, s10, vcc_lo
	s_and_not1_b32 s10, s10, exec_lo
	s_and_b32 s20, s20, exec_lo
	s_or_b32 s10, s10, s20
.LBB6_996:                              ;   in Loop: Header=BB6_927 Depth=1
	s_or_b32 exec_lo, exec_lo, s19
	v_cmp_eq_u32_e32 vcc_lo, 0, v10
	s_xor_b32 s10, s10, -1
	s_mov_b32 s20, -1
	v_cndmask_b32_e64 v11, 0, 1, s10
	v_dual_mov_b32 v82, 0 :: v_dual_cndmask_b32 v14, 0, v65, vcc_lo
	s_delay_alu instid0(VALU_DEP_2) | instskip(NEXT) | instid1(VALU_DEP_2)
	v_cmp_ne_u32_e32 vcc_lo, 0, v11
	v_lshlrev_b32_e32 v87, 1, v14
	s_cbranch_vccz .LBB6_999
; %bb.997:                              ;   in Loop: Header=BB6_927 Depth=1
	v_mov_b32_e32 v83, v0
	s_and_saveexec_b32 s10, s20
	s_cbranch_execnz .LBB6_1170
	s_branch .LBB6_1214
.LBB6_998:                              ;   in Loop: Header=BB6_927 Depth=1
	s_mov_b32 s10, 0
	s_and_saveexec_b32 s19, s2
	s_cbranch_execnz .LBB6_1215
	s_branch .LBB6_1233
.LBB6_999:                              ;   in Loop: Header=BB6_927 Depth=1
	v_lshrrev_b32_e32 v97, 10, v14
	s_mov_b32 s10, exec_lo
	s_delay_alu instid0(VALU_DEP_1) | instskip(NEXT) | instid1(VALU_DEP_1)
	v_sub_nc_u32_e32 v96, v97, v85
	v_cmpx_lt_i32_e32 0, v96
	s_cbranch_execz .LBB6_1131
; %bb.1000:                             ;   in Loop: Header=BB6_927 Depth=1
	s_trap 2
	ds_load_b32 v10, v0
	v_mov_b64_e32 v[70:71], v[68:69]
	v_mov_b64_e32 v[80:81], v[66:67]
	s_mov_b32 s19, 0
	s_wait_dscnt 0x0
	v_lshlrev_b32_e32 v99, 16, v10
	s_branch .LBB6_1002
.LBB6_1001:                             ;   in Loop: Header=BB6_1002 Depth=2
	s_or_b32 exec_lo, exec_lo, s20
	v_dual_lshrrev_b32 v46, 16, v46 :: v_dual_lshrrev_b32 v44, 16, v44
	v_dual_lshrrev_b32 v118, 16, v118 :: v_dual_lshrrev_b32 v116, 16, v116
	;; [unrolled: 1-line block ×3, first 2 shown]
	v_lshrrev_b32_e32 v100, 16, v100
	s_delay_alu instid0(VALU_DEP_4) | instskip(NEXT) | instid1(VALU_DEP_4)
	v_and_or_b32 v72, 0xffff0000, v45, v44
	v_and_or_b32 v44, 0xffff0000, v117, v116
	v_lshrrev_b32_e32 v116, 16, v42
	v_and_or_b32 v73, 0xffff0000, v47, v46
	v_sub_nc_u32_e32 v96, v96, v16
	v_dual_lshrrev_b32 v56, 16, v56 :: v_dual_lshrrev_b32 v58, 16, v58
	s_delay_alu instid0(VALU_DEP_4)
	v_and_or_b32 v47, 0xffff0000, v43, v116
	v_and_or_b32 v116, 0xffff0000, v101, v100
	v_dual_lshrrev_b32 v100, 16, v83 :: v_dual_lshrrev_b32 v101, 16, v82
	v_dual_lshrrev_b32 v112, 16, v112 :: v_dual_lshrrev_b32 v114, 16, v114
	v_and_or_b32 v117, 0xffff0000, v103, v102
	v_lshrrev_b32_e32 v102, 16, v60
	s_delay_alu instid0(VALU_DEP_4)
	v_and_or_b32 v11, 0xffff0000, v11, v100
	v_lshrrev_b32_e32 v100, 16, v61
	v_add_nc_u64_e32 v[82:83], v[52:53], v[70:71]
	v_add_nc_u64_e32 v[80:81], v[80:81], v[38:39]
	v_cmp_gt_i32_e32 vcc_lo, 1, v96
	v_add_nc_u64_e32 v[70:71], v[70:71], v[38:39]
	v_and_or_b32 v74, 0xffff0000, v57, v56
	v_and_or_b32 v75, 0xffff0000, v59, v58
	;; [unrolled: 1-line block ×9, first 2 shown]
	s_or_b32 s19, vcc_lo, s19
	s_clause 0x3
	global_store_b128 v[82:83], v[116:119], off th:TH_STORE_NT
	global_store_b128 v[82:83], v[44:47], off offset:512 th:TH_STORE_NT
	global_store_b128 v[82:83], v[72:75], off offset:1024 th:TH_STORE_NT
	;; [unrolled: 1-line block ×3, first 2 shown]
	s_wait_xcnt 0x0
	s_and_not1_b32 exec_lo, exec_lo, s19
	s_cbranch_execz .LBB6_1130
.LBB6_1002:                             ;   Parent Loop BB6_927 Depth=1
                                        ; =>  This Inner Loop Header: Depth=2
	s_delay_alu instid0(VALU_DEP_2) | instskip(SKIP_3) | instid1(VALU_DEP_1)
	v_add_nc_u64_e32 v[82:83], v[52:53], v[80:81]
	global_load_b128 v[10:13], v[82:83], off th:TH_LOAD_NT
	s_wait_loadcnt 0x0
	v_lshlrev_b32_e32 v100, 16, v10
	v_mul_f32_e32 v101, v99, v100
	s_delay_alu instid0(VALU_DEP_1) | instskip(NEXT) | instid1(VALU_DEP_1)
	v_and_b32_e32 v100, 0x7f800000, v101
	v_cmp_ne_u32_e32 vcc_lo, 0x7f800000, v100
                                        ; implicit-def: $vgpr100
	s_wait_xcnt 0x0
	s_and_saveexec_b32 s20, vcc_lo
	s_delay_alu instid0(SALU_CYCLE_1)
	s_xor_b32 s20, exec_lo, s20
; %bb.1003:                             ;   in Loop: Header=BB6_1002 Depth=2
	v_bfe_u32 v100, v101, 16, 1
	s_delay_alu instid0(VALU_DEP_1)
	v_add3_u32 v100, v101, v100, 0x7fff
                                        ; implicit-def: $vgpr101
; %bb.1004:                             ;   in Loop: Header=BB6_1002 Depth=2
	s_and_not1_saveexec_b32 s20, s20
; %bb.1005:                             ;   in Loop: Header=BB6_1002 Depth=2
	v_and_b32_e32 v100, 0xffff, v101
	v_or_b32_e32 v102, 0x10000, v101
	s_delay_alu instid0(VALU_DEP_2) | instskip(NEXT) | instid1(VALU_DEP_2)
	v_cmp_eq_u32_e32 vcc_lo, 0, v100
	v_cndmask_b32_e32 v100, v102, v101, vcc_lo
; %bb.1006:                             ;   in Loop: Header=BB6_1002 Depth=2
	s_or_b32 exec_lo, exec_lo, s20
	v_and_b32_e32 v10, 0xffff0000, v10
	s_delay_alu instid0(VALU_DEP_1) | instskip(NEXT) | instid1(VALU_DEP_1)
	v_mul_f32_e32 v10, v99, v10
	v_and_b32_e32 v101, 0x7f800000, v10
	s_delay_alu instid0(VALU_DEP_1) | instskip(SKIP_1) | instid1(SALU_CYCLE_1)
	v_cmp_ne_u32_e32 vcc_lo, 0x7f800000, v101
                                        ; implicit-def: $vgpr101
	s_and_saveexec_b32 s20, vcc_lo
	s_xor_b32 s20, exec_lo, s20
; %bb.1007:                             ;   in Loop: Header=BB6_1002 Depth=2
	v_bfe_u32 v101, v10, 16, 1
	s_delay_alu instid0(VALU_DEP_1)
	v_add3_u32 v101, v10, v101, 0x7fff
                                        ; implicit-def: $vgpr10
; %bb.1008:                             ;   in Loop: Header=BB6_1002 Depth=2
	s_and_not1_saveexec_b32 s20, s20
; %bb.1009:                             ;   in Loop: Header=BB6_1002 Depth=2
	v_and_b32_e32 v101, 0xffff, v10
	v_or_b32_e32 v102, 0x10000, v10
	s_delay_alu instid0(VALU_DEP_2) | instskip(NEXT) | instid1(VALU_DEP_2)
	v_cmp_eq_u32_e32 vcc_lo, 0, v101
	v_cndmask_b32_e32 v101, v102, v10, vcc_lo
; %bb.1010:                             ;   in Loop: Header=BB6_1002 Depth=2
	s_or_b32 exec_lo, exec_lo, s20
	v_lshlrev_b32_e32 v10, 16, v11
	s_delay_alu instid0(VALU_DEP_1) | instskip(NEXT) | instid1(VALU_DEP_1)
	v_mul_f32_e32 v10, v99, v10
	v_and_b32_e32 v102, 0x7f800000, v10
	s_delay_alu instid0(VALU_DEP_1) | instskip(SKIP_1) | instid1(SALU_CYCLE_1)
	v_cmp_ne_u32_e32 vcc_lo, 0x7f800000, v102
                                        ; implicit-def: $vgpr102
	s_and_saveexec_b32 s20, vcc_lo
	s_xor_b32 s20, exec_lo, s20
; %bb.1011:                             ;   in Loop: Header=BB6_1002 Depth=2
	v_bfe_u32 v102, v10, 16, 1
	s_delay_alu instid0(VALU_DEP_1)
	v_add3_u32 v102, v10, v102, 0x7fff
                                        ; implicit-def: $vgpr10
; %bb.1012:                             ;   in Loop: Header=BB6_1002 Depth=2
	s_and_not1_saveexec_b32 s20, s20
; %bb.1013:                             ;   in Loop: Header=BB6_1002 Depth=2
	v_and_b32_e32 v102, 0xffff, v10
	v_or_b32_e32 v103, 0x10000, v10
	s_delay_alu instid0(VALU_DEP_2) | instskip(NEXT) | instid1(VALU_DEP_2)
	v_cmp_eq_u32_e32 vcc_lo, 0, v102
	v_cndmask_b32_e32 v102, v103, v10, vcc_lo
; %bb.1014:                             ;   in Loop: Header=BB6_1002 Depth=2
	s_or_b32 exec_lo, exec_lo, s20
	v_and_b32_e32 v10, 0xffff0000, v11
	s_mov_b32 s20, exec_lo
                                        ; implicit-def: $vgpr103
	s_delay_alu instid0(VALU_DEP_1) | instskip(NEXT) | instid1(VALU_DEP_1)
	v_mul_f32_e32 v10, v99, v10
	v_and_b32_e32 v11, 0x7f800000, v10
	s_delay_alu instid0(VALU_DEP_1)
	v_cmpx_ne_u32_e32 0x7f800000, v11
	s_xor_b32 s20, exec_lo, s20
; %bb.1015:                             ;   in Loop: Header=BB6_1002 Depth=2
	v_bfe_u32 v11, v10, 16, 1
	s_delay_alu instid0(VALU_DEP_1)
	v_add3_u32 v103, v10, v11, 0x7fff
                                        ; implicit-def: $vgpr10
; %bb.1016:                             ;   in Loop: Header=BB6_1002 Depth=2
	s_and_not1_saveexec_b32 s20, s20
; %bb.1017:                             ;   in Loop: Header=BB6_1002 Depth=2
	v_and_b32_e32 v11, 0xffff, v10
	v_or_b32_e32 v103, 0x10000, v10
	s_delay_alu instid0(VALU_DEP_2) | instskip(NEXT) | instid1(VALU_DEP_2)
	v_cmp_eq_u32_e32 vcc_lo, 0, v11
	v_cndmask_b32_e32 v103, v103, v10, vcc_lo
; %bb.1018:                             ;   in Loop: Header=BB6_1002 Depth=2
	s_or_b32 exec_lo, exec_lo, s20
	v_lshlrev_b32_e32 v10, 16, v12
	s_mov_b32 s20, exec_lo
                                        ; implicit-def: $vgpr112
	s_delay_alu instid0(VALU_DEP_1) | instskip(NEXT) | instid1(VALU_DEP_1)
	v_mul_f32_e32 v10, v99, v10
	v_and_b32_e32 v11, 0x7f800000, v10
	s_delay_alu instid0(VALU_DEP_1)
	v_cmpx_ne_u32_e32 0x7f800000, v11
	s_xor_b32 s20, exec_lo, s20
; %bb.1019:                             ;   in Loop: Header=BB6_1002 Depth=2
	v_bfe_u32 v11, v10, 16, 1
	s_delay_alu instid0(VALU_DEP_1)
	v_add3_u32 v112, v10, v11, 0x7fff
                                        ; implicit-def: $vgpr10
; %bb.1020:                             ;   in Loop: Header=BB6_1002 Depth=2
	s_and_not1_saveexec_b32 s20, s20
; %bb.1021:                             ;   in Loop: Header=BB6_1002 Depth=2
	v_and_b32_e32 v11, 0xffff, v10
	v_or_b32_e32 v112, 0x10000, v10
	s_delay_alu instid0(VALU_DEP_2) | instskip(NEXT) | instid1(VALU_DEP_2)
	v_cmp_eq_u32_e32 vcc_lo, 0, v11
	v_cndmask_b32_e32 v112, v112, v10, vcc_lo
; %bb.1022:                             ;   in Loop: Header=BB6_1002 Depth=2
	s_or_b32 exec_lo, exec_lo, s20
	v_and_b32_e32 v10, 0xffff0000, v12
	s_mov_b32 s20, exec_lo
                                        ; implicit-def: $vgpr113
	s_delay_alu instid0(VALU_DEP_1) | instskip(NEXT) | instid1(VALU_DEP_1)
	v_mul_f32_e32 v10, v99, v10
	v_and_b32_e32 v11, 0x7f800000, v10
	s_delay_alu instid0(VALU_DEP_1)
	v_cmpx_ne_u32_e32 0x7f800000, v11
	s_xor_b32 s20, exec_lo, s20
; %bb.1023:                             ;   in Loop: Header=BB6_1002 Depth=2
	v_bfe_u32 v11, v10, 16, 1
	s_delay_alu instid0(VALU_DEP_1)
	v_add3_u32 v113, v10, v11, 0x7fff
                                        ; implicit-def: $vgpr10
; %bb.1024:                             ;   in Loop: Header=BB6_1002 Depth=2
	s_and_not1_saveexec_b32 s20, s20
; %bb.1025:                             ;   in Loop: Header=BB6_1002 Depth=2
	v_and_b32_e32 v11, 0xffff, v10
	v_or_b32_e32 v12, 0x10000, v10
	s_delay_alu instid0(VALU_DEP_2) | instskip(NEXT) | instid1(VALU_DEP_2)
	v_cmp_eq_u32_e32 vcc_lo, 0, v11
	v_cndmask_b32_e32 v113, v12, v10, vcc_lo
; %bb.1026:                             ;   in Loop: Header=BB6_1002 Depth=2
	s_or_b32 exec_lo, exec_lo, s20
	v_lshlrev_b32_e32 v10, 16, v13
	s_mov_b32 s20, exec_lo
                                        ; implicit-def: $vgpr114
	s_delay_alu instid0(VALU_DEP_1) | instskip(NEXT) | instid1(VALU_DEP_1)
	v_mul_f32_e32 v10, v99, v10
	v_and_b32_e32 v11, 0x7f800000, v10
	s_delay_alu instid0(VALU_DEP_1)
	v_cmpx_ne_u32_e32 0x7f800000, v11
	s_xor_b32 s20, exec_lo, s20
; %bb.1027:                             ;   in Loop: Header=BB6_1002 Depth=2
	v_bfe_u32 v11, v10, 16, 1
	s_delay_alu instid0(VALU_DEP_1)
	v_add3_u32 v114, v10, v11, 0x7fff
                                        ; implicit-def: $vgpr10
; %bb.1028:                             ;   in Loop: Header=BB6_1002 Depth=2
	s_and_not1_saveexec_b32 s20, s20
; %bb.1029:                             ;   in Loop: Header=BB6_1002 Depth=2
	v_and_b32_e32 v11, 0xffff, v10
	v_or_b32_e32 v12, 0x10000, v10
	s_delay_alu instid0(VALU_DEP_2) | instskip(NEXT) | instid1(VALU_DEP_2)
	v_cmp_eq_u32_e32 vcc_lo, 0, v11
	v_cndmask_b32_e32 v114, v12, v10, vcc_lo
; %bb.1030:                             ;   in Loop: Header=BB6_1002 Depth=2
	s_or_b32 exec_lo, exec_lo, s20
	v_and_b32_e32 v10, 0xffff0000, v13
	s_mov_b32 s20, exec_lo
                                        ; implicit-def: $vgpr115
	s_delay_alu instid0(VALU_DEP_1) | instskip(NEXT) | instid1(VALU_DEP_1)
	v_mul_f32_e32 v10, v99, v10
	v_and_b32_e32 v11, 0x7f800000, v10
	s_delay_alu instid0(VALU_DEP_1)
	v_cmpx_ne_u32_e32 0x7f800000, v11
	s_xor_b32 s20, exec_lo, s20
; %bb.1031:                             ;   in Loop: Header=BB6_1002 Depth=2
	v_bfe_u32 v11, v10, 16, 1
	s_delay_alu instid0(VALU_DEP_1)
	v_add3_u32 v115, v10, v11, 0x7fff
                                        ; implicit-def: $vgpr10
; %bb.1032:                             ;   in Loop: Header=BB6_1002 Depth=2
	s_and_not1_saveexec_b32 s20, s20
; %bb.1033:                             ;   in Loop: Header=BB6_1002 Depth=2
	v_and_b32_e32 v11, 0xffff, v10
	v_or_b32_e32 v12, 0x10000, v10
	s_delay_alu instid0(VALU_DEP_2) | instskip(NEXT) | instid1(VALU_DEP_2)
	v_cmp_eq_u32_e32 vcc_lo, 0, v11
	v_cndmask_b32_e32 v115, v12, v10, vcc_lo
; %bb.1034:                             ;   in Loop: Header=BB6_1002 Depth=2
	s_or_b32 exec_lo, exec_lo, s20
	global_load_b128 v[10:13], v[82:83], off offset:512 th:TH_LOAD_NT
	s_wait_loadcnt 0x0
	v_lshlrev_b32_e32 v116, 16, v10
	s_delay_alu instid0(VALU_DEP_1) | instskip(NEXT) | instid1(VALU_DEP_1)
	v_mul_f32_e32 v117, v99, v116
	v_and_b32_e32 v116, 0x7f800000, v117
	s_delay_alu instid0(VALU_DEP_1) | instskip(SKIP_2) | instid1(SALU_CYCLE_1)
	v_cmp_ne_u32_e32 vcc_lo, 0x7f800000, v116
                                        ; implicit-def: $vgpr116
	s_wait_xcnt 0x0
	s_and_saveexec_b32 s20, vcc_lo
	s_xor_b32 s20, exec_lo, s20
; %bb.1035:                             ;   in Loop: Header=BB6_1002 Depth=2
	v_bfe_u32 v116, v117, 16, 1
	s_delay_alu instid0(VALU_DEP_1)
	v_add3_u32 v116, v117, v116, 0x7fff
                                        ; implicit-def: $vgpr117
; %bb.1036:                             ;   in Loop: Header=BB6_1002 Depth=2
	s_and_not1_saveexec_b32 s20, s20
; %bb.1037:                             ;   in Loop: Header=BB6_1002 Depth=2
	v_and_b32_e32 v116, 0xffff, v117
	v_or_b32_e32 v118, 0x10000, v117
	s_delay_alu instid0(VALU_DEP_2) | instskip(NEXT) | instid1(VALU_DEP_2)
	v_cmp_eq_u32_e32 vcc_lo, 0, v116
	v_cndmask_b32_e32 v116, v118, v117, vcc_lo
; %bb.1038:                             ;   in Loop: Header=BB6_1002 Depth=2
	s_or_b32 exec_lo, exec_lo, s20
	v_and_b32_e32 v10, 0xffff0000, v10
	s_delay_alu instid0(VALU_DEP_1) | instskip(NEXT) | instid1(VALU_DEP_1)
	v_mul_f32_e32 v10, v99, v10
	v_and_b32_e32 v117, 0x7f800000, v10
	s_delay_alu instid0(VALU_DEP_1) | instskip(SKIP_1) | instid1(SALU_CYCLE_1)
	v_cmp_ne_u32_e32 vcc_lo, 0x7f800000, v117
                                        ; implicit-def: $vgpr117
	s_and_saveexec_b32 s20, vcc_lo
	s_xor_b32 s20, exec_lo, s20
; %bb.1039:                             ;   in Loop: Header=BB6_1002 Depth=2
	v_bfe_u32 v117, v10, 16, 1
	s_delay_alu instid0(VALU_DEP_1)
	v_add3_u32 v117, v10, v117, 0x7fff
                                        ; implicit-def: $vgpr10
; %bb.1040:                             ;   in Loop: Header=BB6_1002 Depth=2
	s_and_not1_saveexec_b32 s20, s20
; %bb.1041:                             ;   in Loop: Header=BB6_1002 Depth=2
	v_and_b32_e32 v117, 0xffff, v10
	v_or_b32_e32 v118, 0x10000, v10
	s_delay_alu instid0(VALU_DEP_2) | instskip(NEXT) | instid1(VALU_DEP_2)
	v_cmp_eq_u32_e32 vcc_lo, 0, v117
	v_cndmask_b32_e32 v117, v118, v10, vcc_lo
; %bb.1042:                             ;   in Loop: Header=BB6_1002 Depth=2
	s_or_b32 exec_lo, exec_lo, s20
	v_lshlrev_b32_e32 v10, 16, v11
	s_delay_alu instid0(VALU_DEP_1) | instskip(NEXT) | instid1(VALU_DEP_1)
	v_mul_f32_e32 v10, v99, v10
	v_and_b32_e32 v118, 0x7f800000, v10
	s_delay_alu instid0(VALU_DEP_1) | instskip(SKIP_1) | instid1(SALU_CYCLE_1)
	v_cmp_ne_u32_e32 vcc_lo, 0x7f800000, v118
                                        ; implicit-def: $vgpr118
	s_and_saveexec_b32 s20, vcc_lo
	s_xor_b32 s20, exec_lo, s20
; %bb.1043:                             ;   in Loop: Header=BB6_1002 Depth=2
	v_bfe_u32 v118, v10, 16, 1
	s_delay_alu instid0(VALU_DEP_1)
	v_add3_u32 v118, v10, v118, 0x7fff
                                        ; implicit-def: $vgpr10
; %bb.1044:                             ;   in Loop: Header=BB6_1002 Depth=2
	s_and_not1_saveexec_b32 s20, s20
; %bb.1045:                             ;   in Loop: Header=BB6_1002 Depth=2
	v_and_b32_e32 v118, 0xffff, v10
	v_or_b32_e32 v119, 0x10000, v10
	s_delay_alu instid0(VALU_DEP_2) | instskip(NEXT) | instid1(VALU_DEP_2)
	v_cmp_eq_u32_e32 vcc_lo, 0, v118
	v_cndmask_b32_e32 v118, v119, v10, vcc_lo
; %bb.1046:                             ;   in Loop: Header=BB6_1002 Depth=2
	s_or_b32 exec_lo, exec_lo, s20
	v_and_b32_e32 v10, 0xffff0000, v11
	s_mov_b32 s20, exec_lo
                                        ; implicit-def: $vgpr119
	s_delay_alu instid0(VALU_DEP_1) | instskip(NEXT) | instid1(VALU_DEP_1)
	v_mul_f32_e32 v10, v99, v10
	v_and_b32_e32 v11, 0x7f800000, v10
	s_delay_alu instid0(VALU_DEP_1)
	v_cmpx_ne_u32_e32 0x7f800000, v11
	s_xor_b32 s20, exec_lo, s20
; %bb.1047:                             ;   in Loop: Header=BB6_1002 Depth=2
	v_bfe_u32 v11, v10, 16, 1
	s_delay_alu instid0(VALU_DEP_1)
	v_add3_u32 v119, v10, v11, 0x7fff
                                        ; implicit-def: $vgpr10
; %bb.1048:                             ;   in Loop: Header=BB6_1002 Depth=2
	s_and_not1_saveexec_b32 s20, s20
; %bb.1049:                             ;   in Loop: Header=BB6_1002 Depth=2
	v_and_b32_e32 v11, 0xffff, v10
	v_or_b32_e32 v119, 0x10000, v10
	s_delay_alu instid0(VALU_DEP_2) | instskip(NEXT) | instid1(VALU_DEP_2)
	v_cmp_eq_u32_e32 vcc_lo, 0, v11
	v_cndmask_b32_e32 v119, v119, v10, vcc_lo
; %bb.1050:                             ;   in Loop: Header=BB6_1002 Depth=2
	s_or_b32 exec_lo, exec_lo, s20
	v_lshlrev_b32_e32 v10, 16, v12
	s_mov_b32 s20, exec_lo
                                        ; implicit-def: $vgpr40
	s_delay_alu instid0(VALU_DEP_1) | instskip(NEXT) | instid1(VALU_DEP_1)
	v_mul_f32_e32 v10, v99, v10
	v_and_b32_e32 v11, 0x7f800000, v10
	s_delay_alu instid0(VALU_DEP_1)
	v_cmpx_ne_u32_e32 0x7f800000, v11
	s_xor_b32 s20, exec_lo, s20
; %bb.1051:                             ;   in Loop: Header=BB6_1002 Depth=2
	v_bfe_u32 v11, v10, 16, 1
	s_delay_alu instid0(VALU_DEP_1)
	v_add3_u32 v40, v10, v11, 0x7fff
                                        ; implicit-def: $vgpr10
; %bb.1052:                             ;   in Loop: Header=BB6_1002 Depth=2
	s_and_not1_saveexec_b32 s20, s20
; %bb.1053:                             ;   in Loop: Header=BB6_1002 Depth=2
	v_and_b32_e32 v11, 0xffff, v10
	v_or_b32_e32 v40, 0x10000, v10
	s_delay_alu instid0(VALU_DEP_2) | instskip(NEXT) | instid1(VALU_DEP_2)
	v_cmp_eq_u32_e32 vcc_lo, 0, v11
	v_cndmask_b32_e32 v40, v40, v10, vcc_lo
; %bb.1054:                             ;   in Loop: Header=BB6_1002 Depth=2
	s_or_b32 exec_lo, exec_lo, s20
	v_and_b32_e32 v10, 0xffff0000, v12
	s_mov_b32 s20, exec_lo
                                        ; implicit-def: $vgpr41
	s_delay_alu instid0(VALU_DEP_1) | instskip(NEXT) | instid1(VALU_DEP_1)
	v_mul_f32_e32 v10, v99, v10
	v_and_b32_e32 v11, 0x7f800000, v10
	s_delay_alu instid0(VALU_DEP_1)
	v_cmpx_ne_u32_e32 0x7f800000, v11
	s_xor_b32 s20, exec_lo, s20
; %bb.1055:                             ;   in Loop: Header=BB6_1002 Depth=2
	v_bfe_u32 v11, v10, 16, 1
	s_delay_alu instid0(VALU_DEP_1)
	v_add3_u32 v41, v10, v11, 0x7fff
                                        ; implicit-def: $vgpr10
; %bb.1056:                             ;   in Loop: Header=BB6_1002 Depth=2
	s_and_not1_saveexec_b32 s20, s20
; %bb.1057:                             ;   in Loop: Header=BB6_1002 Depth=2
	v_and_b32_e32 v11, 0xffff, v10
	v_or_b32_e32 v12, 0x10000, v10
	s_delay_alu instid0(VALU_DEP_2) | instskip(NEXT) | instid1(VALU_DEP_2)
	v_cmp_eq_u32_e32 vcc_lo, 0, v11
	v_cndmask_b32_e32 v41, v12, v10, vcc_lo
; %bb.1058:                             ;   in Loop: Header=BB6_1002 Depth=2
	s_or_b32 exec_lo, exec_lo, s20
	v_lshlrev_b32_e32 v10, 16, v13
	s_mov_b32 s20, exec_lo
                                        ; implicit-def: $vgpr42
	s_delay_alu instid0(VALU_DEP_1) | instskip(NEXT) | instid1(VALU_DEP_1)
	v_mul_f32_e32 v10, v99, v10
	v_and_b32_e32 v11, 0x7f800000, v10
	s_delay_alu instid0(VALU_DEP_1)
	v_cmpx_ne_u32_e32 0x7f800000, v11
	s_xor_b32 s20, exec_lo, s20
; %bb.1059:                             ;   in Loop: Header=BB6_1002 Depth=2
	v_bfe_u32 v11, v10, 16, 1
	s_delay_alu instid0(VALU_DEP_1)
	v_add3_u32 v42, v10, v11, 0x7fff
                                        ; implicit-def: $vgpr10
; %bb.1060:                             ;   in Loop: Header=BB6_1002 Depth=2
	s_and_not1_saveexec_b32 s20, s20
; %bb.1061:                             ;   in Loop: Header=BB6_1002 Depth=2
	v_and_b32_e32 v11, 0xffff, v10
	v_or_b32_e32 v12, 0x10000, v10
	s_delay_alu instid0(VALU_DEP_2) | instskip(NEXT) | instid1(VALU_DEP_2)
	v_cmp_eq_u32_e32 vcc_lo, 0, v11
	v_cndmask_b32_e32 v42, v12, v10, vcc_lo
; %bb.1062:                             ;   in Loop: Header=BB6_1002 Depth=2
	s_or_b32 exec_lo, exec_lo, s20
	v_and_b32_e32 v10, 0xffff0000, v13
	s_mov_b32 s20, exec_lo
                                        ; implicit-def: $vgpr43
	s_delay_alu instid0(VALU_DEP_1) | instskip(NEXT) | instid1(VALU_DEP_1)
	v_mul_f32_e32 v10, v99, v10
	v_and_b32_e32 v11, 0x7f800000, v10
	s_delay_alu instid0(VALU_DEP_1)
	v_cmpx_ne_u32_e32 0x7f800000, v11
	s_xor_b32 s20, exec_lo, s20
; %bb.1063:                             ;   in Loop: Header=BB6_1002 Depth=2
	v_bfe_u32 v11, v10, 16, 1
	s_delay_alu instid0(VALU_DEP_1)
	v_add3_u32 v43, v10, v11, 0x7fff
                                        ; implicit-def: $vgpr10
; %bb.1064:                             ;   in Loop: Header=BB6_1002 Depth=2
	s_and_not1_saveexec_b32 s20, s20
; %bb.1065:                             ;   in Loop: Header=BB6_1002 Depth=2
	v_and_b32_e32 v11, 0xffff, v10
	v_or_b32_e32 v12, 0x10000, v10
	s_delay_alu instid0(VALU_DEP_2) | instskip(NEXT) | instid1(VALU_DEP_2)
	v_cmp_eq_u32_e32 vcc_lo, 0, v11
	v_cndmask_b32_e32 v43, v12, v10, vcc_lo
; %bb.1066:                             ;   in Loop: Header=BB6_1002 Depth=2
	s_or_b32 exec_lo, exec_lo, s20
	global_load_b128 v[10:13], v[82:83], off offset:1024 th:TH_LOAD_NT
	s_wait_loadcnt 0x0
	v_lshlrev_b32_e32 v44, 16, v10
	s_delay_alu instid0(VALU_DEP_1) | instskip(NEXT) | instid1(VALU_DEP_1)
	v_mul_f32_e32 v45, v99, v44
	v_and_b32_e32 v44, 0x7f800000, v45
	s_delay_alu instid0(VALU_DEP_1) | instskip(SKIP_2) | instid1(SALU_CYCLE_1)
	v_cmp_ne_u32_e32 vcc_lo, 0x7f800000, v44
                                        ; implicit-def: $vgpr44
	s_wait_xcnt 0x0
	s_and_saveexec_b32 s20, vcc_lo
	s_xor_b32 s20, exec_lo, s20
; %bb.1067:                             ;   in Loop: Header=BB6_1002 Depth=2
	v_bfe_u32 v44, v45, 16, 1
	s_delay_alu instid0(VALU_DEP_1)
	v_add3_u32 v44, v45, v44, 0x7fff
                                        ; implicit-def: $vgpr45
; %bb.1068:                             ;   in Loop: Header=BB6_1002 Depth=2
	s_and_not1_saveexec_b32 s20, s20
; %bb.1069:                             ;   in Loop: Header=BB6_1002 Depth=2
	v_and_b32_e32 v44, 0xffff, v45
	v_or_b32_e32 v46, 0x10000, v45
	s_delay_alu instid0(VALU_DEP_2) | instskip(NEXT) | instid1(VALU_DEP_2)
	v_cmp_eq_u32_e32 vcc_lo, 0, v44
	v_cndmask_b32_e32 v44, v46, v45, vcc_lo
; %bb.1070:                             ;   in Loop: Header=BB6_1002 Depth=2
	s_or_b32 exec_lo, exec_lo, s20
	v_and_b32_e32 v10, 0xffff0000, v10
	s_delay_alu instid0(VALU_DEP_1) | instskip(NEXT) | instid1(VALU_DEP_1)
	v_mul_f32_e32 v10, v99, v10
	v_and_b32_e32 v45, 0x7f800000, v10
	s_delay_alu instid0(VALU_DEP_1) | instskip(SKIP_1) | instid1(SALU_CYCLE_1)
	v_cmp_ne_u32_e32 vcc_lo, 0x7f800000, v45
                                        ; implicit-def: $vgpr45
	s_and_saveexec_b32 s20, vcc_lo
	s_xor_b32 s20, exec_lo, s20
; %bb.1071:                             ;   in Loop: Header=BB6_1002 Depth=2
	v_bfe_u32 v45, v10, 16, 1
	s_delay_alu instid0(VALU_DEP_1)
	v_add3_u32 v45, v10, v45, 0x7fff
                                        ; implicit-def: $vgpr10
; %bb.1072:                             ;   in Loop: Header=BB6_1002 Depth=2
	s_and_not1_saveexec_b32 s20, s20
; %bb.1073:                             ;   in Loop: Header=BB6_1002 Depth=2
	v_and_b32_e32 v45, 0xffff, v10
	v_or_b32_e32 v46, 0x10000, v10
	s_delay_alu instid0(VALU_DEP_2) | instskip(NEXT) | instid1(VALU_DEP_2)
	v_cmp_eq_u32_e32 vcc_lo, 0, v45
	v_cndmask_b32_e32 v45, v46, v10, vcc_lo
; %bb.1074:                             ;   in Loop: Header=BB6_1002 Depth=2
	s_or_b32 exec_lo, exec_lo, s20
	v_lshlrev_b32_e32 v10, 16, v11
	s_delay_alu instid0(VALU_DEP_1) | instskip(NEXT) | instid1(VALU_DEP_1)
	v_mul_f32_e32 v10, v99, v10
	v_and_b32_e32 v46, 0x7f800000, v10
	s_delay_alu instid0(VALU_DEP_1) | instskip(SKIP_1) | instid1(SALU_CYCLE_1)
	v_cmp_ne_u32_e32 vcc_lo, 0x7f800000, v46
                                        ; implicit-def: $vgpr46
	s_and_saveexec_b32 s20, vcc_lo
	s_xor_b32 s20, exec_lo, s20
; %bb.1075:                             ;   in Loop: Header=BB6_1002 Depth=2
	v_bfe_u32 v46, v10, 16, 1
	s_delay_alu instid0(VALU_DEP_1)
	v_add3_u32 v46, v10, v46, 0x7fff
                                        ; implicit-def: $vgpr10
; %bb.1076:                             ;   in Loop: Header=BB6_1002 Depth=2
	s_and_not1_saveexec_b32 s20, s20
; %bb.1077:                             ;   in Loop: Header=BB6_1002 Depth=2
	v_and_b32_e32 v46, 0xffff, v10
	v_or_b32_e32 v47, 0x10000, v10
	s_delay_alu instid0(VALU_DEP_2) | instskip(NEXT) | instid1(VALU_DEP_2)
	v_cmp_eq_u32_e32 vcc_lo, 0, v46
	v_cndmask_b32_e32 v46, v47, v10, vcc_lo
; %bb.1078:                             ;   in Loop: Header=BB6_1002 Depth=2
	s_or_b32 exec_lo, exec_lo, s20
	v_and_b32_e32 v10, 0xffff0000, v11
	s_mov_b32 s20, exec_lo
                                        ; implicit-def: $vgpr47
	s_delay_alu instid0(VALU_DEP_1) | instskip(NEXT) | instid1(VALU_DEP_1)
	v_mul_f32_e32 v10, v99, v10
	v_and_b32_e32 v11, 0x7f800000, v10
	s_delay_alu instid0(VALU_DEP_1)
	v_cmpx_ne_u32_e32 0x7f800000, v11
	s_xor_b32 s20, exec_lo, s20
; %bb.1079:                             ;   in Loop: Header=BB6_1002 Depth=2
	v_bfe_u32 v11, v10, 16, 1
	s_delay_alu instid0(VALU_DEP_1)
	v_add3_u32 v47, v10, v11, 0x7fff
                                        ; implicit-def: $vgpr10
; %bb.1080:                             ;   in Loop: Header=BB6_1002 Depth=2
	s_and_not1_saveexec_b32 s20, s20
; %bb.1081:                             ;   in Loop: Header=BB6_1002 Depth=2
	v_and_b32_e32 v11, 0xffff, v10
	v_or_b32_e32 v47, 0x10000, v10
	s_delay_alu instid0(VALU_DEP_2) | instskip(NEXT) | instid1(VALU_DEP_2)
	v_cmp_eq_u32_e32 vcc_lo, 0, v11
	v_cndmask_b32_e32 v47, v47, v10, vcc_lo
; %bb.1082:                             ;   in Loop: Header=BB6_1002 Depth=2
	s_or_b32 exec_lo, exec_lo, s20
	v_lshlrev_b32_e32 v10, 16, v12
	s_mov_b32 s20, exec_lo
                                        ; implicit-def: $vgpr56
	s_delay_alu instid0(VALU_DEP_1) | instskip(NEXT) | instid1(VALU_DEP_1)
	v_mul_f32_e32 v10, v99, v10
	v_and_b32_e32 v11, 0x7f800000, v10
	s_delay_alu instid0(VALU_DEP_1)
	v_cmpx_ne_u32_e32 0x7f800000, v11
	s_xor_b32 s20, exec_lo, s20
; %bb.1083:                             ;   in Loop: Header=BB6_1002 Depth=2
	v_bfe_u32 v11, v10, 16, 1
	s_delay_alu instid0(VALU_DEP_1)
	v_add3_u32 v56, v10, v11, 0x7fff
                                        ; implicit-def: $vgpr10
; %bb.1084:                             ;   in Loop: Header=BB6_1002 Depth=2
	s_and_not1_saveexec_b32 s20, s20
; %bb.1085:                             ;   in Loop: Header=BB6_1002 Depth=2
	v_and_b32_e32 v11, 0xffff, v10
	v_or_b32_e32 v56, 0x10000, v10
	s_delay_alu instid0(VALU_DEP_2) | instskip(NEXT) | instid1(VALU_DEP_2)
	v_cmp_eq_u32_e32 vcc_lo, 0, v11
	v_cndmask_b32_e32 v56, v56, v10, vcc_lo
; %bb.1086:                             ;   in Loop: Header=BB6_1002 Depth=2
	s_or_b32 exec_lo, exec_lo, s20
	v_and_b32_e32 v10, 0xffff0000, v12
	s_mov_b32 s20, exec_lo
                                        ; implicit-def: $vgpr57
	s_delay_alu instid0(VALU_DEP_1) | instskip(NEXT) | instid1(VALU_DEP_1)
	v_mul_f32_e32 v10, v99, v10
	v_and_b32_e32 v11, 0x7f800000, v10
	s_delay_alu instid0(VALU_DEP_1)
	v_cmpx_ne_u32_e32 0x7f800000, v11
	s_xor_b32 s20, exec_lo, s20
; %bb.1087:                             ;   in Loop: Header=BB6_1002 Depth=2
	v_bfe_u32 v11, v10, 16, 1
	s_delay_alu instid0(VALU_DEP_1)
	v_add3_u32 v57, v10, v11, 0x7fff
                                        ; implicit-def: $vgpr10
; %bb.1088:                             ;   in Loop: Header=BB6_1002 Depth=2
	s_and_not1_saveexec_b32 s20, s20
; %bb.1089:                             ;   in Loop: Header=BB6_1002 Depth=2
	v_and_b32_e32 v11, 0xffff, v10
	v_or_b32_e32 v12, 0x10000, v10
	s_delay_alu instid0(VALU_DEP_2) | instskip(NEXT) | instid1(VALU_DEP_2)
	v_cmp_eq_u32_e32 vcc_lo, 0, v11
	v_cndmask_b32_e32 v57, v12, v10, vcc_lo
; %bb.1090:                             ;   in Loop: Header=BB6_1002 Depth=2
	s_or_b32 exec_lo, exec_lo, s20
	v_lshlrev_b32_e32 v10, 16, v13
	s_mov_b32 s20, exec_lo
                                        ; implicit-def: $vgpr58
	s_delay_alu instid0(VALU_DEP_1) | instskip(NEXT) | instid1(VALU_DEP_1)
	v_mul_f32_e32 v10, v99, v10
	v_and_b32_e32 v11, 0x7f800000, v10
	s_delay_alu instid0(VALU_DEP_1)
	v_cmpx_ne_u32_e32 0x7f800000, v11
	s_xor_b32 s20, exec_lo, s20
; %bb.1091:                             ;   in Loop: Header=BB6_1002 Depth=2
	v_bfe_u32 v11, v10, 16, 1
	s_delay_alu instid0(VALU_DEP_1)
	v_add3_u32 v58, v10, v11, 0x7fff
                                        ; implicit-def: $vgpr10
; %bb.1092:                             ;   in Loop: Header=BB6_1002 Depth=2
	s_and_not1_saveexec_b32 s20, s20
; %bb.1093:                             ;   in Loop: Header=BB6_1002 Depth=2
	v_and_b32_e32 v11, 0xffff, v10
	v_or_b32_e32 v12, 0x10000, v10
	s_delay_alu instid0(VALU_DEP_2) | instskip(NEXT) | instid1(VALU_DEP_2)
	v_cmp_eq_u32_e32 vcc_lo, 0, v11
	v_cndmask_b32_e32 v58, v12, v10, vcc_lo
; %bb.1094:                             ;   in Loop: Header=BB6_1002 Depth=2
	s_or_b32 exec_lo, exec_lo, s20
	v_and_b32_e32 v10, 0xffff0000, v13
	s_mov_b32 s20, exec_lo
                                        ; implicit-def: $vgpr59
	s_delay_alu instid0(VALU_DEP_1) | instskip(NEXT) | instid1(VALU_DEP_1)
	v_mul_f32_e32 v10, v99, v10
	v_and_b32_e32 v11, 0x7f800000, v10
	s_delay_alu instid0(VALU_DEP_1)
	v_cmpx_ne_u32_e32 0x7f800000, v11
	s_xor_b32 s20, exec_lo, s20
; %bb.1095:                             ;   in Loop: Header=BB6_1002 Depth=2
	v_bfe_u32 v11, v10, 16, 1
	s_delay_alu instid0(VALU_DEP_1)
	v_add3_u32 v59, v10, v11, 0x7fff
                                        ; implicit-def: $vgpr10
; %bb.1096:                             ;   in Loop: Header=BB6_1002 Depth=2
	s_and_not1_saveexec_b32 s20, s20
; %bb.1097:                             ;   in Loop: Header=BB6_1002 Depth=2
	v_and_b32_e32 v11, 0xffff, v10
	v_or_b32_e32 v12, 0x10000, v10
	s_delay_alu instid0(VALU_DEP_2) | instskip(NEXT) | instid1(VALU_DEP_2)
	v_cmp_eq_u32_e32 vcc_lo, 0, v11
	v_cndmask_b32_e32 v59, v12, v10, vcc_lo
; %bb.1098:                             ;   in Loop: Header=BB6_1002 Depth=2
	s_or_b32 exec_lo, exec_lo, s20
	global_load_b128 v[10:13], v[82:83], off offset:1536 th:TH_LOAD_NT
	s_wait_loadcnt 0x0
	v_lshlrev_b32_e32 v82, 16, v10
	s_delay_alu instid0(VALU_DEP_1) | instskip(NEXT) | instid1(VALU_DEP_1)
	v_mul_f32_e32 v83, v99, v82
	v_and_b32_e32 v82, 0x7f800000, v83
	s_delay_alu instid0(VALU_DEP_1) | instskip(SKIP_1) | instid1(SALU_CYCLE_1)
	v_cmp_ne_u32_e32 vcc_lo, 0x7f800000, v82
                                        ; implicit-def: $vgpr82
	s_and_saveexec_b32 s20, vcc_lo
	s_xor_b32 s20, exec_lo, s20
; %bb.1099:                             ;   in Loop: Header=BB6_1002 Depth=2
	v_bfe_u32 v82, v83, 16, 1
	s_delay_alu instid0(VALU_DEP_1)
	v_add3_u32 v82, v83, v82, 0x7fff
                                        ; implicit-def: $vgpr83
; %bb.1100:                             ;   in Loop: Header=BB6_1002 Depth=2
	s_and_not1_saveexec_b32 s20, s20
; %bb.1101:                             ;   in Loop: Header=BB6_1002 Depth=2
	v_and_b32_e32 v82, 0xffff, v83
	v_or_b32_e32 v60, 0x10000, v83
	s_delay_alu instid0(VALU_DEP_2) | instskip(NEXT) | instid1(VALU_DEP_2)
	v_cmp_eq_u32_e32 vcc_lo, 0, v82
	v_cndmask_b32_e32 v82, v60, v83, vcc_lo
; %bb.1102:                             ;   in Loop: Header=BB6_1002 Depth=2
	s_or_b32 exec_lo, exec_lo, s20
	v_and_b32_e32 v10, 0xffff0000, v10
	s_delay_alu instid0(VALU_DEP_1) | instskip(NEXT) | instid1(VALU_DEP_1)
	v_mul_f32_e32 v83, v99, v10
	v_and_b32_e32 v10, 0x7f800000, v83
	s_delay_alu instid0(VALU_DEP_1) | instskip(SKIP_1) | instid1(SALU_CYCLE_1)
	v_cmp_ne_u32_e32 vcc_lo, 0x7f800000, v10
                                        ; implicit-def: $vgpr10
	s_and_saveexec_b32 s20, vcc_lo
	s_xor_b32 s20, exec_lo, s20
; %bb.1103:                             ;   in Loop: Header=BB6_1002 Depth=2
	v_bfe_u32 v10, v83, 16, 1
	s_delay_alu instid0(VALU_DEP_1)
	v_add3_u32 v10, v83, v10, 0x7fff
                                        ; implicit-def: $vgpr83
; %bb.1104:                             ;   in Loop: Header=BB6_1002 Depth=2
	s_and_not1_saveexec_b32 s20, s20
; %bb.1105:                             ;   in Loop: Header=BB6_1002 Depth=2
	v_and_b32_e32 v10, 0xffff, v83
	v_or_b32_e32 v60, 0x10000, v83
	s_delay_alu instid0(VALU_DEP_2) | instskip(NEXT) | instid1(VALU_DEP_2)
	v_cmp_eq_u32_e32 vcc_lo, 0, v10
	v_cndmask_b32_e32 v10, v60, v83, vcc_lo
; %bb.1106:                             ;   in Loop: Header=BB6_1002 Depth=2
	s_or_b32 exec_lo, exec_lo, s20
	v_lshlrev_b32_e32 v83, 16, v11
	s_delay_alu instid0(VALU_DEP_1) | instskip(NEXT) | instid1(VALU_DEP_1)
	v_mul_f32_e32 v60, v99, v83
	v_and_b32_e32 v83, 0x7f800000, v60
	s_delay_alu instid0(VALU_DEP_1) | instskip(SKIP_1) | instid1(SALU_CYCLE_1)
	v_cmp_ne_u32_e32 vcc_lo, 0x7f800000, v83
                                        ; implicit-def: $vgpr83
	s_and_saveexec_b32 s20, vcc_lo
	s_xor_b32 s20, exec_lo, s20
; %bb.1107:                             ;   in Loop: Header=BB6_1002 Depth=2
	v_bfe_u32 v83, v60, 16, 1
	s_delay_alu instid0(VALU_DEP_1)
	v_add3_u32 v83, v60, v83, 0x7fff
                                        ; implicit-def: $vgpr60
; %bb.1108:                             ;   in Loop: Header=BB6_1002 Depth=2
	s_and_not1_saveexec_b32 s20, s20
; %bb.1109:                             ;   in Loop: Header=BB6_1002 Depth=2
	v_and_b32_e32 v83, 0xffff, v60
	v_or_b32_e32 v61, 0x10000, v60
	s_delay_alu instid0(VALU_DEP_2) | instskip(NEXT) | instid1(VALU_DEP_2)
	v_cmp_eq_u32_e32 vcc_lo, 0, v83
	v_cndmask_b32_e32 v83, v61, v60, vcc_lo
; %bb.1110:                             ;   in Loop: Header=BB6_1002 Depth=2
	s_or_b32 exec_lo, exec_lo, s20
	v_and_b32_e32 v11, 0xffff0000, v11
	s_delay_alu instid0(VALU_DEP_1) | instskip(NEXT) | instid1(VALU_DEP_1)
	v_mul_f32_e32 v60, v99, v11
	v_and_b32_e32 v11, 0x7f800000, v60
	s_delay_alu instid0(VALU_DEP_1) | instskip(SKIP_1) | instid1(SALU_CYCLE_1)
	v_cmp_ne_u32_e32 vcc_lo, 0x7f800000, v11
                                        ; implicit-def: $vgpr11
	s_and_saveexec_b32 s20, vcc_lo
	s_xor_b32 s20, exec_lo, s20
; %bb.1111:                             ;   in Loop: Header=BB6_1002 Depth=2
	v_bfe_u32 v11, v60, 16, 1
	s_delay_alu instid0(VALU_DEP_1)
	v_add3_u32 v11, v60, v11, 0x7fff
                                        ; implicit-def: $vgpr60
; %bb.1112:                             ;   in Loop: Header=BB6_1002 Depth=2
	s_and_not1_saveexec_b32 s20, s20
; %bb.1113:                             ;   in Loop: Header=BB6_1002 Depth=2
	v_and_b32_e32 v11, 0xffff, v60
	v_or_b32_e32 v61, 0x10000, v60
	s_delay_alu instid0(VALU_DEP_2) | instskip(NEXT) | instid1(VALU_DEP_2)
	v_cmp_eq_u32_e32 vcc_lo, 0, v11
	v_cndmask_b32_e32 v11, v61, v60, vcc_lo
; %bb.1114:                             ;   in Loop: Header=BB6_1002 Depth=2
	s_or_b32 exec_lo, exec_lo, s20
	v_lshlrev_b32_e32 v60, 16, v12
	s_delay_alu instid0(VALU_DEP_1) | instskip(NEXT) | instid1(VALU_DEP_1)
	v_mul_f32_e32 v61, v99, v60
	v_and_b32_e32 v60, 0x7f800000, v61
	s_delay_alu instid0(VALU_DEP_1) | instskip(SKIP_1) | instid1(SALU_CYCLE_1)
	v_cmp_ne_u32_e32 vcc_lo, 0x7f800000, v60
                                        ; implicit-def: $vgpr60
	s_and_saveexec_b32 s20, vcc_lo
	s_xor_b32 s20, exec_lo, s20
; %bb.1115:                             ;   in Loop: Header=BB6_1002 Depth=2
	v_bfe_u32 v60, v61, 16, 1
	s_delay_alu instid0(VALU_DEP_1)
	v_add3_u32 v60, v61, v60, 0x7fff
                                        ; implicit-def: $vgpr61
; %bb.1116:                             ;   in Loop: Header=BB6_1002 Depth=2
	s_and_not1_saveexec_b32 s20, s20
; %bb.1117:                             ;   in Loop: Header=BB6_1002 Depth=2
	v_and_b32_e32 v60, 0xffff, v61
	v_or_b32_e32 v62, 0x10000, v61
	s_delay_alu instid0(VALU_DEP_2) | instskip(NEXT) | instid1(VALU_DEP_2)
	v_cmp_eq_u32_e32 vcc_lo, 0, v60
	v_cndmask_b32_e32 v60, v62, v61, vcc_lo
; %bb.1118:                             ;   in Loop: Header=BB6_1002 Depth=2
	s_or_b32 exec_lo, exec_lo, s20
	v_and_b32_e32 v12, 0xffff0000, v12
	s_delay_alu instid0(VALU_DEP_1) | instskip(NEXT) | instid1(VALU_DEP_1)
	v_mul_f32_e32 v61, v99, v12
	v_and_b32_e32 v12, 0x7f800000, v61
	s_delay_alu instid0(VALU_DEP_1) | instskip(SKIP_1) | instid1(SALU_CYCLE_1)
	v_cmp_ne_u32_e32 vcc_lo, 0x7f800000, v12
                                        ; implicit-def: $vgpr12
	s_and_saveexec_b32 s20, vcc_lo
	s_xor_b32 s20, exec_lo, s20
; %bb.1119:                             ;   in Loop: Header=BB6_1002 Depth=2
	v_bfe_u32 v12, v61, 16, 1
	s_delay_alu instid0(VALU_DEP_1)
	v_add3_u32 v12, v61, v12, 0x7fff
                                        ; implicit-def: $vgpr61
; %bb.1120:                             ;   in Loop: Header=BB6_1002 Depth=2
	s_and_not1_saveexec_b32 s20, s20
; %bb.1121:                             ;   in Loop: Header=BB6_1002 Depth=2
	v_and_b32_e32 v12, 0xffff, v61
	v_or_b32_e32 v62, 0x10000, v61
	s_delay_alu instid0(VALU_DEP_2) | instskip(NEXT) | instid1(VALU_DEP_2)
	v_cmp_eq_u32_e32 vcc_lo, 0, v12
	v_cndmask_b32_e32 v12, v62, v61, vcc_lo
; %bb.1122:                             ;   in Loop: Header=BB6_1002 Depth=2
	s_or_b32 exec_lo, exec_lo, s20
	v_lshlrev_b32_e32 v61, 16, v13
	s_delay_alu instid0(VALU_DEP_1) | instskip(NEXT) | instid1(VALU_DEP_1)
	v_mul_f32_e32 v62, v99, v61
	v_and_b32_e32 v61, 0x7f800000, v62
	s_delay_alu instid0(VALU_DEP_1) | instskip(SKIP_1) | instid1(SALU_CYCLE_1)
	v_cmp_ne_u32_e32 vcc_lo, 0x7f800000, v61
                                        ; implicit-def: $vgpr61
	s_and_saveexec_b32 s20, vcc_lo
	s_xor_b32 s20, exec_lo, s20
; %bb.1123:                             ;   in Loop: Header=BB6_1002 Depth=2
	v_bfe_u32 v61, v62, 16, 1
	s_delay_alu instid0(VALU_DEP_1)
	v_add3_u32 v61, v62, v61, 0x7fff
                                        ; implicit-def: $vgpr62
; %bb.1124:                             ;   in Loop: Header=BB6_1002 Depth=2
	s_and_not1_saveexec_b32 s20, s20
; %bb.1125:                             ;   in Loop: Header=BB6_1002 Depth=2
	v_and_b32_e32 v61, 0xffff, v62
	v_or_b32_e32 v63, 0x10000, v62
	s_delay_alu instid0(VALU_DEP_2) | instskip(NEXT) | instid1(VALU_DEP_2)
	v_cmp_eq_u32_e32 vcc_lo, 0, v61
	v_cndmask_b32_e32 v61, v63, v62, vcc_lo
; %bb.1126:                             ;   in Loop: Header=BB6_1002 Depth=2
	s_or_b32 exec_lo, exec_lo, s20
	v_and_b32_e32 v13, 0xffff0000, v13
	s_delay_alu instid0(VALU_DEP_1) | instskip(NEXT) | instid1(VALU_DEP_1)
	v_mul_f32_e32 v62, v99, v13
	v_and_b32_e32 v13, 0x7f800000, v62
	s_delay_alu instid0(VALU_DEP_1) | instskip(SKIP_1) | instid1(SALU_CYCLE_1)
	v_cmp_ne_u32_e32 vcc_lo, 0x7f800000, v13
                                        ; implicit-def: $vgpr13
	s_and_saveexec_b32 s20, vcc_lo
	s_xor_b32 s20, exec_lo, s20
; %bb.1127:                             ;   in Loop: Header=BB6_1002 Depth=2
	v_bfe_u32 v13, v62, 16, 1
	s_delay_alu instid0(VALU_DEP_1)
	v_add3_u32 v13, v62, v13, 0x7fff
                                        ; implicit-def: $vgpr62
; %bb.1128:                             ;   in Loop: Header=BB6_1002 Depth=2
	s_and_not1_saveexec_b32 s20, s20
	s_cbranch_execz .LBB6_1001
; %bb.1129:                             ;   in Loop: Header=BB6_1002 Depth=2
	v_and_b32_e32 v13, 0xffff, v62
	v_or_b32_e32 v63, 0x10000, v62
	s_delay_alu instid0(VALU_DEP_2) | instskip(NEXT) | instid1(VALU_DEP_2)
	v_cmp_eq_u32_e32 vcc_lo, 0, v13
	v_cndmask_b32_e32 v13, v63, v62, vcc_lo
	s_branch .LBB6_1001
.LBB6_1130:                             ;   in Loop: Header=BB6_927 Depth=1
	s_or_b32 exec_lo, exec_lo, s19
.LBB6_1131:                             ;   in Loop: Header=BB6_927 Depth=1
	s_delay_alu instid0(SALU_CYCLE_1) | instskip(SKIP_3) | instid1(VALU_DEP_1)
	s_or_b32 exec_lo, exec_lo, s10
	v_dual_lshlrev_b32 v80, 11, v97 :: v_dual_mov_b32 v82, 0
	s_mov_b32 s20, 0
	s_mov_b32 s19, exec_lo
                                        ; implicit-def: $vgpr83
	v_cmpx_ne_u32_e64 v87, v80
	s_cbranch_execz .LBB6_1169
; %bb.1132:                             ;   in Loop: Header=BB6_927 Depth=1
	v_lshlrev_b32_e32 v10, 5, v96
	s_mov_b32 s20, exec_lo
	s_delay_alu instid0(VALU_DEP_1) | instskip(NEXT) | instid1(VALU_DEP_1)
	v_dual_sub_nc_u32 v12, v87, v80 :: v_dual_sub_nc_u32 v10, v84, v10
	v_dual_ashrrev_i32 v13, 31, v12 :: v_dual_ashrrev_i32 v11, 31, v10
	s_delay_alu instid0(VALU_DEP_1) | instskip(NEXT) | instid1(VALU_DEP_1)
	v_dual_lshrrev_b32 v13, 23, v13 :: v_dual_lshrrev_b32 v11, 27, v11
	v_add_nc_u32_e32 v11, v10, v11
	s_delay_alu instid0(VALU_DEP_1) | instskip(NEXT) | instid1(VALU_DEP_1)
	v_and_b32_e32 v70, 0xffffffe0, v11
	v_dual_add_nc_u32 v13, v12, v13 :: v_dual_sub_nc_u32 v81, v10, v70
	s_delay_alu instid0(VALU_DEP_1) | instskip(SKIP_1) | instid1(VALU_DEP_2)
	v_and_b32_e32 v82, 0xfffffe00, v13
	v_dual_ashrrev_i32 v11, 5, v11 :: v_dual_ashrrev_i32 v13, 9, v13
	v_dual_lshlrev_b32 v10, 4, v81 :: v_dual_sub_nc_u32 v83, v12, v82
	s_delay_alu instid0(VALU_DEP_1) | instskip(NEXT) | instid1(VALU_DEP_2)
	v_lshl_add_u32 v10, v11, 9, v10
	v_cmp_lt_i32_e32 vcc_lo, 15, v83
	s_delay_alu instid0(VALU_DEP_4) | instskip(NEXT) | instid1(VALU_DEP_1)
	v_add_co_ci_u32_e64 v13, null, 0, v13, vcc_lo
	v_dual_sub_nc_u32 v97, v12, v10 :: v_dual_sub_nc_u32 v96, v13, v11
	s_delay_alu instid0(VALU_DEP_1)
	v_cmpx_lt_i32_e32 15, v97
	s_cbranch_execz .LBB6_1168
; %bb.1133:                             ;   in Loop: Header=BB6_927 Depth=1
	s_trap 2
	ds_load_b32 v11, v0
	v_add_nc_u32_e32 v70, v10, v80
	s_mov_b32 s21, 0
	s_wait_dscnt 0x0
	s_delay_alu instid0(VALU_DEP_1)
	v_dual_lshlrev_b32 v99, 16, v11 :: v_dual_ashrrev_i32 v71, 31, v70
	s_branch .LBB6_1135
.LBB6_1134:                             ;   in Loop: Header=BB6_1135 Depth=2
	s_or_b32 exec_lo, exec_lo, s22
	v_dual_lshrrev_b32 v101, 16, v101 :: v_dual_lshrrev_b32 v100, 16, v100
	v_dual_lshrrev_b32 v102, 16, v102 :: v_dual_sub_nc_u32 v97, v97, v48
	v_add_nc_u64_e32 v[112:113], v[68:69], v[70:71]
	s_delay_alu instid0(VALU_DEP_3) | instskip(SKIP_1) | instid1(VALU_DEP_4)
	v_and_or_b32 v11, 0xffff0000, v11, v101
	v_dual_lshrrev_b32 v101, 16, v103 :: v_dual_sub_nc_u32 v96, v96, v16
	v_cmp_gt_i32_e64 s10, 16, v97
	v_add_nc_u64_e32 v[70:71], v[70:71], v[48:49]
	v_and_or_b32 v10, 0xffff0000, v10, v100
	v_and_or_b32 v12, 0xffff0000, v12, v102
	;; [unrolled: 1-line block ×3, first 2 shown]
	s_or_b32 s21, s10, s21
	global_store_b128 v[112:113], v[10:13], off th:TH_STORE_NT
	s_wait_xcnt 0x0
	s_and_not1_b32 exec_lo, exec_lo, s21
	s_cbranch_execz .LBB6_1167
.LBB6_1135:                             ;   Parent Loop BB6_927 Depth=1
                                        ; =>  This Inner Loop Header: Depth=2
	s_delay_alu instid0(VALU_DEP_1) | instskip(SKIP_3) | instid1(VALU_DEP_1)
	v_add_nc_u64_e32 v[10:11], v[66:67], v[70:71]
	global_load_b128 v[10:13], v[10:11], off th:TH_LOAD_NT
	s_wait_loadcnt 0x0
	v_lshlrev_b32_e32 v100, 16, v10
	v_mul_f32_e32 v101, v99, v100
	s_delay_alu instid0(VALU_DEP_1) | instskip(NEXT) | instid1(VALU_DEP_1)
	v_and_b32_e32 v100, 0x7f800000, v101
	v_cmp_ne_u32_e64 s10, 0x7f800000, v100
                                        ; implicit-def: $vgpr100
	s_wait_xcnt 0x0
	s_and_saveexec_b32 s22, s10
	s_delay_alu instid0(SALU_CYCLE_1)
	s_xor_b32 s10, exec_lo, s22
; %bb.1136:                             ;   in Loop: Header=BB6_1135 Depth=2
	v_bfe_u32 v100, v101, 16, 1
	s_delay_alu instid0(VALU_DEP_1)
	v_add3_u32 v100, v101, v100, 0x7fff
                                        ; implicit-def: $vgpr101
; %bb.1137:                             ;   in Loop: Header=BB6_1135 Depth=2
	s_and_not1_saveexec_b32 s22, s10
; %bb.1138:                             ;   in Loop: Header=BB6_1135 Depth=2
	v_and_b32_e32 v100, 0xffff, v101
	v_or_b32_e32 v102, 0x10000, v101
	s_delay_alu instid0(VALU_DEP_2) | instskip(NEXT) | instid1(VALU_DEP_1)
	v_cmp_eq_u32_e64 s10, 0, v100
	v_cndmask_b32_e64 v100, v102, v101, s10
; %bb.1139:                             ;   in Loop: Header=BB6_1135 Depth=2
	s_or_b32 exec_lo, exec_lo, s22
	v_and_b32_e32 v10, 0xffff0000, v10
	s_delay_alu instid0(VALU_DEP_1) | instskip(NEXT) | instid1(VALU_DEP_1)
	v_mul_f32_e32 v101, v99, v10
	v_and_b32_e32 v10, 0x7f800000, v101
	s_delay_alu instid0(VALU_DEP_1) | instskip(SKIP_1) | instid1(SALU_CYCLE_1)
	v_cmp_ne_u32_e64 s10, 0x7f800000, v10
                                        ; implicit-def: $vgpr10
	s_and_saveexec_b32 s22, s10
	s_xor_b32 s10, exec_lo, s22
; %bb.1140:                             ;   in Loop: Header=BB6_1135 Depth=2
	v_bfe_u32 v10, v101, 16, 1
	s_delay_alu instid0(VALU_DEP_1)
	v_add3_u32 v10, v101, v10, 0x7fff
                                        ; implicit-def: $vgpr101
; %bb.1141:                             ;   in Loop: Header=BB6_1135 Depth=2
	s_and_not1_saveexec_b32 s22, s10
; %bb.1142:                             ;   in Loop: Header=BB6_1135 Depth=2
	v_and_b32_e32 v10, 0xffff, v101
	v_or_b32_e32 v102, 0x10000, v101
	s_delay_alu instid0(VALU_DEP_2) | instskip(NEXT) | instid1(VALU_DEP_1)
	v_cmp_eq_u32_e64 s10, 0, v10
	v_cndmask_b32_e64 v10, v102, v101, s10
; %bb.1143:                             ;   in Loop: Header=BB6_1135 Depth=2
	s_or_b32 exec_lo, exec_lo, s22
	v_lshlrev_b32_e32 v101, 16, v11
	s_delay_alu instid0(VALU_DEP_1) | instskip(NEXT) | instid1(VALU_DEP_1)
	v_mul_f32_e32 v102, v99, v101
	v_and_b32_e32 v101, 0x7f800000, v102
	s_delay_alu instid0(VALU_DEP_1) | instskip(SKIP_1) | instid1(SALU_CYCLE_1)
	v_cmp_ne_u32_e64 s10, 0x7f800000, v101
                                        ; implicit-def: $vgpr101
	s_and_saveexec_b32 s22, s10
	s_xor_b32 s10, exec_lo, s22
; %bb.1144:                             ;   in Loop: Header=BB6_1135 Depth=2
	v_bfe_u32 v101, v102, 16, 1
	s_delay_alu instid0(VALU_DEP_1)
	v_add3_u32 v101, v102, v101, 0x7fff
                                        ; implicit-def: $vgpr102
; %bb.1145:                             ;   in Loop: Header=BB6_1135 Depth=2
	s_and_not1_saveexec_b32 s22, s10
; %bb.1146:                             ;   in Loop: Header=BB6_1135 Depth=2
	v_and_b32_e32 v101, 0xffff, v102
	v_or_b32_e32 v103, 0x10000, v102
	s_delay_alu instid0(VALU_DEP_2) | instskip(NEXT) | instid1(VALU_DEP_1)
	v_cmp_eq_u32_e64 s10, 0, v101
	v_cndmask_b32_e64 v101, v103, v102, s10
; %bb.1147:                             ;   in Loop: Header=BB6_1135 Depth=2
	s_or_b32 exec_lo, exec_lo, s22
	v_and_b32_e32 v11, 0xffff0000, v11
	s_delay_alu instid0(VALU_DEP_1) | instskip(NEXT) | instid1(VALU_DEP_1)
	v_mul_f32_e32 v102, v99, v11
	v_and_b32_e32 v11, 0x7f800000, v102
	s_delay_alu instid0(VALU_DEP_1) | instskip(SKIP_1) | instid1(SALU_CYCLE_1)
	v_cmp_ne_u32_e64 s10, 0x7f800000, v11
                                        ; implicit-def: $vgpr11
	s_and_saveexec_b32 s22, s10
	s_xor_b32 s10, exec_lo, s22
; %bb.1148:                             ;   in Loop: Header=BB6_1135 Depth=2
	v_bfe_u32 v11, v102, 16, 1
	s_delay_alu instid0(VALU_DEP_1)
	v_add3_u32 v11, v102, v11, 0x7fff
                                        ; implicit-def: $vgpr102
; %bb.1149:                             ;   in Loop: Header=BB6_1135 Depth=2
	s_and_not1_saveexec_b32 s22, s10
; %bb.1150:                             ;   in Loop: Header=BB6_1135 Depth=2
	v_and_b32_e32 v11, 0xffff, v102
	v_or_b32_e32 v103, 0x10000, v102
	s_delay_alu instid0(VALU_DEP_2) | instskip(NEXT) | instid1(VALU_DEP_1)
	v_cmp_eq_u32_e64 s10, 0, v11
	v_cndmask_b32_e64 v11, v103, v102, s10
; %bb.1151:                             ;   in Loop: Header=BB6_1135 Depth=2
	s_or_b32 exec_lo, exec_lo, s22
	v_lshlrev_b32_e32 v102, 16, v12
	s_delay_alu instid0(VALU_DEP_1) | instskip(NEXT) | instid1(VALU_DEP_1)
	v_mul_f32_e32 v103, v99, v102
	v_and_b32_e32 v102, 0x7f800000, v103
	s_delay_alu instid0(VALU_DEP_1) | instskip(SKIP_1) | instid1(SALU_CYCLE_1)
	v_cmp_ne_u32_e64 s10, 0x7f800000, v102
                                        ; implicit-def: $vgpr102
	s_and_saveexec_b32 s22, s10
	s_xor_b32 s10, exec_lo, s22
; %bb.1152:                             ;   in Loop: Header=BB6_1135 Depth=2
	v_bfe_u32 v102, v103, 16, 1
	s_delay_alu instid0(VALU_DEP_1)
	v_add3_u32 v102, v103, v102, 0x7fff
                                        ; implicit-def: $vgpr103
; %bb.1153:                             ;   in Loop: Header=BB6_1135 Depth=2
	s_and_not1_saveexec_b32 s22, s10
; %bb.1154:                             ;   in Loop: Header=BB6_1135 Depth=2
	v_and_b32_e32 v102, 0xffff, v103
	v_or_b32_e32 v112, 0x10000, v103
	s_delay_alu instid0(VALU_DEP_2) | instskip(NEXT) | instid1(VALU_DEP_1)
	v_cmp_eq_u32_e64 s10, 0, v102
	v_cndmask_b32_e64 v102, v112, v103, s10
; %bb.1155:                             ;   in Loop: Header=BB6_1135 Depth=2
	s_or_b32 exec_lo, exec_lo, s22
	v_and_b32_e32 v12, 0xffff0000, v12
	s_delay_alu instid0(VALU_DEP_1) | instskip(NEXT) | instid1(VALU_DEP_1)
	v_mul_f32_e32 v103, v99, v12
	v_and_b32_e32 v12, 0x7f800000, v103
	s_delay_alu instid0(VALU_DEP_1) | instskip(SKIP_1) | instid1(SALU_CYCLE_1)
	v_cmp_ne_u32_e64 s10, 0x7f800000, v12
                                        ; implicit-def: $vgpr12
	s_and_saveexec_b32 s22, s10
	s_xor_b32 s10, exec_lo, s22
; %bb.1156:                             ;   in Loop: Header=BB6_1135 Depth=2
	v_bfe_u32 v12, v103, 16, 1
	s_delay_alu instid0(VALU_DEP_1)
	v_add3_u32 v12, v103, v12, 0x7fff
                                        ; implicit-def: $vgpr103
; %bb.1157:                             ;   in Loop: Header=BB6_1135 Depth=2
	s_and_not1_saveexec_b32 s22, s10
; %bb.1158:                             ;   in Loop: Header=BB6_1135 Depth=2
	v_and_b32_e32 v12, 0xffff, v103
	v_or_b32_e32 v112, 0x10000, v103
	s_delay_alu instid0(VALU_DEP_2) | instskip(NEXT) | instid1(VALU_DEP_1)
	v_cmp_eq_u32_e64 s10, 0, v12
	v_cndmask_b32_e64 v12, v112, v103, s10
; %bb.1159:                             ;   in Loop: Header=BB6_1135 Depth=2
	s_or_b32 exec_lo, exec_lo, s22
	v_lshlrev_b32_e32 v103, 16, v13
	s_delay_alu instid0(VALU_DEP_1) | instskip(NEXT) | instid1(VALU_DEP_1)
	v_mul_f32_e32 v112, v99, v103
	v_and_b32_e32 v103, 0x7f800000, v112
	s_delay_alu instid0(VALU_DEP_1) | instskip(SKIP_1) | instid1(SALU_CYCLE_1)
	v_cmp_ne_u32_e64 s10, 0x7f800000, v103
                                        ; implicit-def: $vgpr103
	s_and_saveexec_b32 s22, s10
	s_xor_b32 s10, exec_lo, s22
; %bb.1160:                             ;   in Loop: Header=BB6_1135 Depth=2
	v_bfe_u32 v103, v112, 16, 1
	s_delay_alu instid0(VALU_DEP_1)
	v_add3_u32 v103, v112, v103, 0x7fff
                                        ; implicit-def: $vgpr112
; %bb.1161:                             ;   in Loop: Header=BB6_1135 Depth=2
	s_and_not1_saveexec_b32 s22, s10
; %bb.1162:                             ;   in Loop: Header=BB6_1135 Depth=2
	v_and_b32_e32 v103, 0xffff, v112
	v_or_b32_e32 v113, 0x10000, v112
	s_delay_alu instid0(VALU_DEP_2) | instskip(NEXT) | instid1(VALU_DEP_1)
	v_cmp_eq_u32_e64 s10, 0, v103
	v_cndmask_b32_e64 v103, v113, v112, s10
; %bb.1163:                             ;   in Loop: Header=BB6_1135 Depth=2
	s_or_b32 exec_lo, exec_lo, s22
	v_and_b32_e32 v13, 0xffff0000, v13
	s_delay_alu instid0(VALU_DEP_1) | instskip(NEXT) | instid1(VALU_DEP_1)
	v_mul_f32_e32 v112, v99, v13
	v_and_b32_e32 v13, 0x7f800000, v112
	s_delay_alu instid0(VALU_DEP_1) | instskip(SKIP_1) | instid1(SALU_CYCLE_1)
	v_cmp_ne_u32_e64 s10, 0x7f800000, v13
                                        ; implicit-def: $vgpr13
	s_and_saveexec_b32 s22, s10
	s_xor_b32 s10, exec_lo, s22
; %bb.1164:                             ;   in Loop: Header=BB6_1135 Depth=2
	v_bfe_u32 v13, v112, 16, 1
	s_delay_alu instid0(VALU_DEP_1)
	v_add3_u32 v13, v112, v13, 0x7fff
                                        ; implicit-def: $vgpr112
; %bb.1165:                             ;   in Loop: Header=BB6_1135 Depth=2
	s_and_not1_saveexec_b32 s22, s10
	s_cbranch_execz .LBB6_1134
; %bb.1166:                             ;   in Loop: Header=BB6_1135 Depth=2
	v_and_b32_e32 v13, 0xffff, v112
	v_or_b32_e32 v113, 0x10000, v112
	s_delay_alu instid0(VALU_DEP_2) | instskip(NEXT) | instid1(VALU_DEP_1)
	v_cmp_eq_u32_e64 s10, 0, v13
	v_cndmask_b32_e64 v13, v113, v112, s10
	s_branch .LBB6_1134
.LBB6_1167:                             ;   in Loop: Header=BB6_927 Depth=1
	s_or_b32 exec_lo, exec_lo, s21
.LBB6_1168:                             ;   in Loop: Header=BB6_927 Depth=1
	s_delay_alu instid0(SALU_CYCLE_1) | instskip(NEXT) | instid1(VALU_DEP_2)
	s_or_b32 exec_lo, exec_lo, s20
	v_cmp_lt_i32_e64 s10, 0, v96
	s_delay_alu instid0(VALU_DEP_1) | instskip(NEXT) | instid1(VALU_DEP_1)
	v_dual_cndmask_b32 v12, 0, v16, s10 :: v_dual_bitop2_b32 v10, 14, v87 bitop3:0x40
	v_dual_sub_nc_u32 v11, v83, v10 :: v_dual_cndmask_b32 v87, v83, v10, vcc_lo
	s_delay_alu instid0(VALU_DEP_1) | instskip(NEXT) | instid1(VALU_DEP_2)
	v_dual_cndmask_b32 v10, 0, v11 :: v_dual_sub_nc_u32 v11, v12, v96
	v_cmp_ne_u32_e32 vcc_lo, 0, v87
	s_delay_alu instid0(VALU_DEP_2) | instskip(NEXT) | instid1(VALU_DEP_3)
	v_add3_u32 v82, v82, v80, v10
	v_lshl_add_u32 v83, v11, 5, v81
	s_and_b32 s20, vcc_lo, exec_lo
.LBB6_1169:                             ;   in Loop: Header=BB6_927 Depth=1
	s_or_b32 exec_lo, exec_lo, s19
	s_and_saveexec_b32 s10, s20
	s_cbranch_execz .LBB6_1214
.LBB6_1170:                             ;   in Loop: Header=BB6_927 Depth=1
	v_ashrrev_i32_e32 v11, 31, v87
	s_mov_b32 s19, exec_lo
	s_delay_alu instid0(VALU_DEP_1) | instskip(NEXT) | instid1(VALU_DEP_1)
	v_lshrrev_b32_e32 v11, 23, v11
	v_add_nc_u32_e32 v11, v87, v11
	s_delay_alu instid0(VALU_DEP_1) | instskip(SKIP_1) | instid1(VALU_DEP_1)
	v_ashrrev_i32_e32 v99, 9, v11
	v_ashrrev_i32_e32 v10, 31, v83
	v_lshrrev_b32_e32 v10, 27, v10
	s_delay_alu instid0(VALU_DEP_1) | instskip(NEXT) | instid1(VALU_DEP_1)
	v_add_nc_u32_e32 v10, v83, v10
	v_ashrrev_i32_e32 v96, 5, v10
	s_delay_alu instid0(VALU_DEP_1) | instskip(NEXT) | instid1(VALU_DEP_1)
	v_sub_nc_u32_e32 v97, v99, v96
	v_cmpx_lt_i32_e32 0, v97
	s_cbranch_execz .LBB6_1206
; %bb.1171:                             ;   in Loop: Header=BB6_927 Depth=1
	s_trap 2
	ds_load_b32 v70, v0
	v_and_b32_e32 v10, 0x7fffffe0, v10
	v_mov_b64_e32 v[12:13], v[68:69]
	s_mov_b32 s20, 0
	s_delay_alu instid0(VALU_DEP_2) | instskip(NEXT) | instid1(VALU_DEP_1)
	v_dual_lshlrev_b32 v11, 9, v96 :: v_dual_sub_nc_u32 v10, v83, v10
	v_lshlrev_b32_e32 v10, 1, v10
	s_delay_alu instid0(VALU_DEP_1) | instskip(SKIP_3) | instid1(VALU_DEP_3)
	v_add3_u32 v10, v10, v82, v11
	s_wait_dscnt 0x0
	v_lshlrev_b32_e32 v100, 16, v70
	v_mov_b64_e32 v[70:71], v[66:67]
	v_ashrrev_i32_e32 v11, 31, v10
	s_branch .LBB6_1173
.LBB6_1172:                             ;   in Loop: Header=BB6_1173 Depth=2
	s_or_b32 exec_lo, exec_lo, s21
	v_sub_nc_u32_e32 v97, v97, v16
	v_add_nc_u64_e32 v[116:117], v[10:11], v[12:13]
	v_add_nc_u64_e32 v[70:71], v[70:71], v[48:49]
	;; [unrolled: 1-line block ×3, first 2 shown]
	s_clause 0x7
	flat_store_d16_hi_b16 v[116:117], v101 th:TH_STORE_NT
	flat_store_d16_hi_b16 v[116:117], v102 offset:64 th:TH_STORE_NT
	flat_store_d16_hi_b16 v[116:117], v103 offset:128 th:TH_STORE_NT
	;; [unrolled: 1-line block ×7, first 2 shown]
	v_cmp_gt_i32_e32 vcc_lo, 1, v97
	s_or_b32 s20, vcc_lo, s20
	s_wait_xcnt 0x0
	s_and_not1_b32 exec_lo, exec_lo, s20
	s_cbranch_execz .LBB6_1205
.LBB6_1173:                             ;   Parent Loop BB6_927 Depth=1
                                        ; =>  This Inner Loop Header: Depth=2
	s_delay_alu instid0(VALU_DEP_1) | instskip(SKIP_3) | instid1(VALU_DEP_1)
	v_add_nc_u64_e32 v[80:81], v[10:11], v[70:71]
	flat_load_u16 v101, v[80:81] th:TH_LOAD_NT
	s_wait_loadcnt_dscnt 0x0
	v_lshlrev_b32_e32 v101, 16, v101
	v_mul_f32_e32 v102, v100, v101
	s_delay_alu instid0(VALU_DEP_1) | instskip(NEXT) | instid1(VALU_DEP_1)
	v_and_b32_e32 v101, 0x7f800000, v102
	v_cmp_ne_u32_e32 vcc_lo, 0x7f800000, v101
                                        ; implicit-def: $vgpr101
	s_wait_xcnt 0x0
	s_and_saveexec_b32 s21, vcc_lo
	s_delay_alu instid0(SALU_CYCLE_1)
	s_xor_b32 s21, exec_lo, s21
; %bb.1174:                             ;   in Loop: Header=BB6_1173 Depth=2
	v_bfe_u32 v101, v102, 16, 1
	s_delay_alu instid0(VALU_DEP_1)
	v_add3_u32 v101, v102, v101, 0x7fff
                                        ; implicit-def: $vgpr102
; %bb.1175:                             ;   in Loop: Header=BB6_1173 Depth=2
	s_and_not1_saveexec_b32 s21, s21
; %bb.1176:                             ;   in Loop: Header=BB6_1173 Depth=2
	v_and_b32_e32 v101, 0xffff, v102
	v_or_b32_e32 v103, 0x10000, v102
	s_delay_alu instid0(VALU_DEP_2) | instskip(NEXT) | instid1(VALU_DEP_2)
	v_cmp_eq_u32_e32 vcc_lo, 0, v101
	v_cndmask_b32_e32 v101, v103, v102, vcc_lo
; %bb.1177:                             ;   in Loop: Header=BB6_1173 Depth=2
	s_or_b32 exec_lo, exec_lo, s21
	flat_load_u16 v102, v[80:81] offset:64 th:TH_LOAD_NT
	s_wait_loadcnt_dscnt 0x0
	v_lshlrev_b32_e32 v102, 16, v102
	s_delay_alu instid0(VALU_DEP_1) | instskip(NEXT) | instid1(VALU_DEP_1)
	v_mul_f32_e32 v103, v100, v102
	v_and_b32_e32 v102, 0x7f800000, v103
	s_delay_alu instid0(VALU_DEP_1) | instskip(SKIP_2) | instid1(SALU_CYCLE_1)
	v_cmp_ne_u32_e32 vcc_lo, 0x7f800000, v102
                                        ; implicit-def: $vgpr102
	s_wait_xcnt 0x0
	s_and_saveexec_b32 s21, vcc_lo
	s_xor_b32 s21, exec_lo, s21
; %bb.1178:                             ;   in Loop: Header=BB6_1173 Depth=2
	v_bfe_u32 v102, v103, 16, 1
	s_delay_alu instid0(VALU_DEP_1)
	v_add3_u32 v102, v103, v102, 0x7fff
                                        ; implicit-def: $vgpr103
; %bb.1179:                             ;   in Loop: Header=BB6_1173 Depth=2
	s_and_not1_saveexec_b32 s21, s21
; %bb.1180:                             ;   in Loop: Header=BB6_1173 Depth=2
	v_and_b32_e32 v102, 0xffff, v103
	v_or_b32_e32 v112, 0x10000, v103
	s_delay_alu instid0(VALU_DEP_2) | instskip(NEXT) | instid1(VALU_DEP_2)
	v_cmp_eq_u32_e32 vcc_lo, 0, v102
	v_cndmask_b32_e32 v102, v112, v103, vcc_lo
; %bb.1181:                             ;   in Loop: Header=BB6_1173 Depth=2
	s_or_b32 exec_lo, exec_lo, s21
	flat_load_u16 v103, v[80:81] offset:128 th:TH_LOAD_NT
	s_wait_loadcnt_dscnt 0x0
	v_lshlrev_b32_e32 v103, 16, v103
	s_delay_alu instid0(VALU_DEP_1) | instskip(NEXT) | instid1(VALU_DEP_1)
	v_mul_f32_e32 v112, v100, v103
	v_and_b32_e32 v103, 0x7f800000, v112
	s_delay_alu instid0(VALU_DEP_1) | instskip(SKIP_2) | instid1(SALU_CYCLE_1)
	v_cmp_ne_u32_e32 vcc_lo, 0x7f800000, v103
                                        ; implicit-def: $vgpr103
	s_wait_xcnt 0x0
	s_and_saveexec_b32 s21, vcc_lo
	s_xor_b32 s21, exec_lo, s21
; %bb.1182:                             ;   in Loop: Header=BB6_1173 Depth=2
	v_bfe_u32 v103, v112, 16, 1
	s_delay_alu instid0(VALU_DEP_1)
	v_add3_u32 v103, v112, v103, 0x7fff
                                        ; implicit-def: $vgpr112
; %bb.1183:                             ;   in Loop: Header=BB6_1173 Depth=2
	s_and_not1_saveexec_b32 s21, s21
; %bb.1184:                             ;   in Loop: Header=BB6_1173 Depth=2
	v_and_b32_e32 v103, 0xffff, v112
	v_or_b32_e32 v113, 0x10000, v112
	s_delay_alu instid0(VALU_DEP_2) | instskip(NEXT) | instid1(VALU_DEP_2)
	v_cmp_eq_u32_e32 vcc_lo, 0, v103
	v_cndmask_b32_e32 v103, v113, v112, vcc_lo
; %bb.1185:                             ;   in Loop: Header=BB6_1173 Depth=2
	s_or_b32 exec_lo, exec_lo, s21
	flat_load_u16 v112, v[80:81] offset:192 th:TH_LOAD_NT
	s_wait_loadcnt_dscnt 0x0
	v_lshlrev_b32_e32 v112, 16, v112
	s_delay_alu instid0(VALU_DEP_1) | instskip(NEXT) | instid1(VALU_DEP_1)
	v_mul_f32_e32 v113, v100, v112
	v_and_b32_e32 v112, 0x7f800000, v113
	s_delay_alu instid0(VALU_DEP_1) | instskip(SKIP_2) | instid1(SALU_CYCLE_1)
	v_cmp_ne_u32_e32 vcc_lo, 0x7f800000, v112
                                        ; implicit-def: $vgpr112
	s_wait_xcnt 0x0
	s_and_saveexec_b32 s21, vcc_lo
	s_xor_b32 s21, exec_lo, s21
; %bb.1186:                             ;   in Loop: Header=BB6_1173 Depth=2
	v_bfe_u32 v112, v113, 16, 1
	s_delay_alu instid0(VALU_DEP_1)
	v_add3_u32 v112, v113, v112, 0x7fff
                                        ; implicit-def: $vgpr113
; %bb.1187:                             ;   in Loop: Header=BB6_1173 Depth=2
	s_and_not1_saveexec_b32 s21, s21
; %bb.1188:                             ;   in Loop: Header=BB6_1173 Depth=2
	v_and_b32_e32 v112, 0xffff, v113
	v_or_b32_e32 v114, 0x10000, v113
	s_delay_alu instid0(VALU_DEP_2) | instskip(NEXT) | instid1(VALU_DEP_2)
	v_cmp_eq_u32_e32 vcc_lo, 0, v112
	v_cndmask_b32_e32 v112, v114, v113, vcc_lo
; %bb.1189:                             ;   in Loop: Header=BB6_1173 Depth=2
	s_or_b32 exec_lo, exec_lo, s21
	flat_load_u16 v113, v[80:81] offset:256 th:TH_LOAD_NT
	s_wait_loadcnt_dscnt 0x0
	v_lshlrev_b32_e32 v113, 16, v113
	s_delay_alu instid0(VALU_DEP_1) | instskip(NEXT) | instid1(VALU_DEP_1)
	v_mul_f32_e32 v114, v100, v113
	v_and_b32_e32 v113, 0x7f800000, v114
	s_delay_alu instid0(VALU_DEP_1) | instskip(SKIP_2) | instid1(SALU_CYCLE_1)
	v_cmp_ne_u32_e32 vcc_lo, 0x7f800000, v113
                                        ; implicit-def: $vgpr113
	s_wait_xcnt 0x0
	s_and_saveexec_b32 s21, vcc_lo
	s_xor_b32 s21, exec_lo, s21
; %bb.1190:                             ;   in Loop: Header=BB6_1173 Depth=2
	v_bfe_u32 v113, v114, 16, 1
	s_delay_alu instid0(VALU_DEP_1)
	v_add3_u32 v113, v114, v113, 0x7fff
                                        ; implicit-def: $vgpr114
; %bb.1191:                             ;   in Loop: Header=BB6_1173 Depth=2
	s_and_not1_saveexec_b32 s21, s21
; %bb.1192:                             ;   in Loop: Header=BB6_1173 Depth=2
	v_and_b32_e32 v113, 0xffff, v114
	v_or_b32_e32 v115, 0x10000, v114
	s_delay_alu instid0(VALU_DEP_2) | instskip(NEXT) | instid1(VALU_DEP_2)
	v_cmp_eq_u32_e32 vcc_lo, 0, v113
	v_cndmask_b32_e32 v113, v115, v114, vcc_lo
; %bb.1193:                             ;   in Loop: Header=BB6_1173 Depth=2
	s_or_b32 exec_lo, exec_lo, s21
	flat_load_u16 v114, v[80:81] offset:320 th:TH_LOAD_NT
	s_wait_loadcnt_dscnt 0x0
	v_lshlrev_b32_e32 v114, 16, v114
	s_delay_alu instid0(VALU_DEP_1) | instskip(NEXT) | instid1(VALU_DEP_1)
	v_mul_f32_e32 v115, v100, v114
	v_and_b32_e32 v114, 0x7f800000, v115
	s_delay_alu instid0(VALU_DEP_1) | instskip(SKIP_2) | instid1(SALU_CYCLE_1)
	v_cmp_ne_u32_e32 vcc_lo, 0x7f800000, v114
                                        ; implicit-def: $vgpr114
	s_wait_xcnt 0x0
	s_and_saveexec_b32 s21, vcc_lo
	s_xor_b32 s21, exec_lo, s21
; %bb.1194:                             ;   in Loop: Header=BB6_1173 Depth=2
	v_bfe_u32 v114, v115, 16, 1
	s_delay_alu instid0(VALU_DEP_1)
	v_add3_u32 v114, v115, v114, 0x7fff
                                        ; implicit-def: $vgpr115
; %bb.1195:                             ;   in Loop: Header=BB6_1173 Depth=2
	s_and_not1_saveexec_b32 s21, s21
; %bb.1196:                             ;   in Loop: Header=BB6_1173 Depth=2
	v_and_b32_e32 v114, 0xffff, v115
	v_or_b32_e32 v116, 0x10000, v115
	s_delay_alu instid0(VALU_DEP_2) | instskip(NEXT) | instid1(VALU_DEP_2)
	v_cmp_eq_u32_e32 vcc_lo, 0, v114
	v_cndmask_b32_e32 v114, v116, v115, vcc_lo
; %bb.1197:                             ;   in Loop: Header=BB6_1173 Depth=2
	s_or_b32 exec_lo, exec_lo, s21
	flat_load_u16 v115, v[80:81] offset:384 th:TH_LOAD_NT
	s_wait_loadcnt_dscnt 0x0
	v_lshlrev_b32_e32 v115, 16, v115
	s_delay_alu instid0(VALU_DEP_1) | instskip(NEXT) | instid1(VALU_DEP_1)
	v_mul_f32_e32 v116, v100, v115
	v_and_b32_e32 v115, 0x7f800000, v116
	s_delay_alu instid0(VALU_DEP_1) | instskip(SKIP_2) | instid1(SALU_CYCLE_1)
	v_cmp_ne_u32_e32 vcc_lo, 0x7f800000, v115
                                        ; implicit-def: $vgpr115
	s_wait_xcnt 0x0
	s_and_saveexec_b32 s21, vcc_lo
	s_xor_b32 s21, exec_lo, s21
; %bb.1198:                             ;   in Loop: Header=BB6_1173 Depth=2
	v_bfe_u32 v115, v116, 16, 1
	s_delay_alu instid0(VALU_DEP_1)
	v_add3_u32 v115, v116, v115, 0x7fff
                                        ; implicit-def: $vgpr116
; %bb.1199:                             ;   in Loop: Header=BB6_1173 Depth=2
	s_and_not1_saveexec_b32 s21, s21
; %bb.1200:                             ;   in Loop: Header=BB6_1173 Depth=2
	v_and_b32_e32 v115, 0xffff, v116
	v_or_b32_e32 v117, 0x10000, v116
	s_delay_alu instid0(VALU_DEP_2) | instskip(NEXT) | instid1(VALU_DEP_2)
	v_cmp_eq_u32_e32 vcc_lo, 0, v115
	v_cndmask_b32_e32 v115, v117, v116, vcc_lo
; %bb.1201:                             ;   in Loop: Header=BB6_1173 Depth=2
	s_or_b32 exec_lo, exec_lo, s21
	flat_load_u16 v80, v[80:81] offset:448 th:TH_LOAD_NT
	s_wait_loadcnt_dscnt 0x0
	v_lshlrev_b32_e32 v80, 16, v80
	s_delay_alu instid0(VALU_DEP_1) | instskip(NEXT) | instid1(VALU_DEP_1)
	v_mul_f32_e32 v81, v100, v80
	v_and_b32_e32 v80, 0x7f800000, v81
	s_delay_alu instid0(VALU_DEP_1) | instskip(SKIP_1) | instid1(SALU_CYCLE_1)
	v_cmp_ne_u32_e32 vcc_lo, 0x7f800000, v80
                                        ; implicit-def: $vgpr80
	s_and_saveexec_b32 s21, vcc_lo
	s_xor_b32 s21, exec_lo, s21
; %bb.1202:                             ;   in Loop: Header=BB6_1173 Depth=2
	v_bfe_u32 v80, v81, 16, 1
	s_delay_alu instid0(VALU_DEP_1)
	v_add3_u32 v80, v81, v80, 0x7fff
                                        ; implicit-def: $vgpr81
; %bb.1203:                             ;   in Loop: Header=BB6_1173 Depth=2
	s_and_not1_saveexec_b32 s21, s21
	s_cbranch_execz .LBB6_1172
; %bb.1204:                             ;   in Loop: Header=BB6_1173 Depth=2
	v_and_b32_e32 v80, 0xffff, v81
	v_or_b32_e32 v116, 0x10000, v81
	s_delay_alu instid0(VALU_DEP_2) | instskip(NEXT) | instid1(VALU_DEP_2)
	v_cmp_eq_u32_e32 vcc_lo, 0, v80
	v_cndmask_b32_e32 v80, v116, v81, vcc_lo
	s_branch .LBB6_1172
.LBB6_1205:                             ;   in Loop: Header=BB6_927 Depth=1
	s_or_b32 exec_lo, exec_lo, s20
.LBB6_1206:                             ;   in Loop: Header=BB6_927 Depth=1
	s_delay_alu instid0(SALU_CYCLE_1) | instskip(SKIP_1) | instid1(VALU_DEP_1)
	s_or_b32 exec_lo, exec_lo, s19
	v_lshlrev_b32_e32 v10, 9, v99
	v_cmp_ne_u32_e32 vcc_lo, v87, v10
	s_and_b32 exec_lo, exec_lo, vcc_lo
	s_cbranch_execz .LBB6_1214
; %bb.1207:                             ;   in Loop: Header=BB6_927 Depth=1
	v_dual_lshlrev_b32 v11, 5, v96 :: v_dual_lshlrev_b32 v12, 5, v97
	s_delay_alu instid0(VALU_DEP_1) | instskip(NEXT) | instid1(VALU_DEP_1)
	v_sub_nc_u32_e32 v11, v83, v11
	v_sub_nc_u32_e32 v11, v11, v12
	s_delay_alu instid0(VALU_DEP_1) | instskip(NEXT) | instid1(VALU_DEP_1)
	v_ashrrev_i32_e32 v12, 31, v11
	v_lshrrev_b32_e32 v12, 27, v12
	s_delay_alu instid0(VALU_DEP_1) | instskip(NEXT) | instid1(VALU_DEP_1)
	v_add_nc_u32_e32 v12, v11, v12
	v_and_b32_e32 v13, 0x7fffffe0, v12
	s_delay_alu instid0(VALU_DEP_1) | instskip(NEXT) | instid1(VALU_DEP_1)
	v_dual_lshlrev_b32 v12, 1, v12 :: v_dual_sub_nc_u32 v11, v11, v13
	v_and_b32_e32 v12, 0xffffffc0, v12
	s_delay_alu instid0(VALU_DEP_2) | instskip(NEXT) | instid1(VALU_DEP_1)
	v_lshlrev_b32_e32 v11, 1, v11
	v_add3_u32 v10, v12, v11, v10
	s_delay_alu instid0(VALU_DEP_1) | instskip(NEXT) | instid1(VALU_DEP_1)
	v_sub_nc_u32_e32 v12, v87, v10
	v_cmp_lt_i32_e32 vcc_lo, 1, v12
	s_and_b32 exec_lo, exec_lo, vcc_lo
	s_cbranch_execz .LBB6_1214
; %bb.1208:                             ;   in Loop: Header=BB6_927 Depth=1
	s_trap 2
	ds_load_b32 v13, v0
	v_add_nc_u32_e32 v10, v10, v82
	s_mov_b32 s19, 0
	s_wait_dscnt 0x0
	s_delay_alu instid0(VALU_DEP_1)
	v_dual_lshlrev_b32 v13, 16, v13 :: v_dual_ashrrev_i32 v11, 31, v10
	s_branch .LBB6_1210
.LBB6_1209:                             ;   in Loop: Header=BB6_1210 Depth=2
	s_or_b32 exec_lo, exec_lo, s20
	v_sub_nc_u32_e32 v12, v12, v50
	v_add_nc_u64_e32 v[80:81], v[68:69], v[10:11]
	v_add_nc_u64_e32 v[10:11], v[10:11], v[50:51]
	s_delay_alu instid0(VALU_DEP_3)
	v_cmp_gt_i32_e32 vcc_lo, 2, v12
	flat_store_d16_hi_b16 v[80:81], v70 th:TH_STORE_NT
	s_or_b32 s19, vcc_lo, s19
	s_wait_xcnt 0x0
	s_and_not1_b32 exec_lo, exec_lo, s19
	s_cbranch_execz .LBB6_1214
.LBB6_1210:                             ;   Parent Loop BB6_927 Depth=1
                                        ; =>  This Inner Loop Header: Depth=2
	s_delay_alu instid0(VALU_DEP_1) | instskip(SKIP_4) | instid1(VALU_DEP_1)
	v_add_nc_u64_e32 v[70:71], v[66:67], v[10:11]
	flat_load_u16 v70, v[70:71] th:TH_LOAD_NT
	s_wait_loadcnt_dscnt 0x0
	s_wait_xcnt 0x0
	v_lshlrev_b32_e32 v70, 16, v70
	v_mul_f32_e32 v71, v13, v70
	s_delay_alu instid0(VALU_DEP_1) | instskip(NEXT) | instid1(VALU_DEP_1)
	v_and_b32_e32 v70, 0x7f800000, v71
	v_cmp_ne_u32_e32 vcc_lo, 0x7f800000, v70
                                        ; implicit-def: $vgpr70
	s_and_saveexec_b32 s20, vcc_lo
	s_delay_alu instid0(SALU_CYCLE_1)
	s_xor_b32 s20, exec_lo, s20
; %bb.1211:                             ;   in Loop: Header=BB6_1210 Depth=2
	v_bfe_u32 v70, v71, 16, 1
	s_delay_alu instid0(VALU_DEP_1)
	v_add3_u32 v70, v71, v70, 0x7fff
                                        ; implicit-def: $vgpr71
; %bb.1212:                             ;   in Loop: Header=BB6_1210 Depth=2
	s_and_not1_saveexec_b32 s20, s20
	s_cbranch_execz .LBB6_1209
; %bb.1213:                             ;   in Loop: Header=BB6_1210 Depth=2
	v_and_b32_e32 v70, 0xffff, v71
	v_or_b32_e32 v80, 0x10000, v71
	s_delay_alu instid0(VALU_DEP_2) | instskip(NEXT) | instid1(VALU_DEP_2)
	v_cmp_eq_u32_e32 vcc_lo, 0, v70
	v_cndmask_b32_e32 v70, v80, v71, vcc_lo
	s_branch .LBB6_1209
.LBB6_1214:                             ;   in Loop: Header=BB6_927 Depth=1
	s_or_b32 exec_lo, exec_lo, s10
	v_cmp_ne_u32_e64 s10, 0, v14
	s_and_saveexec_b32 s19, s2
	s_cbranch_execz .LBB6_1233
.LBB6_1215:                             ;   in Loop: Header=BB6_927 Depth=1
	s_and_saveexec_b32 s20, s3
	s_delay_alu instid0(SALU_CYCLE_1)
	s_xor_b32 s20, exec_lo, s20
	s_cbranch_execz .LBB6_1230
; %bb.1216:                             ;   in Loop: Header=BB6_927 Depth=1
	s_and_saveexec_b32 s21, s4
	s_cbranch_execz .LBB6_1229
; %bb.1217:                             ;   in Loop: Header=BB6_927 Depth=1
	s_mov_b32 s23, exec_lo
	s_mov_b32 s22, exec_lo
	v_mbcnt_lo_u32_b32 v10, s23, 0
	global_wb scope:SCOPE_DEV
	s_wait_storecnt 0x0
	s_wait_loadcnt_dscnt 0x0
	global_inv scope:SCOPE_DEV
	v_cmpx_eq_u32_e32 0, v10
	s_cbranch_execz .LBB6_1219
; %bb.1218:                             ;   in Loop: Header=BB6_927 Depth=1
	s_bcnt1_i32_b32 s23, s23
	s_delay_alu instid0(SALU_CYCLE_1)
	v_mov_b32_e32 v14, s23
	s_wait_loadcnt 0x0
	ds_add_u64 v0, v[14:15]
	s_trap 2
.LBB6_1219:                             ;   in Loop: Header=BB6_927 Depth=1
	s_or_b32 exec_lo, exec_lo, s22
	s_trap 2
	ds_load_b64 v[10:11], v0
	s_wait_dscnt 0x0
	v_add_nc_u64_e32 v[28:29], v[28:29], v[16:17]
	s_mov_b32 s22, exec_lo
	s_delay_alu instid0(VALU_DEP_1)
	v_cmpx_lt_u64_e64 v[10:11], v[28:29]
	s_cbranch_execz .LBB6_1228
; %bb.1220:                             ;   in Loop: Header=BB6_927 Depth=1
	s_mov_b32 s23, 0
	s_mov_b32 s26, 0
                                        ; implicit-def: $sgpr24
                                        ; implicit-def: $sgpr25
	s_branch .LBB6_1222
.LBB6_1221:                             ;   in Loop: Header=BB6_1222 Depth=2
	s_or_b32 exec_lo, exec_lo, s28
	s_delay_alu instid0(SALU_CYCLE_1) | instskip(NEXT) | instid1(SALU_CYCLE_1)
	s_and_b32 s27, exec_lo, s29
	s_or_b32 s23, s27, s23
	s_and_not1_b32 s24, s24, exec_lo
	s_and_b32 s27, s25, exec_lo
	s_delay_alu instid0(SALU_CYCLE_1)
	s_or_b32 s24, s24, s27
	s_and_not1_b32 exec_lo, exec_lo, s23
	s_cbranch_execz .LBB6_1226
.LBB6_1222:                             ;   Parent Loop BB6_927 Depth=1
                                        ; =>  This Inner Loop Header: Depth=2
	s_add_co_i32 s26, s26, 1
	s_delay_alu instid0(SALU_CYCLE_1) | instskip(SKIP_1) | instid1(SALU_CYCLE_1)
	s_cmp_lg_u32 s26, 0x2710
	s_cselect_b32 s27, -1, 0
	s_and_b32 vcc_lo, exec_lo, s27
	s_cbranch_vccz .LBB6_1224
; %bb.1223:                             ;   in Loop: Header=BB6_1222 Depth=2
	s_mov_b32 s29, -1
	s_or_b32 s25, s25, exec_lo
	s_and_saveexec_b32 s28, s27
	s_cbranch_execz .LBB6_1221
	s_branch .LBB6_1225
.LBB6_1224:                             ;   in Loop: Header=BB6_1222 Depth=2
	s_trap 2
	ds_load_b64 v[10:11], v0
	s_and_not1_b32 s27, s27, exec_lo
	s_mov_b32 s26, 0
	s_wait_loadcnt_dscnt 0x0
	flat_load_b32 v10, v[10:11] scope:SCOPE_SYS
	s_wait_loadcnt_dscnt 0x0
	global_inv scope:SCOPE_SYS
	v_cmp_eq_u32_e32 vcc_lo, 0, v10
	s_and_b32 s28, vcc_lo, exec_lo
	s_delay_alu instid0(SALU_CYCLE_1)
	s_or_b32 s27, s27, s28
	s_mov_b32 s29, -1
	s_or_b32 s25, s25, exec_lo
	s_and_saveexec_b32 s28, s27
	s_cbranch_execz .LBB6_1221
.LBB6_1225:                             ;   in Loop: Header=BB6_1222 Depth=2
	s_sleep 1
	s_trap 2
	ds_load_b64 v[10:11], v0
	s_wait_dscnt 0x0
	s_and_not1_b32 s25, s25, exec_lo
	v_cmp_ge_u64_e32 vcc_lo, v[10:11], v[28:29]
	s_or_not1_b32 s29, vcc_lo, exec_lo
	s_branch .LBB6_1221
.LBB6_1226:                             ;   in Loop: Header=BB6_927 Depth=1
	s_or_b32 exec_lo, exec_lo, s23
	s_and_saveexec_b32 s23, s24
	s_delay_alu instid0(SALU_CYCLE_1)
	s_xor_b32 s23, exec_lo, s23
	s_cbranch_execz .LBB6_1228
; %bb.1227:                             ;   in Loop: Header=BB6_927 Depth=1
	ds_store_b32 v0, v86
	s_trap 2
.LBB6_1228:                             ;   in Loop: Header=BB6_927 Depth=1
	s_or_b32 exec_lo, exec_lo, s22
	;;#ASMSTART
	s_wakeup
	;;#ASMEND
.LBB6_1229:                             ;   in Loop: Header=BB6_927 Depth=1
	s_or_b32 exec_lo, exec_lo, s21
.LBB6_1230:                             ;   in Loop: Header=BB6_927 Depth=1
	s_and_not1_saveexec_b32 s20, s20
	s_cbranch_execz .LBB6_1232
; %bb.1231:                             ;   in Loop: Header=BB6_927 Depth=1
	global_wb scope:SCOPE_DEV
	s_wait_storecnt 0x0
	s_wait_loadcnt_dscnt 0x0
	global_inv scope:SCOPE_DEV
	s_barrier_signal -1
	s_barrier_wait -1
.LBB6_1232:                             ;   in Loop: Header=BB6_927 Depth=1
	s_or_b32 exec_lo, exec_lo, s20
.LBB6_1233:                             ;   in Loop: Header=BB6_927 Depth=1
	s_delay_alu instid0(SALU_CYCLE_1) | instskip(SKIP_1) | instid1(VALU_DEP_1)
	s_or_b32 exec_lo, exec_lo, s19
	v_and_b32_e32 v10, 16, v30
	v_cmp_ne_u32_e32 vcc_lo, 0, v10
	s_and_b32 s19, vcc_lo, s10
	s_delay_alu instid0(SALU_CYCLE_1)
	s_and_saveexec_b32 s10, s19
	s_cbranch_execz .LBB6_1235
; %bb.1234:                             ;   in Loop: Header=BB6_927 Depth=1
	global_wb scope:SCOPE_SYS
	s_wait_storecnt 0x0
	s_wait_loadcnt_dscnt 0x0
	global_inv scope:SCOPE_SYS
.LBB6_1235:                             ;   in Loop: Header=BB6_927 Depth=1
	s_or_b32 exec_lo, exec_lo, s10
	s_delay_alu instid0(SALU_CYCLE_1)
	s_mov_b32 s10, exec_lo
	v_cmpx_ne_u32_e32 0, v10
	s_cbranch_execz .LBB6_1239
; %bb.1236:                             ;   in Loop: Header=BB6_927 Depth=1
	s_and_saveexec_b32 s19, s7
	s_cbranch_execz .LBB6_1238
; %bb.1237:                             ;   in Loop: Header=BB6_927 Depth=1
	global_wb scope:SCOPE_SYS
	s_wait_storecnt 0x0
	s_wait_loadcnt_dscnt 0x0
	flat_store_b32 v[36:37], v86 scope:SCOPE_SYS
.LBB6_1238:                             ;   in Loop: Header=BB6_927 Depth=1
	s_wait_xcnt 0x0
	s_or_b32 exec_lo, exec_lo, s19
	v_add_nc_u64_e32 v[8:9], 1, v[8:9]
	global_wb scope:SCOPE_SYS
	s_wait_storecnt 0x0
	s_wait_loadcnt_dscnt 0x0
	flat_store_b64 v[22:23], v[8:9] scope:SCOPE_SYS
.LBB6_1239:                             ;   in Loop: Header=BB6_927 Depth=1
	s_wait_xcnt 0x0
	s_or_b32 exec_lo, exec_lo, s10
	v_mov_b32_e32 v10, v65
.LBB6_1240:                             ;   in Loop: Header=BB6_927 Depth=1
	s_or_b32 exec_lo, exec_lo, s18
	s_and_saveexec_b32 s18, s17
	s_cbranch_execz .LBB6_926
; %bb.1241:                             ;   in Loop: Header=BB6_927 Depth=1
	s_delay_alu instid0(VALU_DEP_1) | instskip(SKIP_2) | instid1(VALU_DEP_2)
	v_sub_nc_u32_e32 v10, v64, v10
	v_and_b32_e32 v11, 8, v30
	s_mov_b32 s17, exec_lo
	v_min_i32_e32 v10, v65, v10
	s_delay_alu instid0(VALU_DEP_2)
	v_cmpx_ne_u32_e32 0, v11
	s_cbranch_execz .LBB6_1263
; %bb.1242:                             ;   in Loop: Header=BB6_927 Depth=1
	s_wait_loadcnt 0x0
	v_add_nc_u64_e32 v[64:65], 8, v[32:33]
	v_add_nc_u64_e32 v[12:13], 1, v[8:9]
	s_mov_b32 s19, exec_lo
	s_delay_alu instid0(VALU_DEP_1)
	v_cmpx_lt_u64_e64 v[64:65], v[12:13]
	s_cbranch_execz .LBB6_1254
; %bb.1243:                             ;   in Loop: Header=BB6_927 Depth=1
	v_and_b32_e32 v9, 64, v30
	s_mov_b32 s20, 0
	s_mov_b32 s24, 0
                                        ; implicit-def: $sgpr21
                                        ; implicit-def: $sgpr22
                                        ; implicit-def: $sgpr23
	s_delay_alu instid0(VALU_DEP_1)
	v_cmp_eq_u32_e32 vcc_lo, 0, v9
	s_branch .LBB6_1247
.LBB6_1244:                             ;   in Loop: Header=BB6_1247 Depth=2
	s_wait_loadcnt_dscnt 0x0
	v_add_nc_u64_e32 v[64:65], 8, v[32:33]
	s_or_b32 s27, s27, exec_lo
	s_delay_alu instid0(VALU_DEP_1)
	v_cmp_ge_u64_e64 s10, v[64:65], v[12:13]
	s_or_not1_b32 s26, s10, exec_lo
.LBB6_1245:                             ;   in Loop: Header=BB6_1247 Depth=2
	s_or_b32 exec_lo, exec_lo, s29
	s_delay_alu instid0(SALU_CYCLE_1)
	s_and_not1_b32 s10, s23, exec_lo
	s_and_b32 s23, s27, exec_lo
	s_and_not1_b32 s22, s22, exec_lo
	s_and_b32 s26, s26, exec_lo
	s_or_b32 s23, s10, s23
	s_or_b32 s22, s22, s26
.LBB6_1246:                             ;   in Loop: Header=BB6_1247 Depth=2
	s_or_b32 exec_lo, exec_lo, s25
	s_delay_alu instid0(SALU_CYCLE_1) | instskip(NEXT) | instid1(SALU_CYCLE_1)
	s_and_b32 s10, exec_lo, s22
	s_or_b32 s20, s10, s20
	s_and_not1_b32 s10, s21, exec_lo
	s_and_b32 s21, s23, exec_lo
	s_delay_alu instid0(SALU_CYCLE_1)
	s_or_b32 s21, s10, s21
	s_and_not1_b32 exec_lo, exec_lo, s20
	s_cbranch_execz .LBB6_1251
.LBB6_1247:                             ;   Parent Loop BB6_927 Depth=1
                                        ; =>  This Inner Loop Header: Depth=2
	s_sleep 1
	s_wait_loadcnt_dscnt 0x0
	flat_load_b64 v[32:33], v[22:23] scope:SCOPE_SYS
	s_or_b32 s23, s23, exec_lo
	s_or_b32 s22, s22, exec_lo
                                        ; implicit-def: $vgpr9
	s_wait_xcnt 0x0
	s_and_saveexec_b32 s25, vcc_lo
	s_cbranch_execz .LBB6_1246
; %bb.1248:                             ;   in Loop: Header=BB6_1247 Depth=2
	s_cmp_lt_i32 s24, 0x270f
	s_mov_b32 s26, -1
	s_cselect_b32 s28, -1, 0
	s_cmp_gt_i32 s24, 0x270e
	s_cbranch_scc0 .LBB6_1250
; %bb.1249:                             ;   in Loop: Header=BB6_1247 Depth=2
	s_trap 2
	ds_load_b64 v[64:65], v0
	s_and_not1_b32 s24, s28, exec_lo
	s_mov_b32 s27, 0
	s_wait_storecnt 0x0
	s_wait_loadcnt_dscnt 0x0
	flat_load_b32 v9, v[64:65] scope:SCOPE_SYS
	s_wait_loadcnt_dscnt 0x0
	global_inv scope:SCOPE_SYS
	v_cmp_eq_u32_e64 s10, 0, v9
	s_and_b32 s10, s10, exec_lo
	s_delay_alu instid0(SALU_CYCLE_1)
	s_or_b32 s28, s24, s10
	s_mov_b32 s24, 0
	s_and_saveexec_b32 s29, s28
	s_cbranch_execz .LBB6_1245
	s_branch .LBB6_1244
.LBB6_1250:                             ;   in Loop: Header=BB6_1247 Depth=2
	s_add_co_i32 s24, s24, 1
	s_mov_b32 s27, -1
                                        ; implicit-def: $vgpr9
	s_and_saveexec_b32 s29, s28
	s_cbranch_execz .LBB6_1245
	s_branch .LBB6_1244
.LBB6_1251:                             ;   in Loop: Header=BB6_927 Depth=1
	s_or_b32 exec_lo, exec_lo, s20
	s_xor_b32 s10, s21, -1
	s_delay_alu instid0(SALU_CYCLE_1) | instskip(NEXT) | instid1(SALU_CYCLE_1)
	s_and_saveexec_b32 s20, s10
	s_xor_b32 s10, exec_lo, s20
	s_cbranch_execz .LBB6_1253
; %bb.1252:                             ;   in Loop: Header=BB6_927 Depth=1
	v_or_b32_e32 v30, 64, v30
	s_wait_storecnt 0x0
	s_wait_loadcnt_dscnt 0x0
	ds_store_b32 v0, v9
	s_trap 2
.LBB6_1253:                             ;   in Loop: Header=BB6_927 Depth=1
	s_or_b32 exec_lo, exec_lo, s10
.LBB6_1254:                             ;   in Loop: Header=BB6_927 Depth=1
	s_delay_alu instid0(SALU_CYCLE_1) | instskip(SKIP_4) | instid1(VALU_DEP_2)
	s_or_b32 exec_lo, exec_lo, s19
	v_and_b32_e32 v9, 0x100, v30
	v_and_b32_e32 v14, 7, v8
	s_mov_b32 s19, 0
	;;#ASMSTART
	s_wakeup
	;;#ASMEND
	v_cmp_ne_u32_e32 vcc_lo, 0, v9
                                        ; implicit-def: $vgpr8_vgpr9
	s_and_saveexec_b32 s10, vcc_lo
	s_delay_alu instid0(SALU_CYCLE_1)
	s_xor_b32 s10, exec_lo, s10
	s_cbranch_execz .LBB6_1275
; %bb.1255:                             ;   in Loop: Header=BB6_927 Depth=1
	v_mad_nc_u64_u32 v[64:65], v14, 24, v[6:7]
	v_ashrrev_i32_e32 v11, 31, v10
	s_mov_b32 s19, -1
	s_mov_b32 s20, exec_lo
	s_delay_alu instid0(VALU_DEP_1)
	v_lshlrev_b64_e32 v[8:9], 1, v[10:11]
	s_clause 0x1
	flat_load_b32 v66, v[64:65]
	flat_store_b64 v[64:65], v[8:9] offset:8
                                        ; implicit-def: $vgpr8_vgpr9
	s_wait_loadcnt_dscnt 0x1
	v_cmpx_eq_u32_e32 1, v66
	s_cbranch_execz .LBB6_1257
; %bb.1256:                             ;   in Loop: Header=BB6_927 Depth=1
	flat_load_b32 v8, v[64:65] offset:4 scope:SCOPE_SYS
	s_xor_b32 s19, exec_lo, -1
	s_wait_loadcnt_dscnt 0x0
	v_ashrrev_i32_e32 v9, 31, v8
	s_delay_alu instid0(VALU_DEP_1)
	v_lshrrev_b64 v[8:9], 1, v[8:9]
.LBB6_1257:                             ;   in Loop: Header=BB6_927 Depth=1
	s_wait_xcnt 0x0
	s_or_b32 exec_lo, exec_lo, s20
	s_delay_alu instid0(SALU_CYCLE_1)
	s_and_b32 s19, s19, exec_lo
	s_and_not1_saveexec_b32 s10, s10
	s_cbranch_execnz .LBB6_1276
.LBB6_1258:                             ;   in Loop: Header=BB6_927 Depth=1
	s_or_b32 exec_lo, exec_lo, s10
	s_and_saveexec_b32 s10, s19
.LBB6_1259:                             ;   in Loop: Header=BB6_927 Depth=1
	v_mul_u64_e32 v[8:9], v[14:15], v[24:25]
.LBB6_1260:                             ;   in Loop: Header=BB6_927 Depth=1
	s_or_b32 exec_lo, exec_lo, s10
	v_and_b32_e32 v11, 0x2000, v30
	s_delay_alu instid0(VALU_DEP_2)
	v_lshl_add_u64 v[8:9], v[8:9], 1, v[26:27]
	s_mov_b32 s10, exec_lo
	ds_store_b64 v0, v[8:9] offset:784
	v_cmpx_ne_u32_e32 0, v11
	s_cbranch_execz .LBB6_1262
; %bb.1261:                             ;   in Loop: Header=BB6_927 Depth=1
	ds_load_b64 v[8:9], v0 offset:872
	s_wait_dscnt 0x0
	v_add_nc_u64_e32 v[8:9], 1, v[8:9]
	ds_store_b64 v0, v[8:9] offset:872
.LBB6_1262:                             ;   in Loop: Header=BB6_927 Depth=1
	s_or_b32 exec_lo, exec_lo, s10
	v_mov_b64_e32 v[8:9], v[12:13]
.LBB6_1263:                             ;   in Loop: Header=BB6_927 Depth=1
	s_or_b32 exec_lo, exec_lo, s17
	s_and_saveexec_b32 s10, s2
	s_cbranch_execz .LBB6_1284
; %bb.1264:                             ;   in Loop: Header=BB6_927 Depth=1
	s_and_saveexec_b32 s17, s3
	s_delay_alu instid0(SALU_CYCLE_1)
	s_xor_b32 s17, exec_lo, s17
	s_cbranch_execz .LBB6_1281
; %bb.1265:                             ;   in Loop: Header=BB6_927 Depth=1
	s_and_saveexec_b32 s19, s4
	s_cbranch_execz .LBB6_1280
; %bb.1266:                             ;   in Loop: Header=BB6_927 Depth=1
	s_mov_b32 s21, exec_lo
	s_mov_b32 s20, exec_lo
	v_mbcnt_lo_u32_b32 v11, s21, 0
	global_wb scope:SCOPE_DEV
	s_wait_storecnt 0x0
	s_wait_loadcnt_dscnt 0x0
	global_inv scope:SCOPE_DEV
	v_cmpx_eq_u32_e32 0, v11
	s_cbranch_execz .LBB6_1268
; %bb.1267:                             ;   in Loop: Header=BB6_927 Depth=1
	s_bcnt1_i32_b32 s21, s21
	s_delay_alu instid0(SALU_CYCLE_1)
	v_mov_b32_e32 v14, s21
	s_wait_loadcnt 0x0
	ds_add_u64 v0, v[14:15]
	s_trap 2
.LBB6_1268:                             ;   in Loop: Header=BB6_927 Depth=1
	s_or_b32 exec_lo, exec_lo, s20
	s_trap 2
	ds_load_b64 v[12:13], v0
	s_wait_dscnt 0x0
	v_add_nc_u64_e32 v[28:29], v[28:29], v[16:17]
	s_mov_b32 s20, exec_lo
	s_delay_alu instid0(VALU_DEP_1)
	v_cmpx_lt_u64_e64 v[12:13], v[28:29]
	s_cbranch_execz .LBB6_1279
; %bb.1269:                             ;   in Loop: Header=BB6_927 Depth=1
	s_mov_b32 s21, 0
	s_mov_b32 s24, 0
                                        ; implicit-def: $sgpr22
                                        ; implicit-def: $sgpr23
	s_branch .LBB6_1271
.LBB6_1270:                             ;   in Loop: Header=BB6_1271 Depth=2
	s_or_b32 exec_lo, exec_lo, s26
	s_delay_alu instid0(SALU_CYCLE_1) | instskip(NEXT) | instid1(SALU_CYCLE_1)
	s_and_b32 s25, exec_lo, s27
	s_or_b32 s21, s25, s21
	s_and_not1_b32 s22, s22, exec_lo
	s_and_b32 s25, s23, exec_lo
	s_delay_alu instid0(SALU_CYCLE_1)
	s_or_b32 s22, s22, s25
	s_and_not1_b32 exec_lo, exec_lo, s21
	s_cbranch_execz .LBB6_1277
.LBB6_1271:                             ;   Parent Loop BB6_927 Depth=1
                                        ; =>  This Inner Loop Header: Depth=2
	s_add_co_i32 s24, s24, 1
	s_delay_alu instid0(SALU_CYCLE_1) | instskip(SKIP_1) | instid1(SALU_CYCLE_1)
	s_cmp_lg_u32 s24, 0x2710
	s_cselect_b32 s25, -1, 0
	s_and_b32 vcc_lo, exec_lo, s25
	s_cbranch_vccz .LBB6_1273
; %bb.1272:                             ;   in Loop: Header=BB6_1271 Depth=2
	s_mov_b32 s27, -1
	s_or_b32 s23, s23, exec_lo
	s_and_saveexec_b32 s26, s25
	s_cbranch_execz .LBB6_1270
	s_branch .LBB6_1274
.LBB6_1273:                             ;   in Loop: Header=BB6_1271 Depth=2
	s_trap 2
	ds_load_b64 v[12:13], v0
	s_and_not1_b32 s25, s25, exec_lo
	s_mov_b32 s24, 0
	s_wait_loadcnt_dscnt 0x0
	flat_load_b32 v11, v[12:13] scope:SCOPE_SYS
	s_wait_loadcnt_dscnt 0x0
	global_inv scope:SCOPE_SYS
	v_cmp_eq_u32_e32 vcc_lo, 0, v11
	s_and_b32 s26, vcc_lo, exec_lo
	s_delay_alu instid0(SALU_CYCLE_1)
	s_or_b32 s25, s25, s26
	s_mov_b32 s27, -1
	s_or_b32 s23, s23, exec_lo
	s_and_saveexec_b32 s26, s25
	s_cbranch_execz .LBB6_1270
.LBB6_1274:                             ;   in Loop: Header=BB6_1271 Depth=2
	s_sleep 1
	s_trap 2
	ds_load_b64 v[12:13], v0
	s_wait_dscnt 0x0
	s_and_not1_b32 s23, s23, exec_lo
	v_cmp_ge_u64_e32 vcc_lo, v[12:13], v[28:29]
	s_or_not1_b32 s27, vcc_lo, exec_lo
	s_branch .LBB6_1270
.LBB6_1275:                             ;   in Loop: Header=BB6_927 Depth=1
	s_and_not1_saveexec_b32 s10, s10
	s_cbranch_execz .LBB6_1258
.LBB6_1276:                             ;   in Loop: Header=BB6_927 Depth=1
	s_or_b32 s19, s19, exec_lo
	s_or_b32 exec_lo, exec_lo, s10
	s_and_saveexec_b32 s10, s19
	s_cbranch_execnz .LBB6_1259
	s_branch .LBB6_1260
.LBB6_1277:                             ;   in Loop: Header=BB6_927 Depth=1
	s_or_b32 exec_lo, exec_lo, s21
	s_and_saveexec_b32 s21, s22
	s_delay_alu instid0(SALU_CYCLE_1)
	s_xor_b32 s21, exec_lo, s21
	s_cbranch_execz .LBB6_1279
; %bb.1278:                             ;   in Loop: Header=BB6_927 Depth=1
	ds_store_b32 v0, v86
	s_trap 2
.LBB6_1279:                             ;   in Loop: Header=BB6_927 Depth=1
	s_or_b32 exec_lo, exec_lo, s20
	;;#ASMSTART
	s_wakeup
	;;#ASMEND
.LBB6_1280:                             ;   in Loop: Header=BB6_927 Depth=1
	s_or_b32 exec_lo, exec_lo, s19
.LBB6_1281:                             ;   in Loop: Header=BB6_927 Depth=1
	s_and_not1_saveexec_b32 s17, s17
	s_cbranch_execz .LBB6_1283
; %bb.1282:                             ;   in Loop: Header=BB6_927 Depth=1
	global_wb scope:SCOPE_DEV
	s_wait_storecnt 0x0
	s_wait_loadcnt_dscnt 0x0
	global_inv scope:SCOPE_DEV
	s_barrier_signal -1
	s_barrier_wait -1
.LBB6_1283:                             ;   in Loop: Header=BB6_927 Depth=1
	s_or_b32 exec_lo, exec_lo, s17
.LBB6_1284:                             ;   in Loop: Header=BB6_927 Depth=1
	s_delay_alu instid0(SALU_CYCLE_1)
	s_or_b32 exec_lo, exec_lo, s10
	s_trap 2
	ds_load_b32 v11, v0
	v_cmp_lt_i32_e32 vcc_lo, 0, v10
	s_wait_dscnt 0x0
	v_readfirstlane_b32 s10, v11
	v_and_b32_e32 v11, 16, v30
	s_cmp_eq_u32 s10, 0
	s_delay_alu instid0(VALU_DEP_1) | instskip(SKIP_1) | instid1(SALU_CYCLE_1)
	v_cmp_ne_u32_e64 s10, 0, v11
	s_cselect_b32 s17, -1, 0
	s_and_b32 s17, vcc_lo, s17
	s_delay_alu instid0(SALU_CYCLE_1) | instskip(NEXT) | instid1(SALU_CYCLE_1)
	s_and_b32 s17, s10, s17
	s_and_saveexec_b32 s10, s17
	s_cbranch_execz .LBB6_1286
; %bb.1285:                             ;   in Loop: Header=BB6_927 Depth=1
	global_wb scope:SCOPE_SYS
	s_wait_loadcnt 0x0
	s_wait_storecnt 0x0
	global_inv scope:SCOPE_SYS
.LBB6_1286:                             ;   in Loop: Header=BB6_927 Depth=1
	s_or_b32 exec_lo, exec_lo, s10
	s_delay_alu instid0(SALU_CYCLE_1)
	s_mov_b32 s10, exec_lo
	v_cmpx_ne_u32_e32 0, v11
	s_cbranch_execz .LBB6_925
; %bb.1287:                             ;   in Loop: Header=BB6_927 Depth=1
	s_and_saveexec_b32 s17, s7
	s_cbranch_execz .LBB6_924
; %bb.1288:                             ;   in Loop: Header=BB6_927 Depth=1
	global_wb scope:SCOPE_SYS
	s_wait_loadcnt 0x0
	s_wait_storecnt 0x0
	flat_store_b32 v[36:37], v86 scope:SCOPE_SYS
	s_branch .LBB6_924
.LBB6_1289:
	s_or_b32 exec_lo, exec_lo, s14
.LBB6_1290:
	s_delay_alu instid0(SALU_CYCLE_1)
	s_or_b32 exec_lo, exec_lo, s13
.LBB6_1291:
	s_delay_alu instid0(SALU_CYCLE_1) | instskip(SKIP_2) | instid1(VALU_DEP_1)
	s_or_b32 exec_lo, exec_lo, s12
	v_and_b32_e32 v0, 0x800, v30
	s_mov_b32 s1, exec_lo
	v_cmpx_eq_u32_e32 0, v0
	s_cbranch_execz .LBB6_1324
; %bb.1292:
	v_and_b32_e32 v0, 48, v30
	s_mov_b32 s0, exec_lo
	s_delay_alu instid0(VALU_DEP_1)
	v_cmpx_ne_u32_e32 0, v0
	s_cbranch_execz .LBB6_1294
; %bb.1293:
	s_wait_dscnt 0x0
	flat_store_b64 v[20:21], v[8:9] offset:104
.LBB6_1294:
	s_wait_xcnt 0x0
	s_or_b32 exec_lo, exec_lo, s0
	v_and_b32_e32 v0, 0x88, v30
	s_mov_b32 s2, exec_lo
	s_delay_alu instid0(VALU_DEP_1)
	v_cmpx_eq_u32_e32 0x88, v0
	s_cbranch_execz .LBB6_1304
; %bb.1295:
	s_wait_dscnt 0x0
	v_add_nc_u32_e32 v0, -1, v8
	s_mov_b32 s3, 0
	s_delay_alu instid0(VALU_DEP_1) | instskip(NEXT) | instid1(VALU_DEP_1)
	v_and_b32_e32 v0, 7, v0
	v_mad_nc_u64_u32 v[4:5], v0, 24, v[6:7]
	v_and_b32_e32 v0, 64, v30
	s_delay_alu instid0(VALU_DEP_1)
	v_cmp_eq_u32_e64 s0, 0, v0
	flat_load_b64 v[6:7], v[4:5] offset:8 scope:SCOPE_SYS
	s_wait_loadcnt_dscnt 0x0
	v_cmp_ne_u64_e32 vcc_lo, -1, v[6:7]
	s_and_b32 s0, vcc_lo, s0
	s_wait_xcnt 0x0
	s_and_b32 exec_lo, exec_lo, s0
	s_cbranch_execz .LBB6_1304
; %bb.1296:
	s_mov_b32 s5, 0
                                        ; implicit-def: $sgpr0
                                        ; implicit-def: $sgpr4
	s_branch .LBB6_1299
.LBB6_1297:                             ;   in Loop: Header=BB6_1299 Depth=1
	flat_load_b64 v[6:7], v[4:5] offset:8 scope:SCOPE_SYS
	s_wait_loadcnt 0x0
	s_and_not1_b32 s4, s4, exec_lo
	s_wait_dscnt 0x0
	v_cmp_eq_u64_e32 vcc_lo, -1, v[6:7]
	s_or_not1_b32 s7, vcc_lo, exec_lo
.LBB6_1298:                             ;   in Loop: Header=BB6_1299 Depth=1
	s_wait_xcnt 0x0
	s_or_b32 exec_lo, exec_lo, s10
	s_delay_alu instid0(SALU_CYCLE_1) | instskip(NEXT) | instid1(SALU_CYCLE_1)
	s_and_b32 s6, exec_lo, s7
	s_or_b32 s3, s6, s3
	s_and_not1_b32 s0, s0, exec_lo
	s_and_b32 s6, s4, exec_lo
	s_delay_alu instid0(SALU_CYCLE_1)
	s_or_b32 s0, s0, s6
	s_and_not1_b32 exec_lo, exec_lo, s3
	s_cbranch_execz .LBB6_1302
.LBB6_1299:                             ; =>This Inner Loop Header: Depth=1
	s_cmp_lt_i32 s5, 0x270f
	s_cselect_b32 s6, -1, 0
	s_delay_alu instid0(SALU_CYCLE_1)
	s_and_b32 vcc_lo, exec_lo, s6
	s_cbranch_vccnz .LBB6_1301
; %bb.1300:                             ;   in Loop: Header=BB6_1299 Depth=1
	s_trap 2
	ds_load_b64 v[6:7], v0
	s_and_not1_b32 s6, s6, exec_lo
	s_mov_b32 s5, 0
	s_wait_storecnt_dscnt 0x0
	flat_load_b32 v0, v[6:7] scope:SCOPE_SYS
	s_wait_loadcnt_dscnt 0x0
	global_inv scope:SCOPE_SYS
	v_cmp_eq_u32_e32 vcc_lo, 0, v0
	s_and_b32 s7, vcc_lo, exec_lo
	s_delay_alu instid0(SALU_CYCLE_1)
	s_or_b32 s6, s6, s7
	s_mov_b32 s7, -1
	s_or_b32 s4, s4, exec_lo
	s_wait_xcnt 0x0
	s_and_saveexec_b32 s10, s6
	s_cbranch_execz .LBB6_1298
	s_branch .LBB6_1297
.LBB6_1301:                             ;   in Loop: Header=BB6_1299 Depth=1
	s_add_co_i32 s5, s5, 1
                                        ; implicit-def: $vgpr0
	s_mov_b32 s7, -1
	s_or_b32 s4, s4, exec_lo
	s_and_saveexec_b32 s10, s6
	s_cbranch_execz .LBB6_1298
	s_branch .LBB6_1297
.LBB6_1302:
	s_or_b32 exec_lo, exec_lo, s3
	s_and_saveexec_b32 s3, s0
	s_delay_alu instid0(SALU_CYCLE_1)
	s_xor_b32 s3, exec_lo, s3
	s_cbranch_execz .LBB6_1304
; %bb.1303:
	s_wait_loadcnt 0x0
	s_wait_storecnt 0x0
	ds_store_b32 v0, v0
	s_trap 2
.LBB6_1304:
	s_or_b32 exec_lo, exec_lo, s2
	v_and_b32_e32 v0, 0x2000, v30
	s_mov_b32 s0, exec_lo
	s_delay_alu instid0(VALU_DEP_1)
	v_cmpx_ne_u32_e32 0, v0
	s_cbranch_execz .LBB6_1306
; %bb.1305:
	s_trap 2
	ds_load_b64 v[4:5], v0
	s_wait_dscnt 0x0
	flat_store_b64 v[2:3], v[4:5] offset:16
.LBB6_1306:
	s_wait_xcnt 0x0
	s_or_b32 exec_lo, exec_lo, s0
	v_cmp_ne_u32_e32 vcc_lo, 32, v1
	s_and_b32 exec_lo, exec_lo, vcc_lo
	s_cbranch_execz .LBB6_1324
; %bb.1307:
	s_mov_b32 s0, exec_lo
	v_cmpx_ne_u32_e64 v1, v98
	s_xor_b32 s0, exec_lo, s0
	s_cbranch_execz .LBB6_1322
; %bb.1308:
	v_and_b32_e32 v0, 31, v31
	s_mov_b32 s2, exec_lo
	s_delay_alu instid0(VALU_DEP_1)
	v_cmpx_eq_u32_e32 0, v0
	s_cbranch_execz .LBB6_1321
; %bb.1309:
	s_mov_b32 s4, exec_lo
	s_mov_b32 s3, exec_lo
	v_mbcnt_lo_u32_b32 v0, s4, 0
	global_wb scope:SCOPE_DEV
	s_wait_storecnt 0x0
	s_wait_loadcnt_dscnt 0x0
	global_inv scope:SCOPE_DEV
	v_cmpx_eq_u32_e32 0, v0
	s_cbranch_execz .LBB6_1311
; %bb.1310:
	s_bcnt1_i32_b32 s4, s4
	s_delay_alu instid0(SALU_CYCLE_1)
	v_dual_mov_b32 v3, 0 :: v_dual_mov_b32 v2, s4
	s_wait_loadcnt 0x0
	ds_add_u64 v0, v[2:3]
	s_trap 2
.LBB6_1311:
	s_or_b32 exec_lo, exec_lo, s3
	s_trap 2
	ds_load_b64 v[2:3], v0
	s_wait_dscnt 0x0
	v_dual_mov_b32 v1, 0 :: v_dual_lshrrev_b32 v0, 5, v1
	s_mov_b32 s3, exec_lo
	s_delay_alu instid0(VALU_DEP_1) | instskip(NEXT) | instid1(VALU_DEP_1)
	v_add_nc_u64_e32 v[0:1], v[28:29], v[0:1]
	v_cmpx_lt_u64_e64 v[2:3], v[0:1]
	s_cbranch_execz .LBB6_1320
; %bb.1312:
	s_mov_b32 s4, 0
	s_mov_b32 s7, 0
                                        ; implicit-def: $sgpr5
                                        ; implicit-def: $sgpr6
	s_branch .LBB6_1314
.LBB6_1313:                             ;   in Loop: Header=BB6_1314 Depth=1
	s_or_b32 exec_lo, exec_lo, s12
	s_delay_alu instid0(SALU_CYCLE_1) | instskip(NEXT) | instid1(SALU_CYCLE_1)
	s_and_b32 s10, exec_lo, s13
	s_or_b32 s4, s10, s4
	s_and_not1_b32 s5, s5, exec_lo
	s_and_b32 s10, s6, exec_lo
	s_delay_alu instid0(SALU_CYCLE_1)
	s_or_b32 s5, s5, s10
	s_and_not1_b32 exec_lo, exec_lo, s4
	s_cbranch_execz .LBB6_1318
.LBB6_1314:                             ; =>This Inner Loop Header: Depth=1
	s_add_co_i32 s7, s7, 1
	s_delay_alu instid0(SALU_CYCLE_1) | instskip(SKIP_1) | instid1(SALU_CYCLE_1)
	s_cmp_lg_u32 s7, 0x2710
	s_cselect_b32 s10, -1, 0
	s_and_b32 vcc_lo, exec_lo, s10
	s_cbranch_vccz .LBB6_1316
; %bb.1315:                             ;   in Loop: Header=BB6_1314 Depth=1
	s_mov_b32 s13, -1
	s_or_b32 s6, s6, exec_lo
	s_and_saveexec_b32 s12, s10
	s_cbranch_execz .LBB6_1313
	s_branch .LBB6_1317
.LBB6_1316:                             ;   in Loop: Header=BB6_1314 Depth=1
	s_trap 2
	ds_load_b64 v[2:3], v0
	s_and_not1_b32 s10, s10, exec_lo
	s_mov_b32 s7, 0
	s_wait_loadcnt_dscnt 0x0
	flat_load_b32 v2, v[2:3] scope:SCOPE_SYS
	s_wait_loadcnt_dscnt 0x0
	global_inv scope:SCOPE_SYS
	v_cmp_eq_u32_e32 vcc_lo, 0, v2
	s_and_b32 s12, vcc_lo, exec_lo
	s_delay_alu instid0(SALU_CYCLE_1)
	s_or_b32 s10, s10, s12
	s_mov_b32 s13, -1
	s_or_b32 s6, s6, exec_lo
	s_and_saveexec_b32 s12, s10
	s_cbranch_execz .LBB6_1313
.LBB6_1317:                             ;   in Loop: Header=BB6_1314 Depth=1
	s_sleep 1
	s_trap 2
	ds_load_b64 v[2:3], v0
	s_wait_dscnt 0x0
	s_and_not1_b32 s6, s6, exec_lo
	v_cmp_ge_u64_e32 vcc_lo, v[2:3], v[0:1]
	s_or_not1_b32 s13, vcc_lo, exec_lo
	s_branch .LBB6_1313
.LBB6_1318:
	s_or_b32 exec_lo, exec_lo, s4
	s_and_saveexec_b32 s4, s5
	s_delay_alu instid0(SALU_CYCLE_1)
	s_xor_b32 s4, exec_lo, s4
	s_cbranch_execz .LBB6_1320
; %bb.1319:
	v_mov_b32_e32 v0, 1
	ds_store_b32 v0, v0
	s_trap 2
.LBB6_1320:
	s_or_b32 exec_lo, exec_lo, s3
	;;#ASMSTART
	s_wakeup
	;;#ASMEND
.LBB6_1321:
	s_or_b32 exec_lo, exec_lo, s2
.LBB6_1322:
	s_and_not1_saveexec_b32 s0, s0
	s_cbranch_execz .LBB6_1324
; %bb.1323:
	global_wb scope:SCOPE_DEV
	s_wait_storecnt 0x0
	s_wait_loadcnt_dscnt 0x0
	global_inv scope:SCOPE_DEV
	s_barrier_signal -1
	s_barrier_wait -1
.LBB6_1324:
	s_or_b32 exec_lo, exec_lo, s1
.LBB6_1325:
	s_and_not1_saveexec_b32 s21, s11
	s_cbranch_execz .LBB6_1327
; %bb.1326:
	s_get_pc_i64 s[0:1]
	s_add_nc_u64 s[0:1], s[0:1], __PRETTY_FUNCTION__._ZN10PrimitivesI12hip_bfloat1613FuncPreMulSumIS0_E12FanSymmetricILi1EELi0E11ProtoSimpleILi1ELi1ELi0ELi2ELi0ELi0EELi0ELb0ELi0ELi0ELi0EEC2EiiPKiS9_PKvPvmhhhP15ncclDevWorkCollP14ncclDevWorkP2pii@rel64+4
	s_get_pc_i64 s[2:3]
	s_add_nc_u64 s[2:3], s[2:3], __assert_fail@rel64+4
	v_dual_mov_b32 v0, s0 :: v_dual_mov_b32 v1, s1
	s_swap_pc_i64 s[30:31], s[2:3]
	; divergent unreachable
.LBB6_1327:
	s_or_b32 exec_lo, exec_lo, s21
	s_clause 0x13
	scratch_load_b32 v75, off, s33
	scratch_load_b32 v74, off, s33 offset:4
	scratch_load_b32 v73, off, s33 offset:8
	;; [unrolled: 1-line block ×19, first 2 shown]
	v_readlane_b32 s30, v76, 0
	v_readlane_b32 s31, v76, 1
	s_mov_b32 s32, s33
	s_wait_xcnt 0x0
	s_or_saveexec_b32 s0, -1
	scratch_load_b32 v76, off, s33 offset:80 ; 4-byte Folded Reload
	s_wait_xcnt 0x0
	s_mov_b32 exec_lo, s0
	s_mov_b32 s33, s43
	s_wait_loadcnt_dscnt 0x0
	s_set_pc_i64 s[30:31]
.Lfunc_end6:
	.size	_ZN12_GLOBAL__N_17runRingI12hip_bfloat1613FuncPreMulSumIS1_E11ProtoSimpleILi1ELi1ELi0ELi2ELi0ELi0EELi0ELi2ELi0EEEviiP15ncclDevWorkColl, .Lfunc_end6-_ZN12_GLOBAL__N_17runRingI12hip_bfloat1613FuncPreMulSumIS1_E11ProtoSimpleILi1ELi1ELi0ELi2ELi0ELi0EELi0ELi2ELi0EEEviiP15ncclDevWorkColl
                                        ; -- End function
	.set .L_ZN12_GLOBAL__N_17runRingI12hip_bfloat1613FuncPreMulSumIS1_E11ProtoSimpleILi1ELi1ELi0ELi2ELi0ELi0EELi0ELi2ELi0EEEviiP15ncclDevWorkColl.num_vgpr, max(120, .L__assert_fail.num_vgpr)
	.set .L_ZN12_GLOBAL__N_17runRingI12hip_bfloat1613FuncPreMulSumIS1_E11ProtoSimpleILi1ELi1ELi0ELi2ELi0ELi0EELi0ELi2ELi0EEEviiP15ncclDevWorkColl.num_agpr, max(0, .L__assert_fail.num_agpr)
	.set .L_ZN12_GLOBAL__N_17runRingI12hip_bfloat1613FuncPreMulSumIS1_E11ProtoSimpleILi1ELi1ELi0ELi2ELi0ELi0EELi0ELi2ELi0EEEviiP15ncclDevWorkColl.numbered_sgpr, max(44, .L__assert_fail.numbered_sgpr)
	.set .L_ZN12_GLOBAL__N_17runRingI12hip_bfloat1613FuncPreMulSumIS1_E11ProtoSimpleILi1ELi1ELi0ELi2ELi0ELi0EELi0ELi2ELi0EEEviiP15ncclDevWorkColl.num_named_barrier, max(0, .L__assert_fail.num_named_barrier)
	.set .L_ZN12_GLOBAL__N_17runRingI12hip_bfloat1613FuncPreMulSumIS1_E11ProtoSimpleILi1ELi1ELi0ELi2ELi0ELi0EELi0ELi2ELi0EEEviiP15ncclDevWorkColl.private_seg_size, 96+max(.L__assert_fail.private_seg_size)
	.set .L_ZN12_GLOBAL__N_17runRingI12hip_bfloat1613FuncPreMulSumIS1_E11ProtoSimpleILi1ELi1ELi0ELi2ELi0ELi0EELi0ELi2ELi0EEEviiP15ncclDevWorkColl.uses_vcc, or(1, .L__assert_fail.uses_vcc)
	.set .L_ZN12_GLOBAL__N_17runRingI12hip_bfloat1613FuncPreMulSumIS1_E11ProtoSimpleILi1ELi1ELi0ELi2ELi0ELi0EELi0ELi2ELi0EEEviiP15ncclDevWorkColl.uses_flat_scratch, or(1, .L__assert_fail.uses_flat_scratch)
	.set .L_ZN12_GLOBAL__N_17runRingI12hip_bfloat1613FuncPreMulSumIS1_E11ProtoSimpleILi1ELi1ELi0ELi2ELi0ELi0EELi0ELi2ELi0EEEviiP15ncclDevWorkColl.has_dyn_sized_stack, or(0, .L__assert_fail.has_dyn_sized_stack)
	.set .L_ZN12_GLOBAL__N_17runRingI12hip_bfloat1613FuncPreMulSumIS1_E11ProtoSimpleILi1ELi1ELi0ELi2ELi0ELi0EELi0ELi2ELi0EEEviiP15ncclDevWorkColl.has_recursion, or(1, .L__assert_fail.has_recursion)
	.set .L_ZN12_GLOBAL__N_17runRingI12hip_bfloat1613FuncPreMulSumIS1_E11ProtoSimpleILi1ELi1ELi0ELi2ELi0ELi0EELi0ELi2ELi0EEEviiP15ncclDevWorkColl.has_indirect_call, or(0, .L__assert_fail.has_indirect_call)
	.section	.AMDGPU.csdata,"",@progbits
; Function info:
; codeLenInByte = 41752
; TotalNumSgprs: 46
; NumVgprs: 120
; ScratchSize: 160
; MemoryBound: 1
	.text
	.p2align	2                               ; -- Begin function _Z51ncclDevFunc_Reduce_RING_SIMPLE_PreMulSum_bf16_0_0_2v
	.type	_Z51ncclDevFunc_Reduce_RING_SIMPLE_PreMulSum_bf16_0_0_2v,@function
_Z51ncclDevFunc_Reduce_RING_SIMPLE_PreMulSum_bf16_0_0_2v: ; @_Z51ncclDevFunc_Reduce_RING_SIMPLE_PreMulSum_bf16_0_0_2v
; %bb.0:
	s_wait_loadcnt_dscnt 0x0
	s_wait_kmcnt 0x0
	s_mov_b32 s59, s33
	s_mov_b32 s33, s32
	s_or_saveexec_b32 s0, -1
	scratch_store_b32 off, v42, s33 offset:12 ; 4-byte Folded Spill
	s_wait_xcnt 0x0
	s_mov_b32 exec_lo, s0
	s_add_co_i32 s32, s32, 32
	s_clause 0x2
	scratch_store_b32 off, v40, s33 offset:8
	; meta instruction
	scratch_store_b32 off, v41, s33 offset:4
	; meta instruction
	scratch_store_b32 off, v76, s33
	v_writelane_b32 v42, s30, 0
	v_writelane_b32 v42, s31, 1
	s_trap 2
	ds_load_b32 v0, v0
	s_wait_xcnt 0x2
	v_mov_b32_e32 v40, v31
	s_mov_b32 s46, s12
	s_mov_b64 s[44:45], s[8:9]
	s_mov_b32 s2, exec_lo
	s_wait_xcnt 0x1
	v_and_b32_e32 v41, 0x3ff, v40
	s_wait_dscnt 0x0
	s_wait_xcnt 0x0
	s_delay_alu instid0(VALU_DEP_1)
	v_cmpx_lt_i32_e64 v41, v0
	s_cbranch_execz .LBB7_5
; %bb.1:
	s_load_b32 s0, s[44:45], 0x0
	s_bfe_u32 s1, ttmp6, 0x4000c
	s_and_b32 s3, ttmp6, 15
	s_add_co_i32 s1, s1, 1
	s_getreg_b32 s4, hwreg(HW_REG_IB_STS2, 6, 4)
	s_mul_i32 s1, ttmp9, s1
	v_mov_b32_e32 v2, v41
	s_add_co_i32 s3, s3, s1
	s_cmp_eq_u32 s4, 0
                                        ; implicit-def: $vgpr3
	s_cselect_b32 s1, ttmp9, s3
	s_mov_b32 s3, 0
	s_wait_kmcnt 0x0
	s_cmp_lt_u32 s1, s0
	s_mov_b32 s1, 0
	s_cselect_b32 s0, 12, 18
	s_delay_alu instid0(SALU_CYCLE_1)
	s_add_nc_u64 s[4:5], s[44:45], s[0:1]
	s_load_u16 s0, s[4:5], 0x0
	s_trap 2
	ds_load_b32 v1, v0
	s_wait_dscnt 0x0
	s_wait_kmcnt 0x0
	v_mul_lo_u32 v1, v1, s0
	s_branch .LBB7_3
.LBB7_2:                                ;   in Loop: Header=BB7_3 Depth=1
	s_or_b32 exec_lo, exec_lo, s4
	v_dual_add_nc_u32 v2, s0, v2 :: v_dual_add_nc_u32 v3, v3, v1
	s_delay_alu instid0(VALU_DEP_1) | instskip(SKIP_1) | instid1(SALU_CYCLE_1)
	v_cmp_ge_i32_e32 vcc_lo, v2, v0
	s_or_b32 s3, vcc_lo, s3
	s_and_not1_b32 exec_lo, exec_lo, s3
	s_cbranch_execz .LBB7_5
.LBB7_3:                                ; =>This Inner Loop Header: Depth=1
	ds_load_b32 v4, v3
	s_mov_b32 s4, exec_lo
	s_wait_dscnt 0x0
	v_and_b32_e32 v4, 0x1000000, v4
	s_delay_alu instid0(VALU_DEP_1)
	v_cmpx_ne_u32_e32 0, v4
	s_cbranch_execz .LBB7_2
; %bb.4:                                ;   in Loop: Header=BB7_3 Depth=1
	ds_load_b64 v[4:5], v3 offset:104
	s_wait_dscnt 0x0
	flat_load_u16 v4, v[4:5]
	s_wait_xcnt 0x0
	v_mov_b32_e32 v5, s1
	s_wait_loadcnt_dscnt 0x0
	v_and_b32_e32 v4, 0xffff, v4
	ds_store_b64 v3, v[4:5] offset:104
	s_branch .LBB7_2
.LBB7_5:
	s_or_b32 exec_lo, exec_lo, s2
	s_wait_storecnt_dscnt 0x0
	s_barrier_signal -1
	s_barrier_wait -1
	s_trap 2
	ds_load_b32 v0, v0
	s_wait_dscnt 0x0
	v_cmp_gt_i32_e32 vcc_lo, 1, v0
	s_cbranch_vccnz .LBB7_13
; %bb.6:
	s_mov_b32 s47, 0
	s_get_pc_i64 s[56:57]
	s_add_nc_u64 s[56:57], s[56:57], _ZN12_GLOBAL__N_17runRingI12hip_bfloat1613FuncPreMulSumIS1_E11ProtoSimpleILi1ELi1ELi0ELi2ELi0ELi0EELi0ELi2ELi0EEEviiP15ncclDevWorkColl@rel64+4
	s_branch .LBB7_8
.LBB7_7:                                ;   in Loop: Header=BB7_8 Depth=1
	s_or_b32 exec_lo, exec_lo, s58
	s_trap 2
	ds_load_b32 v0, v0
	s_add_co_i32 s47, s47, 1
	s_wait_dscnt 0x0
	v_cmp_lt_i32_e32 vcc_lo, s47, v0
	s_cbranch_vccz .LBB7_13
.LBB7_8:                                ; =>This Inner Loop Header: Depth=1
	s_trap 2
	ds_load_b32 v0, v0
	s_cmp_eq_u32 s47, 0
	s_cbranch_scc1 .LBB7_11
; %bb.9:                                ;   in Loop: Header=BB7_8 Depth=1
	s_trap 2
	s_wait_dscnt 0x0
	ds_load_b32 v1, v0
	s_wait_dscnt 0x0
	v_xor_b32_e32 v1, v1, v0
	s_delay_alu instid0(VALU_DEP_1) | instskip(NEXT) | instid1(VALU_DEP_1)
	v_and_b32_e32 v1, 0xff0000, v1
	v_cmp_eq_u32_e32 vcc_lo, 0, v1
	s_cbranch_vccnz .LBB7_11
; %bb.10:                               ;   in Loop: Header=BB7_8 Depth=1
	s_barrier_signal -1
	s_barrier_wait -1
	ds_load_b32 v0, v0
.LBB7_11:                               ;   in Loop: Header=BB7_8 Depth=1
	s_wait_dscnt 0x0
	v_lshrrev_b32_e32 v0, 11, v0
	s_mov_b32 s58, exec_lo
	s_delay_alu instid0(VALU_DEP_1) | instskip(NEXT) | instid1(VALU_DEP_1)
	v_and_b32_e32 v1, 0x1fe0, v0
	v_cmpx_lt_u32_e64 v41, v1
	s_cbranch_execz .LBB7_7
; %bb.12:                               ;   in Loop: Header=BB7_8 Depth=1
	s_mov_b64 s[0:1], src_shared_base
	v_dual_mov_b32 v31, v40 :: v_dual_mov_b32 v0, v41
	v_mov_b32_e32 v3, s1
	s_mov_b64 s[8:9], s[44:45]
	s_mov_b32 s12, s46
	s_swap_pc_i64 s[30:31], s[56:57]
	s_branch .LBB7_7
.LBB7_13:
	s_clause 0x2
	scratch_load_b32 v76, off, s33
	scratch_load_b32 v41, off, s33 offset:4
	scratch_load_b32 v40, off, s33 offset:8
	v_readlane_b32 s30, v42, 0
	v_readlane_b32 s31, v42, 1
	s_mov_b32 s32, s33
	s_wait_xcnt 0x0
	s_or_saveexec_b32 s0, -1
	scratch_load_b32 v42, off, s33 offset:12 ; 4-byte Folded Reload
	s_wait_xcnt 0x0
	s_mov_b32 exec_lo, s0
	s_mov_b32 s33, s59
	s_wait_loadcnt 0x0
	s_set_pc_i64 s[30:31]
.Lfunc_end7:
	.size	_Z51ncclDevFunc_Reduce_RING_SIMPLE_PreMulSum_bf16_0_0_2v, .Lfunc_end7-_Z51ncclDevFunc_Reduce_RING_SIMPLE_PreMulSum_bf16_0_0_2v
                                        ; -- End function
	.set .L_Z51ncclDevFunc_Reduce_RING_SIMPLE_PreMulSum_bf16_0_0_2v.num_vgpr, max(77, .L_ZN12_GLOBAL__N_17runRingI12hip_bfloat1613FuncPreMulSumIS1_E11ProtoSimpleILi1ELi1ELi0ELi2ELi0ELi0EELi0ELi2ELi0EEEviiP15ncclDevWorkColl.num_vgpr)
	.set .L_Z51ncclDevFunc_Reduce_RING_SIMPLE_PreMulSum_bf16_0_0_2v.num_agpr, max(0, .L_ZN12_GLOBAL__N_17runRingI12hip_bfloat1613FuncPreMulSumIS1_E11ProtoSimpleILi1ELi1ELi0ELi2ELi0ELi0EELi0ELi2ELi0EEEviiP15ncclDevWorkColl.num_agpr)
	.set .L_Z51ncclDevFunc_Reduce_RING_SIMPLE_PreMulSum_bf16_0_0_2v.numbered_sgpr, max(60, .L_ZN12_GLOBAL__N_17runRingI12hip_bfloat1613FuncPreMulSumIS1_E11ProtoSimpleILi1ELi1ELi0ELi2ELi0ELi0EELi0ELi2ELi0EEEviiP15ncclDevWorkColl.numbered_sgpr)
	.set .L_Z51ncclDevFunc_Reduce_RING_SIMPLE_PreMulSum_bf16_0_0_2v.num_named_barrier, max(0, .L_ZN12_GLOBAL__N_17runRingI12hip_bfloat1613FuncPreMulSumIS1_E11ProtoSimpleILi1ELi1ELi0ELi2ELi0ELi0EELi0ELi2ELi0EEEviiP15ncclDevWorkColl.num_named_barrier)
	.set .L_Z51ncclDevFunc_Reduce_RING_SIMPLE_PreMulSum_bf16_0_0_2v.private_seg_size, 32+max(.L_ZN12_GLOBAL__N_17runRingI12hip_bfloat1613FuncPreMulSumIS1_E11ProtoSimpleILi1ELi1ELi0ELi2ELi0ELi0EELi0ELi2ELi0EEEviiP15ncclDevWorkColl.private_seg_size)
	.set .L_Z51ncclDevFunc_Reduce_RING_SIMPLE_PreMulSum_bf16_0_0_2v.uses_vcc, or(1, .L_ZN12_GLOBAL__N_17runRingI12hip_bfloat1613FuncPreMulSumIS1_E11ProtoSimpleILi1ELi1ELi0ELi2ELi0ELi0EELi0ELi2ELi0EEEviiP15ncclDevWorkColl.uses_vcc)
	.set .L_Z51ncclDevFunc_Reduce_RING_SIMPLE_PreMulSum_bf16_0_0_2v.uses_flat_scratch, or(1, .L_ZN12_GLOBAL__N_17runRingI12hip_bfloat1613FuncPreMulSumIS1_E11ProtoSimpleILi1ELi1ELi0ELi2ELi0ELi0EELi0ELi2ELi0EEEviiP15ncclDevWorkColl.uses_flat_scratch)
	.set .L_Z51ncclDevFunc_Reduce_RING_SIMPLE_PreMulSum_bf16_0_0_2v.has_dyn_sized_stack, or(0, .L_ZN12_GLOBAL__N_17runRingI12hip_bfloat1613FuncPreMulSumIS1_E11ProtoSimpleILi1ELi1ELi0ELi2ELi0ELi0EELi0ELi2ELi0EEEviiP15ncclDevWorkColl.has_dyn_sized_stack)
	.set .L_Z51ncclDevFunc_Reduce_RING_SIMPLE_PreMulSum_bf16_0_0_2v.has_recursion, or(1, .L_ZN12_GLOBAL__N_17runRingI12hip_bfloat1613FuncPreMulSumIS1_E11ProtoSimpleILi1ELi1ELi0ELi2ELi0ELi0EELi0ELi2ELi0EEEviiP15ncclDevWorkColl.has_recursion)
	.set .L_Z51ncclDevFunc_Reduce_RING_SIMPLE_PreMulSum_bf16_0_0_2v.has_indirect_call, or(0, .L_ZN12_GLOBAL__N_17runRingI12hip_bfloat1613FuncPreMulSumIS1_E11ProtoSimpleILi1ELi1ELi0ELi2ELi0ELi0EELi0ELi2ELi0EEEviiP15ncclDevWorkColl.has_indirect_call)
	.section	.AMDGPU.csdata,"",@progbits
; Function info:
; codeLenInByte = 756
; TotalNumSgprs: 62
; NumVgprs: 120
; ScratchSize: 192
; MemoryBound: 0
	.text
	.p2align	2                               ; -- Begin function _ZN12_GLOBAL__N_17runRingI12hip_bfloat1613FuncPreMulSumIS1_E11ProtoSimpleILi1ELi1ELi0ELi2ELi0ELi0EELi0ELi2ELi1EEEviiP15ncclDevWorkColl
	.type	_ZN12_GLOBAL__N_17runRingI12hip_bfloat1613FuncPreMulSumIS1_E11ProtoSimpleILi1ELi1ELi0ELi2ELi0ELi0EELi0ELi2ELi1EEEviiP15ncclDevWorkColl,@function
_ZN12_GLOBAL__N_17runRingI12hip_bfloat1613FuncPreMulSumIS1_E11ProtoSimpleILi1ELi1ELi0ELi2ELi0ELi0EELi0ELi2ELi1EEEviiP15ncclDevWorkColl: ; @_ZN12_GLOBAL__N_17runRingI12hip_bfloat1613FuncPreMulSumIS1_E11ProtoSimpleILi1ELi1ELi0ELi2ELi0ELi0EELi0ELi2ELi1EEEviiP15ncclDevWorkColl
; %bb.0:
	s_wait_loadcnt_dscnt 0x0
	s_wait_kmcnt 0x0
	s_mov_b32 s46, s33
	s_mov_b32 s33, s32
	s_or_saveexec_b32 s0, -1
	scratch_store_b32 off, v122, s33 offset:240 ; 4-byte Folded Spill
	s_wait_xcnt 0x0
	s_mov_b32 exec_lo, s0
	s_addk_co_i32 s32, 0x100
	s_clause 0x29
	scratch_store_b32 off, v40, s33 offset:164
	; meta instruction
	scratch_store_b32 off, v41, s33 offset:160
	; meta instruction
	;; [unrolled: 2-line block ×41, first 2 shown]
	scratch_store_b32 off, v121, s33
	v_writelane_b32 v122, s30, 0
	v_writelane_b32 v122, s31, 1
	s_trap 2
	ds_load_b64 v[14:15], v0
	ds_load_b32 v9, v0
	flat_load_b64 v[6:7], v[2:3]
                                        ; implicit-def: $vgpr18_vgpr19
                                        ; implicit-def: $vgpr4_vgpr5
                                        ; implicit-def: $vgpr52_vgpr53
	s_wait_dscnt 0x2
	v_readfirstlane_b32 s0, v14
	v_readfirstlane_b32 s1, v15
	flat_load_u16 v17, v[2:3] offset:8
	flat_load_b32 v24, v15, s[0:1] offset:-4 scale_offset
	s_wait_xcnt 0x0
	s_mov_b32 s0, exec_lo
	s_wait_loadcnt_dscnt 0x202
	v_and_b32_e32 v8, 0xff, v6
	v_mov_b32_e32 v16, v7
	s_delay_alu instid0(VALU_DEP_2)
	v_cmpx_ne_u32_e64 v9, v8
	s_xor_b32 s0, exec_lo, s0
	s_cbranch_execz .LBB8_6
; %bb.1:
	v_bfe_u32 v10, v6, 8, 8
	v_not_b32_e32 v8, v8
	s_mov_b32 s1, exec_lo
                                        ; implicit-def: $vgpr18_vgpr19
                                        ; implicit-def: $vgpr4_vgpr5
                                        ; implicit-def: $vgpr52_vgpr53
	s_delay_alu instid0(VALU_DEP_2)
	v_cmpx_ne_u32_e64 v9, v10
	s_xor_b32 s1, exec_lo, s1
	s_cbranch_execz .LBB8_3
; %bb.2:
	s_clause 0x1
	flat_load_b128 v[4:7], v[2:3] offset:72
	flat_load_b64 v[10:11], v[2:3] offset:96
	v_add_nc_u32_e32 v8, v9, v8
	s_wait_loadcnt_dscnt 0x101
	s_delay_alu instid0(VALU_DEP_1) | instskip(SKIP_3) | instid1(VALU_DEP_3)
	v_mad_nc_u64_u32 v[52:53], v6, v8, v[4:5]
	v_ashrrev_i32_e32 v5, 31, v8
	s_wait_loadcnt_dscnt 0x0
	v_lshrrev_b64 v[18:19], 13, v[10:11]
                                        ; implicit-def: $vgpr10
	v_mad_u32 v4, v7, v8, v53
                                        ; implicit-def: $vgpr8
	s_delay_alu instid0(VALU_DEP_1)
	v_mad_u32 v53, v6, v5, v4
	v_mov_b64_e32 v[4:5], v[6:7]
.LBB8_3:
	s_wait_xcnt 0x0
	s_and_not1_saveexec_b32 s1, s1
	s_cbranch_execz .LBB8_5
; %bb.4:
	s_clause 0x1
	flat_load_b128 v[18:21], v[2:3] offset:72
	flat_load_b128 v[4:7], v[2:3] offset:88
	s_wait_loadcnt_dscnt 0x0
	v_add_nc_u32_e32 v6, v10, v8
	s_delay_alu instid0(VALU_DEP_1) | instskip(SKIP_1) | instid1(VALU_DEP_2)
	v_mad_nc_u64_u32 v[52:53], v20, v6, v[18:19]
	v_lshrrev_b32_e32 v18, 2, v7
	v_mad_u32 v8, v21, v6, v53
	v_ashrrev_i32_e32 v6, 31, v6
	s_delay_alu instid0(VALU_DEP_1)
	v_mad_u32 v53, v20, v6, v8
.LBB8_5:
	s_wait_xcnt 0x0
	s_or_b32 exec_lo, exec_lo, s1
.LBB8_6:
	s_and_not1_saveexec_b32 s0, s0
	s_cbranch_execz .LBB8_8
; %bb.7:
	s_clause 0x1
	flat_load_b64 v[6:7], v[2:3] offset:96
	flat_load_b64 v[4:5], v[2:3] offset:72
	v_mov_b64_e32 v[52:53], 0
	s_wait_loadcnt_dscnt 0x101
	v_lshlrev_b64_e32 v[18:19], 8, v[6:7]
.LBB8_8:
	s_wait_xcnt 0x0
	s_or_b32 exec_lo, exec_lo, s0
	s_trap 2
	ds_load_b64 v[6:7], v0
	s_mov_b32 s1, 0
	s_mov_b32 s2, exec_lo
	s_wait_dscnt 0x0
	v_cmp_ne_u32_e32 vcc_lo, -1, v6
	v_cndmask_b32_e64 v15, 0, 1, vcc_lo
	v_cmp_ne_u32_e32 vcc_lo, -1, v7
	s_delay_alu instid0(VALU_DEP_2) | instskip(NEXT) | instid1(VALU_DEP_1)
	v_add_co_ci_u32_e64 v6, null, 0, v15, vcc_lo
	v_lshlrev_b32_e32 v7, 1, v6
	s_delay_alu instid0(VALU_DEP_1)
	v_cmpx_le_u32_e64 v7, v1
	s_xor_b32 s16, exec_lo, s2
	s_cbranch_execz .LBB8_2878
; %bb.9:
	s_clause 0x1
	flat_load_b128 v[10:13], v[2:3] offset:16
	flat_load_b64 v[20:21], v[2:3] offset:104
	s_trap 2
	s_load_b32 s0, s[8:9], 0x0
	s_bfe_u32 s2, ttmp6, 0x4000c
	s_and_b32 s3, ttmp6, 15
	s_add_co_i32 s2, s2, 1
	s_getreg_b32 s4, hwreg(HW_REG_IB_STS2, 6, 4)
	s_mul_i32 s2, ttmp9, s2
	v_dual_mov_b32 v2, 0 :: v_dual_mov_b32 v30, 4
	s_add_co_i32 s3, s3, s2
	s_cmp_eq_u32 s4, 0
	s_cselect_b32 s2, ttmp9, s3
	s_wait_kmcnt 0x0
	s_cmp_lt_u32 s2, s0
	s_mov_b32 s2, exec_lo
	s_cselect_b32 s0, 12, 18
	s_delay_alu instid0(SALU_CYCLE_1)
	s_add_nc_u64 s[0:1], s[8:9], s[0:1]
	global_load_u16 v19, v2, s[0:1]
	s_wait_xcnt 0x0
	ds_load_b32 v2, v0
	s_wait_dscnt 0x0
	v_readfirstlane_b32 s1, v2
	v_cmpx_ge_u32_e64 v0, v15
	s_cbranch_execz .LBB8_19
; %bb.10:
	v_cmp_ge_u32_e64 s0, v0, v6
                                        ; implicit-def: $vgpr30
	s_and_saveexec_b32 s3, s0
	s_delay_alu instid0(SALU_CYCLE_1)
	s_xor_b32 s0, exec_lo, s3
	s_cbranch_execz .LBB8_16
; %bb.11:
	v_cndmask_b32_e64 v2, 0, 1, vcc_lo
	s_mov_b32 s3, exec_lo
	s_delay_alu instid0(VALU_DEP_1) | instskip(NEXT) | instid1(VALU_DEP_1)
	v_sub_nc_u32_e32 v2, v1, v2
	v_cmpx_ge_u32_e64 v0, v2
	s_xor_b32 s3, exec_lo, s3
; %bb.12:
                                        ; implicit-def: $vgpr6
; %bb.13:
	s_delay_alu instid0(SALU_CYCLE_1)
	s_or_saveexec_b32 s3, s3
	v_mov_b32_e32 v30, 16
	s_xor_b32 exec_lo, exec_lo, s3
; %bb.14:
	v_sub_nc_u32_e32 v2, v1, v6
	s_delay_alu instid0(VALU_DEP_1)
	v_cmp_lt_i32_e32 vcc_lo, v0, v2
	v_cndmask_b32_e64 v30, 32, 0, vcc_lo
; %bb.15:
	s_or_b32 exec_lo, exec_lo, s3
.LBB8_16:
	s_and_not1_saveexec_b32 s0, s0
; %bb.17:
	v_mov_b32_e32 v30, 8
; %bb.18:
	s_or_b32 exec_lo, exec_lo, s0
.LBB8_19:
	s_delay_alu instid0(SALU_CYCLE_1) | instskip(NEXT) | instid1(VALU_DEP_1)
	s_or_b32 exec_lo, exec_lo, s2
	v_dual_mov_b32 v25, -1 :: v_dual_bitop2_b32 v2, 36, v30 bitop3:0x40
	s_delay_alu instid0(VALU_DEP_1)
	v_cmp_ne_u32_e32 vcc_lo, 0, v2
	s_and_saveexec_b32 s0, vcc_lo
	s_cbranch_execz .LBB8_21
; %bb.20:
	s_trap 2
	ds_load_b32 v25, v0
.LBB8_21:
	s_or_b32 exec_lo, exec_lo, s0
	v_and_b32_e32 v2, 24, v30
	s_mov_b32 s2, exec_lo
	s_delay_alu instid0(VALU_DEP_1)
	v_cmpx_ne_u32_e32 0, v2
	s_cbranch_execz .LBB8_23
; %bb.22:
	s_trap 2
	s_wait_dscnt 0x0
	ds_load_b32 v25, v0
.LBB8_23:
	s_or_b32 exec_lo, exec_lo, s2
	s_wait_loadcnt 0x4
	v_lshrrev_b64 v[2:3], 31, v[16:17]
	v_mov_b64_e32 v[54:55], 0
	v_mov_b64_e32 v[6:7], 0
                                        ; implicit-def: $vgpr66
                                        ; implicit-def: $vgpr70_vgpr71
                                        ; implicit-def: $vgpr68_vgpr69
                                        ; implicit-def: $vgpr64_vgpr65
	s_delay_alu instid0(VALU_DEP_3)
	v_and_b32_e32 v17, 3, v2
                                        ; implicit-def: $vgpr2_vgpr3
	s_and_saveexec_b32 s0, vcc_lo
	s_cbranch_execz .LBB8_33
; %bb.24:
	s_trap 2
	ds_load_b64 v[2:3], v0
	v_and_b32_e32 v6, 0xffff, v17
	s_wait_dscnt 0x0
	v_readfirstlane_b32 s2, v2
	v_readfirstlane_b32 s3, v3
	flat_load_b64 v[2:3], v25, s[2:3] scale_offset
	s_wait_loadcnt_dscnt 0x0
	v_mad_nc_u64_u32 v[22:23], 0xa8, v6, v[2:3]
	flat_load_b32 v2, v[22:23] offset:640
	s_wait_loadcnt_dscnt 0x0
	v_cmp_eq_u32_e32 vcc_lo, 1, v2
                                        ; implicit-def: $vgpr2_vgpr3
	s_wait_xcnt 0x0
	s_and_saveexec_b32 s2, vcc_lo
	s_cbranch_execz .LBB8_26
; %bb.25:
	flat_load_b64 v[2:3], v[22:23] offset:648
	v_or_b32_e32 v30, 0x2000, v30
	s_wait_loadcnt_dscnt 0x0
	flat_load_b64 v[6:7], v[2:3]
	s_trap 2
	s_wait_loadcnt_dscnt 0x0
	ds_store_b64 v0, v[6:7]
	flat_load_b64 v[6:7], v[2:3] offset:8
	s_wait_loadcnt_dscnt 0x0
	ds_store_b64 v0, v[6:7]
	flat_load_b64 v[6:7], v[2:3] offset:16
	s_wait_loadcnt_dscnt 0x0
	ds_store_b64 v0, v[6:7]
.LBB8_26:
	s_wait_xcnt 0x0
	s_or_b32 exec_lo, exec_lo, s2
	flat_load_b64 v[8:9], v[22:23] offset:608
	v_and_b32_e32 v6, 32, v30
	s_mov_b32 s2, exec_lo
                                        ; implicit-def: $vgpr64_vgpr65
	s_wait_xcnt 0x0
	s_delay_alu instid0(VALU_DEP_1)
	v_cmpx_ne_u32_e32 0, v6
	s_cbranch_execz .LBB8_28
; %bb.27:
	flat_load_b64 v[64:65], v[22:23] offset:560
	global_wb scope:SCOPE_SYS
	s_wait_storecnt 0x0
	s_wait_xcnt 0x0
	s_wait_loadcnt_dscnt 0x0
	flat_store_b64 v[64:65], v[8:9] scope:SCOPE_SYS
.LBB8_28:
	s_wait_xcnt 0x0
	s_or_b32 exec_lo, exec_lo, s2
	v_add_nc_u64_e32 v[54:55], 0x1f8, v[22:23]
	v_mov_b64_e32 v[6:7], 0
	v_and_b32_e32 v26, 4, v30
	s_mov_b32 s2, exec_lo
                                        ; implicit-def: $vgpr66
                                        ; implicit-def: $vgpr70_vgpr71
                                        ; implicit-def: $vgpr68_vgpr69
	s_delay_alu instid0(VALU_DEP_1)
	v_cmpx_ne_u32_e32 0, v26
	s_cbranch_execz .LBB8_32
; %bb.29:
	v_and_b32_e32 v6, 0x800, v30
	s_mov_b32 s3, exec_lo
	s_delay_alu instid0(VALU_DEP_1)
	v_cmpx_eq_u32_e32 0, v6
	s_cbranch_execz .LBB8_31
; %bb.30:
	s_trap 2
	ds_store_b64 v0, v[54:55]
.LBB8_31:
	s_or_b32 exec_lo, exec_lo, s3
	flat_load_b64 v[64:65], v[22:23] offset:552
	s_wait_loadcnt_dscnt 0x0
	flat_load_b64 v[70:71], v[64:65] scope:SCOPE_SYS
	s_clause 0x2
	flat_load_b32 v26, v[22:23] offset:576
	flat_load_b64 v[6:7], v[22:23] offset:600
	flat_load_b64 v[68:69], v[22:23] offset:520
	s_wait_xcnt 0x0
	v_or_b32_e32 v22, 0x100, v30
	s_wait_loadcnt_dscnt 0x202
	v_ashrrev_i32_e32 v66, 1, v26
	s_wait_loadcnt_dscnt 0x101
	v_cmp_eq_u64_e32 vcc_lo, 0, v[6:7]
	v_cndmask_b32_e32 v30, v22, v30, vcc_lo
.LBB8_32:
	s_or_b32 exec_lo, exec_lo, s2
.LBB8_33:
	s_delay_alu instid0(SALU_CYCLE_1) | instskip(NEXT) | instid1(VALU_DEP_1)
	s_or_b32 exec_lo, exec_lo, s0
	v_and_b32_e32 v22, 24, v30
	s_mov_b32 s0, exec_lo
                                        ; implicit-def: $vgpr84_vgpr85
	s_delay_alu instid0(VALU_DEP_1)
	v_cmpx_ne_u32_e32 0, v22
	s_cbranch_execz .LBB8_41
; %bb.34:
	s_trap 2
	ds_load_b64 v[6:7], v0
	s_wait_loadcnt_dscnt 0x1
	v_and_b32_e32 v8, 0xffff, v17
	v_or_b32_e32 v17, 0x100, v30
                                        ; implicit-def: $vgpr84_vgpr85
	s_wait_dscnt 0x0
	v_readfirstlane_b32 s2, v6
	v_readfirstlane_b32 s3, v7
	flat_load_b64 v[6:7], v25, s[2:3] scale_offset
	s_wait_xcnt 0x0
	s_mov_b32 s2, exec_lo
	s_wait_loadcnt_dscnt 0x0
	v_mad_nc_u64_u32 v[54:55], 0xa8, v8, v[6:7]
	flat_load_b128 v[6:9], v[54:55] offset:96
	s_wait_loadcnt_dscnt 0x0
	v_cmp_eq_u64_e32 vcc_lo, 0, v[6:7]
	v_cndmask_b32_e32 v30, v17, v30, vcc_lo
	s_delay_alu instid0(VALU_DEP_1) | instskip(SKIP_1) | instid1(VALU_DEP_1)
	v_and_b32_e32 v17, 16, v30
	s_wait_xcnt 0x0
	v_cmpx_ne_u32_e32 0, v17
	s_cbranch_execz .LBB8_36
; %bb.35:
	s_clause 0x2
	flat_load_b64 v[64:65], v[54:55] offset:48
	flat_load_b64 v[84:85], v[54:55] offset:120
	;; [unrolled: 1-line block ×3, first 2 shown]
.LBB8_36:
	s_wait_xcnt 0x0
	s_or_b32 exec_lo, exec_lo, s2
	v_and_b32_e32 v17, 8, v30
	s_mov_b32 s2, exec_lo
	s_delay_alu instid0(VALU_DEP_1)
	v_cmpx_ne_u32_e32 0, v17
	s_cbranch_execz .LBB8_40
; %bb.37:
	v_and_b32_e32 v17, 0x800, v30
	s_mov_b32 s3, exec_lo
	s_delay_alu instid0(VALU_DEP_1)
	v_cmpx_eq_u32_e32 0, v17
	s_cbranch_execz .LBB8_39
; %bb.38:
	s_trap 2
	ds_store_b64 v0, v[54:55]
.LBB8_39:
	s_or_b32 exec_lo, exec_lo, s3
	s_wait_loadcnt_dscnt 0x202
	flat_load_b64 v[64:65], v[54:55] offset:56
	s_wait_loadcnt_dscnt 0x0
	flat_load_b64 v[70:71], v[64:65] scope:SCOPE_SYS
	s_clause 0x1
	flat_load_b32 v17, v[54:55] offset:72
	flat_load_b64 v[68:69], v[54:55] offset:16
	s_wait_loadcnt_dscnt 0x101
	v_ashrrev_i32_e32 v66, 1, v17
.LBB8_40:
	s_wait_xcnt 0x0
	s_or_b32 exec_lo, exec_lo, s2
.LBB8_41:
	s_delay_alu instid0(SALU_CYCLE_1)
	s_or_b32 exec_lo, exec_lo, s0
	v_cmp_eq_u32_e64 s0, 0, v0
	s_and_saveexec_b32 s2, s0
	s_cbranch_execz .LBB8_43
; %bb.42:
	v_mov_b64_e32 v[22:23], 0
	s_wait_loadcnt 0x2
	ds_store_2addr_b64 v0, v[12:13], v[10:11] offset1:1
	s_trap 2
	ds_store_b64 v0, v[22:23]
	s_wait_loadcnt 0x1
	ds_store_b64 v0, v[20:21]
.LBB8_43:
	s_or_b32 exec_lo, exec_lo, s2
	s_ashr_i32 s2, s1, 31
	v_and_b32_e32 v82, 0x1fffff00, v18
	s_lshr_b32 s2, s2, 29
	s_wait_loadcnt 0x2
	v_bfe_u32 v10, v16, 1, 30
	v_mov_b32_e32 v83, 0
	s_wait_loadcnt 0x0
	v_and_b32_e32 v72, 0xffff, v19
	s_add_co_i32 s1, s1, s2
                                        ; implicit-def: $vgpr80_vgpr81
	s_delay_alu instid0(SALU_CYCLE_1)
	s_ashr_i32 s17, s1, 4
	s_mov_b32 s1, exec_lo
	v_cmpx_ne_u32_e64 v24, v10
	s_xor_b32 s18, exec_lo, s1
	s_cbranch_execz .LBB8_2051
; %bb.44:
                                        ; implicit-def: $vgpr80_vgpr81
	s_mov_b32 s1, exec_lo
	v_cmpx_ne_u32_e64 v14, v10
	s_xor_b32 s19, exec_lo, s1
	s_cbranch_execz .LBB8_1053
; %bb.45:
	v_mov_b64_e32 v[80:81], 0
	s_mov_b32 s20, exec_lo
	v_cmpx_ne_u64_e32 0, v[4:5]
	s_cbranch_execz .LBB8_1052
; %bb.46:
	v_dual_mov_b32 v87, 0 :: v_dual_lshrrev_b32 v96, 5, v1
	v_dual_ashrrev_i32 v67, 31, v66 :: v_dual_bitop2_b32 v10, 31, v31 bitop3:0x40
	s_delay_alu instid0(VALU_DEP_2) | instskip(NEXT) | instid1(VALU_DEP_3)
	v_dual_mov_b32 v97, v87 :: v_dual_bitop2_b32 v73, 31, v0 bitop3:0x40
	v_dual_lshlrev_b32 v74, 9, v96 :: v_dual_lshlrev_b32 v76, 6, v96
	v_lshl_add_u32 v98, v96, 10, 0xfffffc00
	s_delay_alu instid0(VALU_DEP_4) | instskip(NEXT) | instid1(VALU_DEP_3)
	v_cmp_eq_u32_e64 s4, 0, v10
	v_dual_mov_b32 v113, v87 :: v_dual_add_nc_u32 v100, 0xfffffe00, v74
	s_delay_alu instid0(VALU_DEP_4) | instskip(NEXT) | instid1(VALU_DEP_4)
	v_subrev_nc_u32_e32 v102, 64, v76
	v_dual_ashrrev_i32 v99, 31, v98 :: v_dual_lshrrev_b32 v75, 5, v0
	s_delay_alu instid0(VALU_DEP_3) | instskip(NEXT) | instid1(VALU_DEP_3)
	v_dual_lshlrev_b32 v10, 4, v73 :: v_dual_ashrrev_i32 v101, 31, v100
	v_dual_ashrrev_i32 v103, 31, v102 :: v_dual_mov_b32 v77, 1
	s_lshr_b32 s2, s17, 27
	v_cmp_eq_u32_e32 vcc_lo, 32, v1
	s_add_co_i32 s2, s17, s2
	v_add_nc_u64_e32 v[114:115], 0x400, v[98:99]
	v_add_nc_u64_e32 v[116:117], 0x200, v[100:101]
	v_mov_b64_e32 v[118:119], 0
	s_wait_dscnt 0x1
	v_cmp_eq_u64_e64 s7, 0, v[84:85]
	v_add_nc_u64_e32 v[40:41], 64, v[102:103]
	v_mov_b64_e32 v[42:43], 0
	v_mov_b64_e32 v[80:81], 0
	v_cmp_ge_u32_e64 s1, v0, v1
	s_ashr_i32 s21, s2, 5
	v_cmp_ne_u32_e64 s2, 32, v1
	v_cmp_ne_u32_e64 s3, v1, v72
	v_cmp_le_u32_e64 s5, v73, v15
	v_cmp_lt_u32_e64 s6, v73, v15
	v_lshl_or_b32 v112, v75, 10, v10
	v_mov_b32_e32 v78, 0x90
	s_mov_b32 s22, 0
	s_add_co_i32 s23, s33, 0xe0
	s_add_co_i32 s24, s33, 0xc0
	s_xor_b32 s25, vcc_lo, -1
	s_trap 2
	s_branch .LBB8_49
.LBB8_47:                               ;   in Loop: Header=BB8_49 Depth=1
	s_wait_xcnt 0x0
	s_or_b32 exec_lo, exec_lo, s10
.LBB8_48:                               ;   in Loop: Header=BB8_49 Depth=1
	s_delay_alu instid0(SALU_CYCLE_1) | instskip(SKIP_1) | instid1(VALU_DEP_1)
	s_or_b32 exec_lo, exec_lo, s11
	v_add_nc_u64_e32 v[42:43], v[42:43], v[82:83]
	v_cmp_ge_u64_e32 vcc_lo, v[42:43], v[4:5]
	s_or_b32 s22, vcc_lo, s22
	s_delay_alu instid0(SALU_CYCLE_1)
	s_and_not1_b32 exec_lo, exec_lo, s22
	s_cbranch_execz .LBB8_1051
.LBB8_49:                               ; =>This Loop Header: Depth=1
                                        ;     Child Loop BB8_58 Depth 2
                                        ;     Child Loop BB8_86 Depth 2
	;; [unrolled: 1-line block ×5, first 2 shown]
                                        ;       Child Loop BB8_527 Depth 3
                                        ;       Child Loop BB8_596 Depth 3
                                        ;     Child Loop BB8_737 Depth 2
                                        ;     Child Loop BB8_940 Depth 2
                                        ;       Child Loop BB8_941 Depth 3
                                        ;       Child Loop BB8_954 Depth 3
                                        ;     Child Loop BB8_981 Depth 2
                                        ;     Child Loop BB8_1006 Depth 2
	;; [unrolled: 1-line block ×3, first 2 shown]
	v_sub_nc_u64_e32 v[10:11], v[4:5], v[42:43]
	s_delay_alu instid0(VALU_DEP_1) | instskip(NEXT) | instid1(VALU_DEP_1)
	v_min_u64 v[44:45], v[82:83], v[10:11]
	v_add_nc_u32_e32 v10, 15, v44
	s_delay_alu instid0(VALU_DEP_2) | instskip(NEXT) | instid1(VALU_DEP_2)
	v_cmp_eq_u64_e32 vcc_lo, 0, v[44:45]
	v_and_b32_e32 v10, 0x3ffffff0, v10
	s_or_b32 s26, s1, vcc_lo
	s_delay_alu instid0(SALU_CYCLE_1) | instskip(NEXT) | instid1(VALU_DEP_1)
	s_xor_b32 s10, s26, -1
	v_dual_mov_b32 v10, 0 :: v_dual_max_i32 v45, s21, v10
	s_and_saveexec_b32 s27, s10
	s_cbranch_execz .LBB8_999
; %bb.50:                               ;   in Loop: Header=BB8_49 Depth=1
	s_and_saveexec_b32 s10, s0
	s_cbranch_execz .LBB8_52
; %bb.51:                               ;   in Loop: Header=BB8_49 Depth=1
	s_trap 2
	ds_load_b64 v[10:11], v0
	s_wait_dscnt 0x0
	v_lshl_add_u64 v[10:11], v[52:53], 1, v[10:11]
	s_delay_alu instid0(VALU_DEP_1)
	v_lshl_add_u64 v[10:11], v[42:43], 1, v[10:11]
	ds_store_b64 v0, v[10:11]
	ds_store_b64 v0, v[118:119]
.LBB8_52:                               ;   in Loop: Header=BB8_49 Depth=1
	s_or_b32 exec_lo, exec_lo, s10
	v_and_b32_e32 v10, 12, v30
	v_min_u32_e32 v45, v45, v44
	s_mov_b32 s11, exec_lo
	s_delay_alu instid0(VALU_DEP_2)
	v_cmpx_ne_u32_e32 0, v10
	s_cbranch_execz .LBB8_78
; %bb.53:                               ;   in Loop: Header=BB8_49 Depth=1
	v_and_b32_e32 v86, 8, v30
	s_wait_dscnt 0x0
	v_add_nc_u64_e32 v[10:11], 1, v[8:9]
	s_mov_b32 s12, exec_lo
	s_wait_loadcnt 0x0
	v_add_nc_u64_e32 v[12:13], v[70:71], v[86:87]
	s_delay_alu instid0(VALU_DEP_1)
	v_cmpx_lt_u64_e64 v[12:13], v[10:11]
	s_cbranch_execz .LBB8_65
; %bb.54:                               ;   in Loop: Header=BB8_49 Depth=1
	v_and_b32_e32 v9, 64, v30
	s_mov_b32 s13, 0
	s_mov_b32 s29, 0
                                        ; implicit-def: $sgpr14
                                        ; implicit-def: $sgpr15
                                        ; implicit-def: $sgpr28
	s_delay_alu instid0(VALU_DEP_1)
	v_cmp_eq_u32_e32 vcc_lo, 0, v9
	s_branch .LBB8_58
.LBB8_55:                               ;   in Loop: Header=BB8_58 Depth=2
	s_wait_loadcnt_dscnt 0x0
	v_add_nc_u64_e32 v[12:13], v[70:71], v[86:87]
	s_or_b32 s42, s42, exec_lo
	s_delay_alu instid0(VALU_DEP_1)
	v_cmp_ge_u64_e64 s10, v[12:13], v[10:11]
	s_or_not1_b32 s41, s10, exec_lo
.LBB8_56:                               ;   in Loop: Header=BB8_58 Depth=2
	s_or_b32 exec_lo, exec_lo, s44
	s_delay_alu instid0(SALU_CYCLE_1)
	s_and_not1_b32 s10, s28, exec_lo
	s_and_b32 s28, s42, exec_lo
	s_and_not1_b32 s15, s15, exec_lo
	s_and_b32 s41, s41, exec_lo
	s_or_b32 s28, s10, s28
	s_or_b32 s15, s15, s41
.LBB8_57:                               ;   in Loop: Header=BB8_58 Depth=2
	s_or_b32 exec_lo, exec_lo, s40
	s_delay_alu instid0(SALU_CYCLE_1) | instskip(NEXT) | instid1(SALU_CYCLE_1)
	s_and_b32 s10, exec_lo, s15
	s_or_b32 s13, s10, s13
	s_and_not1_b32 s10, s14, exec_lo
	s_and_b32 s14, s28, exec_lo
	s_delay_alu instid0(SALU_CYCLE_1)
	s_or_b32 s14, s10, s14
	s_and_not1_b32 exec_lo, exec_lo, s13
	s_cbranch_execz .LBB8_62
.LBB8_58:                               ;   Parent Loop BB8_49 Depth=1
                                        ; =>  This Inner Loop Header: Depth=2
	s_sleep 1
	s_wait_loadcnt_dscnt 0x0
	flat_load_b64 v[70:71], v[64:65] scope:SCOPE_SYS
	s_or_b32 s28, s28, exec_lo
	s_or_b32 s15, s15, exec_lo
                                        ; implicit-def: $vgpr9
	s_wait_xcnt 0x0
	s_and_saveexec_b32 s40, vcc_lo
	s_cbranch_execz .LBB8_57
; %bb.59:                               ;   in Loop: Header=BB8_58 Depth=2
	s_cmp_lt_i32 s29, 0x270f
	s_mov_b32 s41, -1
	s_cselect_b32 s43, -1, 0
	s_cmp_gt_i32 s29, 0x270e
	s_cbranch_scc0 .LBB8_61
; %bb.60:                               ;   in Loop: Header=BB8_58 Depth=2
	s_trap 2
	ds_load_b64 v[12:13], v0
	s_and_not1_b32 s29, s43, exec_lo
	s_mov_b32 s42, 0
	s_wait_storecnt 0x0
	s_wait_loadcnt_dscnt 0x0
	flat_load_b32 v9, v[12:13] scope:SCOPE_SYS
	s_wait_loadcnt_dscnt 0x0
	global_inv scope:SCOPE_SYS
	v_cmp_eq_u32_e64 s10, 0, v9
	s_and_b32 s10, s10, exec_lo
	s_delay_alu instid0(SALU_CYCLE_1)
	s_or_b32 s43, s29, s10
	s_mov_b32 s29, 0
	s_wait_xcnt 0x0
	s_and_saveexec_b32 s44, s43
	s_cbranch_execz .LBB8_56
	s_branch .LBB8_55
.LBB8_61:                               ;   in Loop: Header=BB8_58 Depth=2
	s_add_co_i32 s29, s29, 1
	s_mov_b32 s42, -1
                                        ; implicit-def: $vgpr9
	s_and_saveexec_b32 s44, s43
	s_cbranch_execz .LBB8_56
	s_branch .LBB8_55
.LBB8_62:                               ;   in Loop: Header=BB8_49 Depth=1
	s_or_b32 exec_lo, exec_lo, s13
	s_xor_b32 s10, s14, -1
	s_delay_alu instid0(SALU_CYCLE_1) | instskip(NEXT) | instid1(SALU_CYCLE_1)
	s_and_saveexec_b32 s13, s10
	s_xor_b32 s10, exec_lo, s13
	s_cbranch_execz .LBB8_64
; %bb.63:                               ;   in Loop: Header=BB8_49 Depth=1
	v_or_b32_e32 v30, 64, v30
	s_wait_storecnt 0x0
	s_wait_loadcnt_dscnt 0x0
	ds_store_b32 v0, v9
	s_trap 2
.LBB8_64:                               ;   in Loop: Header=BB8_49 Depth=1
	s_or_b32 exec_lo, exec_lo, s10
.LBB8_65:                               ;   in Loop: Header=BB8_49 Depth=1
	s_delay_alu instid0(SALU_CYCLE_1) | instskip(SKIP_3) | instid1(VALU_DEP_1)
	s_or_b32 exec_lo, exec_lo, s12
	v_and_b32_e32 v9, 0x108, v30
	s_mov_b32 s10, exec_lo
	;;#ASMSTART
	s_wakeup
	;;#ASMEND
                                        ; implicit-def: $vgpr12_vgpr13
	v_cmpx_ne_u32_e32 0x108, v9
	s_xor_b32 s10, exec_lo, s10
; %bb.66:                               ;   in Loop: Header=BB8_49 Depth=1
	v_dual_mov_b32 v13, v87 :: v_dual_bitop2_b32 v12, 7, v8 bitop3:0x40
; %bb.67:                               ;   in Loop: Header=BB8_49 Depth=1
	s_and_not1_saveexec_b32 s10, s10
	s_cbranch_execz .LBB8_69
; %bb.68:                               ;   in Loop: Header=BB8_49 Depth=1
	v_dual_lshlrev_b32 v14, 1, v45 :: v_dual_bitop2_b32 v12, 7, v8 bitop3:0x40
	v_dual_mov_b32 v15, v87 :: v_dual_mov_b32 v13, v87
	s_delay_alu instid0(VALU_DEP_2)
	v_mad_nc_u64_u32 v[8:9], v12, 24, v[6:7]
	flat_store_b64 v[8:9], v[14:15] offset:8
.LBB8_69:                               ;   in Loop: Header=BB8_49 Depth=1
	s_wait_xcnt 0x0
	s_or_b32 exec_lo, exec_lo, s10
	v_and_b32_e32 v8, 0x100, v30
	s_mov_b32 s10, -1
	s_delay_alu instid0(VALU_DEP_1)
	v_cmp_ne_u32_e32 vcc_lo, 0, v8
                                        ; implicit-def: $vgpr8_vgpr9
	s_and_saveexec_b32 s12, vcc_lo
	s_cbranch_execz .LBB8_73
; %bb.70:                               ;   in Loop: Header=BB8_49 Depth=1
	v_mad_nc_u64_u32 v[14:15], v12, 24, v[6:7]
	s_delay_alu instid0(VALU_DEP_1)
	v_mad_u32 v15, v13, 24, v15
	flat_load_b32 v8, v[14:15]
	s_wait_loadcnt_dscnt 0x0
	v_cmp_eq_u32_e64 s10, 1, v8
	v_cmp_ne_u32_e32 vcc_lo, 1, v8
                                        ; implicit-def: $vgpr8_vgpr9
	s_wait_xcnt 0x0
	s_and_saveexec_b32 s13, s10
	s_cbranch_execz .LBB8_72
; %bb.71:                               ;   in Loop: Header=BB8_49 Depth=1
	flat_load_b32 v8, v[14:15] offset:4 scope:SCOPE_SYS
	s_wait_loadcnt_dscnt 0x0
	v_ashrrev_i32_e32 v9, 31, v8
	s_delay_alu instid0(VALU_DEP_1)
	v_lshrrev_b64 v[8:9], 1, v[8:9]
.LBB8_72:                               ;   in Loop: Header=BB8_49 Depth=1
	s_wait_xcnt 0x0
	s_or_b32 exec_lo, exec_lo, s13
	s_delay_alu instid0(SALU_CYCLE_1)
	s_or_not1_b32 s10, vcc_lo, exec_lo
.LBB8_73:                               ;   in Loop: Header=BB8_49 Depth=1
	s_or_b32 exec_lo, exec_lo, s12
	s_and_saveexec_b32 s12, s10
; %bb.74:                               ;   in Loop: Header=BB8_49 Depth=1
	v_mul_u64_e32 v[8:9], v[12:13], v[66:67]
; %bb.75:                               ;   in Loop: Header=BB8_49 Depth=1
	s_or_b32 exec_lo, exec_lo, s12
	v_cmp_eq_u32_e32 vcc_lo, 0, v86
	v_and_b32_e32 v13, 0x2000, v30
	s_delay_alu instid0(VALU_DEP_3) | instskip(SKIP_2) | instid1(VALU_DEP_1)
	v_lshl_add_u64 v[8:9], v[8:9], 1, v[68:69]
	s_mov_b32 s10, exec_lo
	v_cndmask_b32_e32 v12, 0xc8, v78, vcc_lo
	v_add_nc_u32_e32 v12, v0, v12
	ds_store_b64 v12, v[8:9] offset:584
	v_cmpx_ne_u32_e32 0, v13
	s_cbranch_execz .LBB8_77
; %bb.76:                               ;   in Loop: Header=BB8_49 Depth=1
	ds_load_b64 v[8:9], v0 offset:872
	s_wait_dscnt 0x0
	v_add_nc_u64_e32 v[8:9], 1, v[8:9]
	ds_store_b64 v0, v[8:9] offset:872
.LBB8_77:                               ;   in Loop: Header=BB8_49 Depth=1
	s_or_b32 exec_lo, exec_lo, s10
	v_mov_b64_e32 v[8:9], v[10:11]
.LBB8_78:                               ;   in Loop: Header=BB8_49 Depth=1
	s_or_b32 exec_lo, exec_lo, s11
	s_and_saveexec_b32 s10, s2
	s_cbranch_execz .LBB8_97
; %bb.79:                               ;   in Loop: Header=BB8_49 Depth=1
	s_and_saveexec_b32 s11, s3
	s_delay_alu instid0(SALU_CYCLE_1)
	s_xor_b32 s11, exec_lo, s11
	s_cbranch_execz .LBB8_94
; %bb.80:                               ;   in Loop: Header=BB8_49 Depth=1
	s_and_saveexec_b32 s12, s4
	s_cbranch_execz .LBB8_93
; %bb.81:                               ;   in Loop: Header=BB8_49 Depth=1
	s_mov_b32 s14, exec_lo
	s_mov_b32 s13, exec_lo
	v_mbcnt_lo_u32_b32 v10, s14, 0
	global_wb scope:SCOPE_DEV
	s_wait_storecnt 0x0
	s_wait_loadcnt_dscnt 0x0
	global_inv scope:SCOPE_DEV
	v_cmpx_eq_u32_e32 0, v10
	s_cbranch_execz .LBB8_83
; %bb.82:                               ;   in Loop: Header=BB8_49 Depth=1
	s_bcnt1_i32_b32 s14, s14
	s_delay_alu instid0(SALU_CYCLE_1)
	v_mov_b32_e32 v86, s14
	s_wait_loadcnt 0x0
	ds_add_u64 v0, v[86:87]
	s_trap 2
.LBB8_83:                               ;   in Loop: Header=BB8_49 Depth=1
	s_or_b32 exec_lo, exec_lo, s13
	s_trap 2
	ds_load_b64 v[10:11], v0
	s_wait_dscnt 0x0
	v_add_nc_u64_e32 v[80:81], v[80:81], v[96:97]
	s_mov_b32 s13, exec_lo
	s_delay_alu instid0(VALU_DEP_1)
	v_cmpx_lt_u64_e64 v[10:11], v[80:81]
	s_cbranch_execz .LBB8_92
; %bb.84:                               ;   in Loop: Header=BB8_49 Depth=1
	s_mov_b32 s14, 0
	s_mov_b32 s29, 0
                                        ; implicit-def: $sgpr15
                                        ; implicit-def: $sgpr28
	s_branch .LBB8_86
.LBB8_85:                               ;   in Loop: Header=BB8_86 Depth=2
	s_or_b32 exec_lo, exec_lo, s41
	s_delay_alu instid0(SALU_CYCLE_1) | instskip(NEXT) | instid1(SALU_CYCLE_1)
	s_and_b32 s40, exec_lo, s42
	s_or_b32 s14, s40, s14
	s_and_not1_b32 s15, s15, exec_lo
	s_and_b32 s40, s28, exec_lo
	s_delay_alu instid0(SALU_CYCLE_1)
	s_or_b32 s15, s15, s40
	s_and_not1_b32 exec_lo, exec_lo, s14
	s_cbranch_execz .LBB8_90
.LBB8_86:                               ;   Parent Loop BB8_49 Depth=1
                                        ; =>  This Inner Loop Header: Depth=2
	s_add_co_i32 s29, s29, 1
	s_delay_alu instid0(SALU_CYCLE_1) | instskip(SKIP_1) | instid1(SALU_CYCLE_1)
	s_cmp_lg_u32 s29, 0x2710
	s_cselect_b32 s40, -1, 0
	s_and_b32 vcc_lo, exec_lo, s40
	s_cbranch_vccz .LBB8_88
; %bb.87:                               ;   in Loop: Header=BB8_86 Depth=2
	s_mov_b32 s42, -1
	s_or_b32 s28, s28, exec_lo
	s_and_saveexec_b32 s41, s40
	s_cbranch_execz .LBB8_85
	s_branch .LBB8_89
.LBB8_88:                               ;   in Loop: Header=BB8_86 Depth=2
	s_trap 2
	ds_load_b64 v[10:11], v0
	s_and_not1_b32 s40, s40, exec_lo
	s_mov_b32 s29, 0
	s_wait_loadcnt_dscnt 0x0
	flat_load_b32 v10, v[10:11] scope:SCOPE_SYS
	s_wait_loadcnt_dscnt 0x0
	global_inv scope:SCOPE_SYS
	v_cmp_eq_u32_e32 vcc_lo, 0, v10
	s_and_b32 s41, vcc_lo, exec_lo
	s_delay_alu instid0(SALU_CYCLE_1)
	s_or_b32 s40, s40, s41
	s_mov_b32 s42, -1
	s_or_b32 s28, s28, exec_lo
	s_wait_xcnt 0x0
	s_and_saveexec_b32 s41, s40
	s_cbranch_execz .LBB8_85
.LBB8_89:                               ;   in Loop: Header=BB8_86 Depth=2
	s_sleep 1
	s_trap 2
	ds_load_b64 v[10:11], v0
	s_wait_dscnt 0x0
	s_and_not1_b32 s28, s28, exec_lo
	v_cmp_ge_u64_e32 vcc_lo, v[10:11], v[80:81]
	s_or_not1_b32 s42, vcc_lo, exec_lo
	s_branch .LBB8_85
.LBB8_90:                               ;   in Loop: Header=BB8_49 Depth=1
	s_or_b32 exec_lo, exec_lo, s14
	s_and_saveexec_b32 s14, s15
	s_delay_alu instid0(SALU_CYCLE_1)
	s_xor_b32 s14, exec_lo, s14
	s_cbranch_execz .LBB8_92
; %bb.91:                               ;   in Loop: Header=BB8_49 Depth=1
	ds_store_b32 v0, v77
	s_trap 2
.LBB8_92:                               ;   in Loop: Header=BB8_49 Depth=1
	s_or_b32 exec_lo, exec_lo, s13
	;;#ASMSTART
	s_wakeup
	;;#ASMEND
.LBB8_93:                               ;   in Loop: Header=BB8_49 Depth=1
	s_or_b32 exec_lo, exec_lo, s12
.LBB8_94:                               ;   in Loop: Header=BB8_49 Depth=1
	s_and_not1_saveexec_b32 s11, s11
	s_cbranch_execz .LBB8_96
; %bb.95:                               ;   in Loop: Header=BB8_49 Depth=1
	global_wb scope:SCOPE_DEV
	s_wait_storecnt 0x0
	s_wait_loadcnt_dscnt 0x0
	global_inv scope:SCOPE_DEV
	s_barrier_signal -1
	s_barrier_wait -1
.LBB8_96:                               ;   in Loop: Header=BB8_49 Depth=1
	s_or_b32 exec_lo, exec_lo, s11
.LBB8_97:                               ;   in Loop: Header=BB8_49 Depth=1
	s_delay_alu instid0(SALU_CYCLE_1) | instskip(SKIP_3) | instid1(VALU_DEP_1)
	s_or_b32 exec_lo, exec_lo, s10
	s_trap 2
	ds_load_b32 v10, v0
	v_and_b32_e32 v11, 0x4000, v30
	v_cmp_ne_u32_e32 vcc_lo, 0, v11
	s_and_b32 s11, s25, vcc_lo
	s_delay_alu instid0(SALU_CYCLE_1)
	s_and_saveexec_b32 s10, s11
	s_cbranch_execz .LBB8_116
; %bb.98:                               ;   in Loop: Header=BB8_49 Depth=1
	s_and_saveexec_b32 s11, s3
	s_delay_alu instid0(SALU_CYCLE_1)
	s_xor_b32 s11, exec_lo, s11
	s_cbranch_execz .LBB8_113
; %bb.99:                               ;   in Loop: Header=BB8_49 Depth=1
	s_and_saveexec_b32 s12, s4
	s_cbranch_execz .LBB8_112
; %bb.100:                              ;   in Loop: Header=BB8_49 Depth=1
	s_mov_b32 s14, exec_lo
	s_mov_b32 s13, exec_lo
	v_mbcnt_lo_u32_b32 v11, s14, 0
	global_wb scope:SCOPE_DEV
	s_wait_storecnt 0x0
	s_wait_loadcnt_dscnt 0x0
	global_inv scope:SCOPE_DEV
	v_cmpx_eq_u32_e32 0, v11
	s_cbranch_execz .LBB8_102
; %bb.101:                              ;   in Loop: Header=BB8_49 Depth=1
	s_bcnt1_i32_b32 s14, s14
	s_delay_alu instid0(SALU_CYCLE_1)
	v_mov_b32_e32 v86, s14
	s_wait_loadcnt 0x0
	ds_add_u64 v0, v[86:87]
	s_trap 2
.LBB8_102:                              ;   in Loop: Header=BB8_49 Depth=1
	s_or_b32 exec_lo, exec_lo, s13
	s_trap 2
	ds_load_b64 v[12:13], v0
	s_wait_dscnt 0x0
	v_add_nc_u64_e32 v[80:81], v[80:81], v[96:97]
	s_mov_b32 s13, exec_lo
	s_delay_alu instid0(VALU_DEP_1)
	v_cmpx_lt_u64_e64 v[12:13], v[80:81]
	s_cbranch_execz .LBB8_111
; %bb.103:                              ;   in Loop: Header=BB8_49 Depth=1
	s_mov_b32 s14, 0
	s_mov_b32 s29, 0
                                        ; implicit-def: $sgpr15
                                        ; implicit-def: $sgpr28
	s_branch .LBB8_105
.LBB8_104:                              ;   in Loop: Header=BB8_105 Depth=2
	s_or_b32 exec_lo, exec_lo, s41
	s_delay_alu instid0(SALU_CYCLE_1) | instskip(NEXT) | instid1(SALU_CYCLE_1)
	s_and_b32 s40, exec_lo, s42
	s_or_b32 s14, s40, s14
	s_and_not1_b32 s15, s15, exec_lo
	s_and_b32 s40, s28, exec_lo
	s_delay_alu instid0(SALU_CYCLE_1)
	s_or_b32 s15, s15, s40
	s_and_not1_b32 exec_lo, exec_lo, s14
	s_cbranch_execz .LBB8_109
.LBB8_105:                              ;   Parent Loop BB8_49 Depth=1
                                        ; =>  This Inner Loop Header: Depth=2
	s_add_co_i32 s29, s29, 1
	s_delay_alu instid0(SALU_CYCLE_1) | instskip(SKIP_1) | instid1(SALU_CYCLE_1)
	s_cmp_lg_u32 s29, 0x2710
	s_cselect_b32 s40, -1, 0
	s_and_b32 vcc_lo, exec_lo, s40
	s_cbranch_vccz .LBB8_107
; %bb.106:                              ;   in Loop: Header=BB8_105 Depth=2
	s_mov_b32 s42, -1
	s_or_b32 s28, s28, exec_lo
	s_and_saveexec_b32 s41, s40
	s_cbranch_execz .LBB8_104
	s_branch .LBB8_108
.LBB8_107:                              ;   in Loop: Header=BB8_105 Depth=2
	s_trap 2
	ds_load_b64 v[12:13], v0
	s_and_not1_b32 s40, s40, exec_lo
	s_mov_b32 s29, 0
	s_wait_loadcnt_dscnt 0x0
	flat_load_b32 v11, v[12:13] scope:SCOPE_SYS
	s_wait_loadcnt_dscnt 0x0
	global_inv scope:SCOPE_SYS
	v_cmp_eq_u32_e32 vcc_lo, 0, v11
	s_and_b32 s41, vcc_lo, exec_lo
	s_delay_alu instid0(SALU_CYCLE_1)
	s_or_b32 s40, s40, s41
	s_mov_b32 s42, -1
	s_or_b32 s28, s28, exec_lo
	s_wait_xcnt 0x0
	s_and_saveexec_b32 s41, s40
	s_cbranch_execz .LBB8_104
.LBB8_108:                              ;   in Loop: Header=BB8_105 Depth=2
	s_sleep 1
	s_trap 2
	ds_load_b64 v[12:13], v0
	s_wait_dscnt 0x0
	s_and_not1_b32 s28, s28, exec_lo
	v_cmp_ge_u64_e32 vcc_lo, v[12:13], v[80:81]
	s_or_not1_b32 s42, vcc_lo, exec_lo
	s_branch .LBB8_104
.LBB8_109:                              ;   in Loop: Header=BB8_49 Depth=1
	s_or_b32 exec_lo, exec_lo, s14
	s_and_saveexec_b32 s14, s15
	s_delay_alu instid0(SALU_CYCLE_1)
	s_xor_b32 s14, exec_lo, s14
	s_cbranch_execz .LBB8_111
; %bb.110:                              ;   in Loop: Header=BB8_49 Depth=1
	ds_store_b32 v0, v77
	s_trap 2
.LBB8_111:                              ;   in Loop: Header=BB8_49 Depth=1
	s_or_b32 exec_lo, exec_lo, s13
	;;#ASMSTART
	s_wakeup
	;;#ASMEND
.LBB8_112:                              ;   in Loop: Header=BB8_49 Depth=1
	s_or_b32 exec_lo, exec_lo, s12
.LBB8_113:                              ;   in Loop: Header=BB8_49 Depth=1
	s_and_not1_saveexec_b32 s11, s11
	s_cbranch_execz .LBB8_115
; %bb.114:                              ;   in Loop: Header=BB8_49 Depth=1
	global_wb scope:SCOPE_DEV
	s_wait_storecnt 0x0
	s_wait_loadcnt_dscnt 0x0
	global_inv scope:SCOPE_DEV
	s_barrier_signal -1
	s_barrier_wait -1
.LBB8_115:                              ;   in Loop: Header=BB8_49 Depth=1
	s_or_b32 exec_lo, exec_lo, s11
.LBB8_116:                              ;   in Loop: Header=BB8_49 Depth=1
	s_delay_alu instid0(SALU_CYCLE_1)
	s_or_b32 exec_lo, exec_lo, s10
	s_trap 2
	ds_load_b64 v[46:47], v0
	s_wait_dscnt 0x0
	v_cmp_eq_u64_e32 vcc_lo, 0, v[46:47]
	s_cbranch_vccnz .LBB8_124
; %bb.117:                              ;   in Loop: Header=BB8_49 Depth=1
	s_trap 2
	ds_load_b64 v[56:57], v0
	s_wait_dscnt 0x0
	v_cmp_eq_u64_e32 vcc_lo, 0, v[56:57]
	s_cbranch_vccnz .LBB8_124
; %bb.118:                              ;   in Loop: Header=BB8_49 Depth=1
	s_mov_b32 s10, -1
	s_and_saveexec_b32 s11, s5
	s_cbranch_execz .LBB8_120
; %bb.119:                              ;   in Loop: Header=BB8_49 Depth=1
	ds_load_b32 v11, v0 offset:720
	s_wait_dscnt 0x0
	v_and_b32_e32 v11, 15, v11
	s_delay_alu instid0(VALU_DEP_1)
	v_cmp_eq_u32_e32 vcc_lo, 0, v11
	s_or_not1_b32 s10, vcc_lo, exec_lo
.LBB8_120:                              ;   in Loop: Header=BB8_49 Depth=1
	s_or_b32 exec_lo, exec_lo, s11
	s_and_saveexec_b32 s11, s6
	s_cbranch_execz .LBB8_122
; %bb.121:                              ;   in Loop: Header=BB8_49 Depth=1
	ds_load_b32 v11, v0 offset:784
	s_wait_dscnt 0x0
	v_and_b32_e32 v11, 15, v11
	s_delay_alu instid0(VALU_DEP_1) | instskip(SKIP_3) | instid1(SALU_CYCLE_1)
	v_cmp_eq_u32_e32 vcc_lo, 0, v11
	s_and_b32 s12, s10, vcc_lo
	s_and_not1_b32 s10, s10, exec_lo
	s_and_b32 s12, s12, exec_lo
	s_or_b32 s10, s10, s12
.LBB8_122:                              ;   in Loop: Header=BB8_49 Depth=1
	s_or_b32 exec_lo, exec_lo, s11
	s_xor_b32 s10, s10, -1
	s_mov_b32 s11, -1
	v_cndmask_b32_e64 v11, 0, 1, s10
	v_cmp_eq_u32_e64 s10, 0, v10
	s_delay_alu instid0(VALU_DEP_2)
	v_cmp_ne_u32_e32 vcc_lo, 0, v11
	s_cbranch_vccz .LBB8_125
; %bb.123:                              ;   in Loop: Header=BB8_49 Depth=1
	s_mov_b32 s11, 0
	s_mov_b32 s13, -1
	s_branch .LBB8_126
.LBB8_124:                              ;   in Loop: Header=BB8_49 Depth=1
	s_mov_b32 s10, 0
	s_and_saveexec_b32 s11, s2
	s_cbranch_execnz .LBB8_974
	s_branch .LBB8_992
.LBB8_125:                              ;   in Loop: Header=BB8_49 Depth=1
	s_mov_b32 s13, 0
.LBB8_126:                              ;   in Loop: Header=BB8_49 Depth=1
	v_dual_cndmask_b32 v86, 0, v45, s10 :: v_dual_mov_b32 v20, 0
	s_and_not1_b32 vcc_lo, exec_lo, s11
	s_delay_alu instid0(VALU_DEP_1)
	v_lshlrev_b32_e32 v79, 1, v86
	s_cbranch_vccnz .LBB8_390
; %bb.127:                              ;   in Loop: Header=BB8_49 Depth=1
	v_lshrrev_b32_e32 v88, 9, v86
	v_add_nc_u64_e32 v[58:59], v[56:57], v[112:113]
	s_mov_b32 s11, 0
	s_mov_b32 s10, exec_lo
                                        ; implicit-def: $vgpr32_vgpr33
                                        ; implicit-def: $vgpr18_vgpr19
                                        ; implicit-def: $vgpr14_vgpr15
                                        ; implicit-def: $vgpr10_vgpr11
	s_delay_alu instid0(VALU_DEP_2) | instskip(NEXT) | instid1(VALU_DEP_1)
	v_sub_nc_u32_e32 v90, v88, v75
	v_cmpx_lt_i32_e32 0, v90
	s_cbranch_execz .LBB8_392
; %bb.128:                              ;   in Loop: Header=BB8_49 Depth=1
	s_trap 2
	ds_load_b64 v[10:11], v0
	ds_load_b32 v12, v0
	v_add_nc_u64_e32 v[60:61], v[46:47], v[112:113]
	s_mov_b32 s14, 0
                                        ; implicit-def: $sgpr12
                                        ; implicit-def: $vgpr32_vgpr33
                                        ; implicit-def: $vgpr18_vgpr19
                                        ; implicit-def: $vgpr14_vgpr15
	s_wait_dscnt 0x1
	v_add_nc_u64_e32 v[62:63], v[10:11], v[112:113]
	s_wait_dscnt 0x0
	v_lshlrev_b32_e32 v89, 16, v12
                                        ; implicit-def: $vgpr10_vgpr11
	s_branch .LBB8_130
.LBB8_129:                              ;   in Loop: Header=BB8_130 Depth=2
	s_or_b32 exec_lo, exec_lo, s15
	v_dual_lshrrev_b32 v37, 16, v39 :: v_dual_lshrrev_b32 v36, 16, v36
	v_dual_lshrrev_b32 v39, 16, v104 :: v_dual_lshrrev_b32 v48, 16, v94
	v_lshrrev_b32_e32 v38, 16, v38
	s_delay_alu instid0(VALU_DEP_3) | instskip(NEXT) | instid1(VALU_DEP_4)
	v_and_or_b32 v27, 0xffff0000, v27, v37
	v_and_or_b32 v26, 0xffff0000, v26, v36
	v_dual_lshrrev_b32 v36, 16, v51 :: v_dual_lshrrev_b32 v37, 16, v92
	v_and_or_b32 v28, 0xffff0000, v28, v39
	v_lshrrev_b32_e32 v39, 16, v49
	v_and_or_b32 v29, 0xffff0000, v29, v48
	v_cndmask_b32_e64 v48, 0, v96, s14
	v_and_or_b32 v23, 0xffff0000, v23, v36
	v_and_or_b32 v22, 0xffff0000, v22, v37
	v_add_nc_u64_e32 v[36:37], v[60:61], v[98:99]
	v_and_or_b32 v24, 0xffff0000, v24, v39
	v_dual_cndmask_b32 v39, 0, v115, s14 :: v_dual_sub_nc_u32 v90, v90, v48
	v_and_or_b32 v25, 0xffff0000, v25, v38
	v_cndmask_b32_e64 v38, 0x400, v114, s14
	v_add_nc_u64_e32 v[48:49], v[62:63], v[98:99]
	v_cndmask_b32_e64 v61, v61, v37, s14
	v_cmp_gt_i32_e32 vcc_lo, 1, v90
	s_clause 0x1
	global_store_b128 v[58:59], v[26:29], off th:TH_STORE_NT
	global_store_b128 v[58:59], v[22:25], off offset:512 th:TH_STORE_NT
	s_wait_xcnt 0x0
	v_add_nc_u64_e32 v[58:59], v[58:59], v[38:39]
	v_dual_cndmask_b32 v60, v60, v36, s14 :: v_dual_cndmask_b32 v63, v63, v49, s14
	v_cndmask_b32_e64 v62, v62, v48, s14
	s_or_b32 s11, vcc_lo, s11
	s_and_not1_b32 s12, s12, exec_lo
	s_and_b32 s15, s14, exec_lo
	s_delay_alu instid0(SALU_CYCLE_1)
	s_or_b32 s12, s12, s15
	s_and_not1_b32 exec_lo, exec_lo, s11
	s_cbranch_execz .LBB8_391
.LBB8_130:                              ;   Parent Loop BB8_49 Depth=1
                                        ; =>  This Inner Loop Header: Depth=2
	s_clause 0x1
	global_load_b128 v[48:51], v[60:61], off th:TH_LOAD_NT
	global_load_b128 v[36:39], v[60:61], off offset:512 th:TH_LOAD_NT
	s_clause 0x1
	global_load_b128 v[26:29], v[62:63], off th:TH_LOAD_NT
	global_load_b128 v[22:25], v[62:63], off offset:512 th:TH_LOAD_NT
	s_wait_xcnt 0x0
	s_and_saveexec_b32 s15, s14
	s_cbranch_execz .LBB8_260
; %bb.131:                              ;   in Loop: Header=BB8_130 Depth=2
	v_lshlrev_b32_e32 v91, 16, v32
	s_mov_b32 s14, exec_lo
                                        ; implicit-def: $vgpr108
	s_delay_alu instid0(VALU_DEP_1) | instskip(NEXT) | instid1(VALU_DEP_1)
	v_mul_f32_e32 v91, v89, v91
	v_and_b32_e32 v92, 0x7f800000, v91
	s_delay_alu instid0(VALU_DEP_1)
	v_cmpx_ne_u32_e32 0x7f800000, v92
	s_xor_b32 s14, exec_lo, s14
; %bb.132:                              ;   in Loop: Header=BB8_130 Depth=2
	v_bfe_u32 v92, v91, 16, 1
	s_delay_alu instid0(VALU_DEP_1)
	v_add3_u32 v108, v91, v92, 0x7fff
                                        ; implicit-def: $vgpr91
; %bb.133:                              ;   in Loop: Header=BB8_130 Depth=2
	s_and_not1_saveexec_b32 s14, s14
; %bb.134:                              ;   in Loop: Header=BB8_130 Depth=2
	v_and_b32_e32 v92, 0xffff, v91
	v_or_b32_e32 v93, 0x10000, v91
	s_delay_alu instid0(VALU_DEP_2) | instskip(NEXT) | instid1(VALU_DEP_2)
	v_cmp_eq_u32_e32 vcc_lo, 0, v92
	v_cndmask_b32_e32 v108, v93, v91, vcc_lo
; %bb.135:                              ;   in Loop: Header=BB8_130 Depth=2
	s_or_b32 exec_lo, exec_lo, s14
	v_and_b32_e32 v32, 0xffff0000, v32
	s_mov_b32 s14, exec_lo
                                        ; implicit-def: $vgpr106
	s_delay_alu instid0(VALU_DEP_1) | instskip(NEXT) | instid1(VALU_DEP_1)
	v_mul_f32_e32 v32, v89, v32
	v_and_b32_e32 v91, 0x7f800000, v32
	s_delay_alu instid0(VALU_DEP_1)
	v_cmpx_ne_u32_e32 0x7f800000, v91
	s_xor_b32 s14, exec_lo, s14
; %bb.136:                              ;   in Loop: Header=BB8_130 Depth=2
	v_bfe_u32 v91, v32, 16, 1
	s_delay_alu instid0(VALU_DEP_1)
	v_add3_u32 v106, v32, v91, 0x7fff
                                        ; implicit-def: $vgpr32
; %bb.137:                              ;   in Loop: Header=BB8_130 Depth=2
	s_and_not1_saveexec_b32 s14, s14
; %bb.138:                              ;   in Loop: Header=BB8_130 Depth=2
	v_and_b32_e32 v91, 0xffff, v32
	v_or_b32_e32 v92, 0x10000, v32
	s_delay_alu instid0(VALU_DEP_2) | instskip(NEXT) | instid1(VALU_DEP_2)
	v_cmp_eq_u32_e32 vcc_lo, 0, v91
	v_cndmask_b32_e32 v106, v92, v32, vcc_lo
; %bb.139:                              ;   in Loop: Header=BB8_130 Depth=2
	s_or_b32 exec_lo, exec_lo, s14
	v_lshlrev_b32_e32 v32, 16, v33
	s_mov_b32 s14, exec_lo
                                        ; implicit-def: $vgpr107
	s_delay_alu instid0(VALU_DEP_1) | instskip(NEXT) | instid1(VALU_DEP_1)
	v_mul_f32_e32 v32, v89, v32
	v_and_b32_e32 v91, 0x7f800000, v32
	s_delay_alu instid0(VALU_DEP_1)
	v_cmpx_ne_u32_e32 0x7f800000, v91
	s_xor_b32 s14, exec_lo, s14
; %bb.140:                              ;   in Loop: Header=BB8_130 Depth=2
	v_bfe_u32 v91, v32, 16, 1
	s_delay_alu instid0(VALU_DEP_1)
	v_add3_u32 v107, v32, v91, 0x7fff
                                        ; implicit-def: $vgpr32
; %bb.141:                              ;   in Loop: Header=BB8_130 Depth=2
	s_and_not1_saveexec_b32 s14, s14
; %bb.142:                              ;   in Loop: Header=BB8_130 Depth=2
	v_and_b32_e32 v91, 0xffff, v32
	v_or_b32_e32 v92, 0x10000, v32
	s_delay_alu instid0(VALU_DEP_2) | instskip(NEXT) | instid1(VALU_DEP_2)
	v_cmp_eq_u32_e32 vcc_lo, 0, v91
	v_cndmask_b32_e32 v107, v92, v32, vcc_lo
; %bb.143:                              ;   in Loop: Header=BB8_130 Depth=2
	s_or_b32 exec_lo, exec_lo, s14
	v_and_b32_e32 v32, 0xffff0000, v33
	s_mov_b32 s14, exec_lo
                                        ; implicit-def: $vgpr104
	s_delay_alu instid0(VALU_DEP_1) | instskip(NEXT) | instid1(VALU_DEP_1)
	v_mul_f32_e32 v32, v89, v32
	v_and_b32_e32 v33, 0x7f800000, v32
	s_delay_alu instid0(VALU_DEP_1)
	v_cmpx_ne_u32_e32 0x7f800000, v33
	s_xor_b32 s14, exec_lo, s14
; %bb.144:                              ;   in Loop: Header=BB8_130 Depth=2
	v_bfe_u32 v33, v32, 16, 1
	s_delay_alu instid0(VALU_DEP_1)
	v_add3_u32 v104, v32, v33, 0x7fff
                                        ; implicit-def: $vgpr32
; %bb.145:                              ;   in Loop: Header=BB8_130 Depth=2
	s_and_not1_saveexec_b32 s14, s14
; %bb.146:                              ;   in Loop: Header=BB8_130 Depth=2
	v_and_b32_e32 v33, 0xffff, v32
	v_or_b32_e32 v91, 0x10000, v32
	s_delay_alu instid0(VALU_DEP_2) | instskip(NEXT) | instid1(VALU_DEP_2)
	v_cmp_eq_u32_e32 vcc_lo, 0, v33
	v_cndmask_b32_e32 v104, v91, v32, vcc_lo
; %bb.147:                              ;   in Loop: Header=BB8_130 Depth=2
	s_or_b32 exec_lo, exec_lo, s14
	v_lshlrev_b32_e32 v32, 16, v34
	s_mov_b32 s14, exec_lo
                                        ; implicit-def: $vgpr105
	s_delay_alu instid0(VALU_DEP_1) | instskip(NEXT) | instid1(VALU_DEP_1)
	v_mul_f32_e32 v32, v89, v32
	v_and_b32_e32 v33, 0x7f800000, v32
	s_delay_alu instid0(VALU_DEP_1)
	v_cmpx_ne_u32_e32 0x7f800000, v33
	s_xor_b32 s14, exec_lo, s14
; %bb.148:                              ;   in Loop: Header=BB8_130 Depth=2
	v_bfe_u32 v33, v32, 16, 1
	s_delay_alu instid0(VALU_DEP_1)
	v_add3_u32 v105, v32, v33, 0x7fff
                                        ; implicit-def: $vgpr32
; %bb.149:                              ;   in Loop: Header=BB8_130 Depth=2
	s_and_not1_saveexec_b32 s14, s14
; %bb.150:                              ;   in Loop: Header=BB8_130 Depth=2
	v_and_b32_e32 v33, 0xffff, v32
	v_or_b32_e32 v91, 0x10000, v32
	s_delay_alu instid0(VALU_DEP_2) | instskip(NEXT) | instid1(VALU_DEP_2)
	v_cmp_eq_u32_e32 vcc_lo, 0, v33
	v_cndmask_b32_e32 v105, v91, v32, vcc_lo
; %bb.151:                              ;   in Loop: Header=BB8_130 Depth=2
	s_or_b32 exec_lo, exec_lo, s14
	v_and_b32_e32 v32, 0xffff0000, v34
	s_mov_b32 s14, exec_lo
                                        ; implicit-def: $vgpr94
	s_delay_alu instid0(VALU_DEP_1) | instskip(NEXT) | instid1(VALU_DEP_1)
	v_mul_f32_e32 v32, v89, v32
	v_and_b32_e32 v33, 0x7f800000, v32
	s_delay_alu instid0(VALU_DEP_1)
	v_cmpx_ne_u32_e32 0x7f800000, v33
	s_xor_b32 s14, exec_lo, s14
; %bb.152:                              ;   in Loop: Header=BB8_130 Depth=2
	v_bfe_u32 v33, v32, 16, 1
	s_delay_alu instid0(VALU_DEP_1)
	v_add3_u32 v94, v32, v33, 0x7fff
                                        ; implicit-def: $vgpr32
; %bb.153:                              ;   in Loop: Header=BB8_130 Depth=2
	s_and_not1_saveexec_b32 s14, s14
; %bb.154:                              ;   in Loop: Header=BB8_130 Depth=2
	v_and_b32_e32 v33, 0xffff, v32
	v_or_b32_e32 v34, 0x10000, v32
	s_delay_alu instid0(VALU_DEP_2) | instskip(NEXT) | instid1(VALU_DEP_2)
	v_cmp_eq_u32_e32 vcc_lo, 0, v33
	v_cndmask_b32_e32 v94, v34, v32, vcc_lo
; %bb.155:                              ;   in Loop: Header=BB8_130 Depth=2
	s_or_b32 exec_lo, exec_lo, s14
	v_lshlrev_b32_e32 v32, 16, v35
	s_mov_b32 s14, exec_lo
                                        ; implicit-def: $vgpr95
	s_delay_alu instid0(VALU_DEP_1) | instskip(NEXT) | instid1(VALU_DEP_1)
	v_mul_f32_e32 v32, v89, v32
	v_and_b32_e32 v33, 0x7f800000, v32
	s_delay_alu instid0(VALU_DEP_1)
	v_cmpx_ne_u32_e32 0x7f800000, v33
	s_xor_b32 s14, exec_lo, s14
; %bb.156:                              ;   in Loop: Header=BB8_130 Depth=2
	v_bfe_u32 v33, v32, 16, 1
	s_delay_alu instid0(VALU_DEP_1)
	v_add3_u32 v95, v32, v33, 0x7fff
                                        ; implicit-def: $vgpr32
; %bb.157:                              ;   in Loop: Header=BB8_130 Depth=2
	s_and_not1_saveexec_b32 s14, s14
; %bb.158:                              ;   in Loop: Header=BB8_130 Depth=2
	v_and_b32_e32 v33, 0xffff, v32
	v_or_b32_e32 v34, 0x10000, v32
	s_delay_alu instid0(VALU_DEP_2) | instskip(NEXT) | instid1(VALU_DEP_2)
	v_cmp_eq_u32_e32 vcc_lo, 0, v33
	v_cndmask_b32_e32 v95, v34, v32, vcc_lo
; %bb.159:                              ;   in Loop: Header=BB8_130 Depth=2
	s_or_b32 exec_lo, exec_lo, s14
	v_and_b32_e32 v32, 0xffff0000, v35
	s_mov_b32 s14, exec_lo
                                        ; implicit-def: $vgpr92
	s_delay_alu instid0(VALU_DEP_1) | instskip(NEXT) | instid1(VALU_DEP_1)
	v_mul_f32_e32 v32, v89, v32
	v_and_b32_e32 v33, 0x7f800000, v32
	s_delay_alu instid0(VALU_DEP_1)
	v_cmpx_ne_u32_e32 0x7f800000, v33
	s_xor_b32 s14, exec_lo, s14
; %bb.160:                              ;   in Loop: Header=BB8_130 Depth=2
	v_bfe_u32 v33, v32, 16, 1
	s_delay_alu instid0(VALU_DEP_1)
	v_add3_u32 v92, v32, v33, 0x7fff
                                        ; implicit-def: $vgpr32
; %bb.161:                              ;   in Loop: Header=BB8_130 Depth=2
	s_and_not1_saveexec_b32 s14, s14
; %bb.162:                              ;   in Loop: Header=BB8_130 Depth=2
	v_and_b32_e32 v33, 0xffff, v32
	v_or_b32_e32 v34, 0x10000, v32
	s_delay_alu instid0(VALU_DEP_2) | instskip(NEXT) | instid1(VALU_DEP_2)
	v_cmp_eq_u32_e32 vcc_lo, 0, v33
	v_cndmask_b32_e32 v92, v34, v32, vcc_lo
; %bb.163:                              ;   in Loop: Header=BB8_130 Depth=2
	s_or_b32 exec_lo, exec_lo, s14
	v_lshlrev_b32_e32 v32, 16, v18
	s_mov_b32 s14, exec_lo
                                        ; implicit-def: $vgpr93
	s_delay_alu instid0(VALU_DEP_1) | instskip(NEXT) | instid1(VALU_DEP_1)
	v_mul_f32_e32 v32, v89, v32
	v_and_b32_e32 v33, 0x7f800000, v32
	s_delay_alu instid0(VALU_DEP_1)
	v_cmpx_ne_u32_e32 0x7f800000, v33
	s_xor_b32 s14, exec_lo, s14
; %bb.164:                              ;   in Loop: Header=BB8_130 Depth=2
	v_bfe_u32 v33, v32, 16, 1
	s_delay_alu instid0(VALU_DEP_1)
	v_add3_u32 v93, v32, v33, 0x7fff
                                        ; implicit-def: $vgpr32
; %bb.165:                              ;   in Loop: Header=BB8_130 Depth=2
	s_and_not1_saveexec_b32 s14, s14
; %bb.166:                              ;   in Loop: Header=BB8_130 Depth=2
	v_and_b32_e32 v33, 0xffff, v32
	v_or_b32_e32 v34, 0x10000, v32
	s_delay_alu instid0(VALU_DEP_2) | instskip(NEXT) | instid1(VALU_DEP_2)
	v_cmp_eq_u32_e32 vcc_lo, 0, v33
	v_cndmask_b32_e32 v93, v34, v32, vcc_lo
; %bb.167:                              ;   in Loop: Header=BB8_130 Depth=2
	s_or_b32 exec_lo, exec_lo, s14
	v_and_b32_e32 v18, 0xffff0000, v18
	s_mov_b32 s14, exec_lo
                                        ; implicit-def: $vgpr35
	s_delay_alu instid0(VALU_DEP_1) | instskip(NEXT) | instid1(VALU_DEP_1)
	v_mul_f32_e32 v18, v89, v18
	v_and_b32_e32 v32, 0x7f800000, v18
	s_delay_alu instid0(VALU_DEP_1)
	v_cmpx_ne_u32_e32 0x7f800000, v32
	s_xor_b32 s14, exec_lo, s14
; %bb.168:                              ;   in Loop: Header=BB8_130 Depth=2
	v_bfe_u32 v32, v18, 16, 1
	s_delay_alu instid0(VALU_DEP_1)
	v_add3_u32 v35, v18, v32, 0x7fff
                                        ; implicit-def: $vgpr18
; %bb.169:                              ;   in Loop: Header=BB8_130 Depth=2
	s_and_not1_saveexec_b32 s14, s14
; %bb.170:                              ;   in Loop: Header=BB8_130 Depth=2
	v_and_b32_e32 v32, 0xffff, v18
	v_or_b32_e32 v33, 0x10000, v18
	s_delay_alu instid0(VALU_DEP_2) | instskip(NEXT) | instid1(VALU_DEP_2)
	v_cmp_eq_u32_e32 vcc_lo, 0, v32
	v_cndmask_b32_e32 v35, v33, v18, vcc_lo
; %bb.171:                              ;   in Loop: Header=BB8_130 Depth=2
	s_or_b32 exec_lo, exec_lo, s14
	v_lshlrev_b32_e32 v18, 16, v19
	s_mov_b32 s14, exec_lo
                                        ; implicit-def: $vgpr91
	s_delay_alu instid0(VALU_DEP_1) | instskip(NEXT) | instid1(VALU_DEP_1)
	v_mul_f32_e32 v18, v89, v18
	v_and_b32_e32 v32, 0x7f800000, v18
	s_delay_alu instid0(VALU_DEP_1)
	v_cmpx_ne_u32_e32 0x7f800000, v32
	s_xor_b32 s14, exec_lo, s14
; %bb.172:                              ;   in Loop: Header=BB8_130 Depth=2
	v_bfe_u32 v32, v18, 16, 1
	s_delay_alu instid0(VALU_DEP_1)
	v_add3_u32 v91, v18, v32, 0x7fff
                                        ; implicit-def: $vgpr18
; %bb.173:                              ;   in Loop: Header=BB8_130 Depth=2
	s_and_not1_saveexec_b32 s14, s14
; %bb.174:                              ;   in Loop: Header=BB8_130 Depth=2
	v_and_b32_e32 v32, 0xffff, v18
	v_or_b32_e32 v33, 0x10000, v18
	s_delay_alu instid0(VALU_DEP_2) | instskip(NEXT) | instid1(VALU_DEP_2)
	v_cmp_eq_u32_e32 vcc_lo, 0, v32
	v_cndmask_b32_e32 v91, v33, v18, vcc_lo
; %bb.175:                              ;   in Loop: Header=BB8_130 Depth=2
	s_or_b32 exec_lo, exec_lo, s14
	v_and_b32_e32 v18, 0xffff0000, v19
	s_mov_b32 s14, exec_lo
                                        ; implicit-def: $vgpr33
	s_delay_alu instid0(VALU_DEP_1) | instskip(NEXT) | instid1(VALU_DEP_1)
	v_mul_f32_e32 v18, v89, v18
	v_and_b32_e32 v19, 0x7f800000, v18
	s_delay_alu instid0(VALU_DEP_1)
	v_cmpx_ne_u32_e32 0x7f800000, v19
	s_xor_b32 s14, exec_lo, s14
; %bb.176:                              ;   in Loop: Header=BB8_130 Depth=2
	v_bfe_u32 v19, v18, 16, 1
	s_delay_alu instid0(VALU_DEP_1)
	v_add3_u32 v33, v18, v19, 0x7fff
                                        ; implicit-def: $vgpr18
; %bb.177:                              ;   in Loop: Header=BB8_130 Depth=2
	s_and_not1_saveexec_b32 s14, s14
; %bb.178:                              ;   in Loop: Header=BB8_130 Depth=2
	v_and_b32_e32 v19, 0xffff, v18
	v_or_b32_e32 v32, 0x10000, v18
	s_delay_alu instid0(VALU_DEP_2) | instskip(NEXT) | instid1(VALU_DEP_2)
	v_cmp_eq_u32_e32 vcc_lo, 0, v19
	v_cndmask_b32_e32 v33, v32, v18, vcc_lo
; %bb.179:                              ;   in Loop: Header=BB8_130 Depth=2
	s_or_b32 exec_lo, exec_lo, s14
	v_lshlrev_b32_e32 v18, 16, v20
	s_mov_b32 s14, exec_lo
                                        ; implicit-def: $vgpr34
	s_delay_alu instid0(VALU_DEP_1) | instskip(NEXT) | instid1(VALU_DEP_1)
	v_mul_f32_e32 v18, v89, v18
	v_and_b32_e32 v19, 0x7f800000, v18
	s_delay_alu instid0(VALU_DEP_1)
	v_cmpx_ne_u32_e32 0x7f800000, v19
	s_xor_b32 s14, exec_lo, s14
; %bb.180:                              ;   in Loop: Header=BB8_130 Depth=2
	v_bfe_u32 v19, v18, 16, 1
	s_delay_alu instid0(VALU_DEP_1)
	v_add3_u32 v34, v18, v19, 0x7fff
                                        ; implicit-def: $vgpr18
; %bb.181:                              ;   in Loop: Header=BB8_130 Depth=2
	s_and_not1_saveexec_b32 s14, s14
; %bb.182:                              ;   in Loop: Header=BB8_130 Depth=2
	v_and_b32_e32 v19, 0xffff, v18
	v_or_b32_e32 v32, 0x10000, v18
	s_delay_alu instid0(VALU_DEP_2) | instskip(NEXT) | instid1(VALU_DEP_2)
	v_cmp_eq_u32_e32 vcc_lo, 0, v19
	v_cndmask_b32_e32 v34, v32, v18, vcc_lo
; %bb.183:                              ;   in Loop: Header=BB8_130 Depth=2
	s_or_b32 exec_lo, exec_lo, s14
	v_and_b32_e32 v18, 0xffff0000, v20
	s_mov_b32 s14, exec_lo
                                        ; implicit-def: $vgpr20
	s_delay_alu instid0(VALU_DEP_1) | instskip(NEXT) | instid1(VALU_DEP_1)
	v_mul_f32_e32 v18, v89, v18
	v_and_b32_e32 v19, 0x7f800000, v18
	s_delay_alu instid0(VALU_DEP_1)
	v_cmpx_ne_u32_e32 0x7f800000, v19
	s_xor_b32 s14, exec_lo, s14
; %bb.184:                              ;   in Loop: Header=BB8_130 Depth=2
	v_bfe_u32 v19, v18, 16, 1
	s_delay_alu instid0(VALU_DEP_1)
	v_add3_u32 v20, v18, v19, 0x7fff
                                        ; implicit-def: $vgpr18
; %bb.185:                              ;   in Loop: Header=BB8_130 Depth=2
	s_and_not1_saveexec_b32 s14, s14
; %bb.186:                              ;   in Loop: Header=BB8_130 Depth=2
	v_and_b32_e32 v19, 0xffff, v18
	v_or_b32_e32 v20, 0x10000, v18
	s_delay_alu instid0(VALU_DEP_2) | instskip(NEXT) | instid1(VALU_DEP_2)
	v_cmp_eq_u32_e32 vcc_lo, 0, v19
	v_cndmask_b32_e32 v20, v20, v18, vcc_lo
; %bb.187:                              ;   in Loop: Header=BB8_130 Depth=2
	s_or_b32 exec_lo, exec_lo, s14
	v_lshlrev_b32_e32 v18, 16, v21
	s_mov_b32 s14, exec_lo
                                        ; implicit-def: $vgpr32
	s_delay_alu instid0(VALU_DEP_1) | instskip(NEXT) | instid1(VALU_DEP_1)
	v_mul_f32_e32 v18, v89, v18
	v_and_b32_e32 v19, 0x7f800000, v18
	s_delay_alu instid0(VALU_DEP_1)
	v_cmpx_ne_u32_e32 0x7f800000, v19
	s_xor_b32 s14, exec_lo, s14
; %bb.188:                              ;   in Loop: Header=BB8_130 Depth=2
	v_bfe_u32 v19, v18, 16, 1
	s_delay_alu instid0(VALU_DEP_1)
	v_add3_u32 v32, v18, v19, 0x7fff
                                        ; implicit-def: $vgpr18
; %bb.189:                              ;   in Loop: Header=BB8_130 Depth=2
	s_and_not1_saveexec_b32 s14, s14
; %bb.190:                              ;   in Loop: Header=BB8_130 Depth=2
	v_and_b32_e32 v19, 0xffff, v18
	v_or_b32_e32 v32, 0x10000, v18
	s_delay_alu instid0(VALU_DEP_2) | instskip(NEXT) | instid1(VALU_DEP_2)
	v_cmp_eq_u32_e32 vcc_lo, 0, v19
	v_cndmask_b32_e32 v32, v32, v18, vcc_lo
; %bb.191:                              ;   in Loop: Header=BB8_130 Depth=2
	s_or_b32 exec_lo, exec_lo, s14
	v_and_b32_e32 v18, 0xffff0000, v21
	s_delay_alu instid0(VALU_DEP_1) | instskip(NEXT) | instid1(VALU_DEP_1)
	v_mul_f32_e32 v18, v89, v18
	v_and_b32_e32 v19, 0x7f800000, v18
	s_delay_alu instid0(VALU_DEP_1) | instskip(SKIP_1) | instid1(SALU_CYCLE_1)
	v_cmp_ne_u32_e32 vcc_lo, 0x7f800000, v19
                                        ; implicit-def: $vgpr19
	s_and_saveexec_b32 s14, vcc_lo
	s_xor_b32 s14, exec_lo, s14
; %bb.192:                              ;   in Loop: Header=BB8_130 Depth=2
	v_bfe_u32 v19, v18, 16, 1
	s_delay_alu instid0(VALU_DEP_1)
	v_add3_u32 v19, v18, v19, 0x7fff
                                        ; implicit-def: $vgpr18
; %bb.193:                              ;   in Loop: Header=BB8_130 Depth=2
	s_and_not1_saveexec_b32 s14, s14
; %bb.194:                              ;   in Loop: Header=BB8_130 Depth=2
	v_and_b32_e32 v19, 0xffff, v18
	v_or_b32_e32 v21, 0x10000, v18
	s_delay_alu instid0(VALU_DEP_2) | instskip(NEXT) | instid1(VALU_DEP_2)
	v_cmp_eq_u32_e32 vcc_lo, 0, v19
	v_cndmask_b32_e32 v19, v21, v18, vcc_lo
; %bb.195:                              ;   in Loop: Header=BB8_130 Depth=2
	s_or_b32 exec_lo, exec_lo, s14
	v_and_b32_e32 v18, 0xffff0000, v108
	v_lshlrev_b32_e32 v21, 16, v14
	s_delay_alu instid0(VALU_DEP_1) | instskip(NEXT) | instid1(VALU_DEP_1)
	v_add_f32_e32 v21, v21, v18
	v_and_b32_e32 v18, 0x7f800000, v21
	s_delay_alu instid0(VALU_DEP_1) | instskip(SKIP_1) | instid1(SALU_CYCLE_1)
	v_cmp_ne_u32_e32 vcc_lo, 0x7f800000, v18
                                        ; implicit-def: $vgpr18
	s_and_saveexec_b32 s14, vcc_lo
	s_xor_b32 s14, exec_lo, s14
; %bb.196:                              ;   in Loop: Header=BB8_130 Depth=2
	v_bfe_u32 v18, v21, 16, 1
	s_delay_alu instid0(VALU_DEP_1)
	v_add3_u32 v18, v21, v18, 0x7fff
                                        ; implicit-def: $vgpr21
; %bb.197:                              ;   in Loop: Header=BB8_130 Depth=2
	s_and_not1_saveexec_b32 s14, s14
; %bb.198:                              ;   in Loop: Header=BB8_130 Depth=2
	v_and_b32_e32 v18, 0xffff, v21
	v_or_b32_e32 v108, 0x10000, v21
	s_delay_alu instid0(VALU_DEP_2) | instskip(NEXT) | instid1(VALU_DEP_2)
	v_cmp_eq_u32_e32 vcc_lo, 0, v18
	v_cndmask_b32_e32 v18, v108, v21, vcc_lo
; %bb.199:                              ;   in Loop: Header=BB8_130 Depth=2
	s_or_b32 exec_lo, exec_lo, s14
	v_and_b32_e32 v21, 0xffff0000, v14
	v_and_b32_e32 v106, 0xffff0000, v106
	s_delay_alu instid0(VALU_DEP_1) | instskip(NEXT) | instid1(VALU_DEP_1)
	v_add_f32_e32 v106, v21, v106
	v_and_b32_e32 v21, 0x7f800000, v106
	s_delay_alu instid0(VALU_DEP_1) | instskip(SKIP_1) | instid1(SALU_CYCLE_1)
	v_cmp_ne_u32_e32 vcc_lo, 0x7f800000, v21
                                        ; implicit-def: $vgpr21
	s_and_saveexec_b32 s14, vcc_lo
	s_xor_b32 s14, exec_lo, s14
; %bb.200:                              ;   in Loop: Header=BB8_130 Depth=2
	v_bfe_u32 v21, v106, 16, 1
	s_delay_alu instid0(VALU_DEP_1)
	v_add3_u32 v21, v106, v21, 0x7fff
                                        ; implicit-def: $vgpr106
; %bb.201:                              ;   in Loop: Header=BB8_130 Depth=2
	s_and_not1_saveexec_b32 s14, s14
; %bb.202:                              ;   in Loop: Header=BB8_130 Depth=2
	v_and_b32_e32 v21, 0xffff, v106
	v_or_b32_e32 v108, 0x10000, v106
	s_delay_alu instid0(VALU_DEP_2) | instskip(NEXT) | instid1(VALU_DEP_2)
	v_cmp_eq_u32_e32 vcc_lo, 0, v21
	v_cndmask_b32_e32 v21, v108, v106, vcc_lo
; %bb.203:                              ;   in Loop: Header=BB8_130 Depth=2
	s_or_b32 exec_lo, exec_lo, s14
	v_and_b32_e32 v106, 0xffff0000, v107
	v_lshlrev_b32_e32 v107, 16, v15
	s_delay_alu instid0(VALU_DEP_1) | instskip(NEXT) | instid1(VALU_DEP_1)
	v_add_f32_e32 v107, v107, v106
	v_and_b32_e32 v106, 0x7f800000, v107
	s_delay_alu instid0(VALU_DEP_1) | instskip(SKIP_1) | instid1(SALU_CYCLE_1)
	v_cmp_ne_u32_e32 vcc_lo, 0x7f800000, v106
                                        ; implicit-def: $vgpr106
	s_and_saveexec_b32 s14, vcc_lo
	s_xor_b32 s14, exec_lo, s14
; %bb.204:                              ;   in Loop: Header=BB8_130 Depth=2
	v_bfe_u32 v106, v107, 16, 1
	s_delay_alu instid0(VALU_DEP_1)
	v_add3_u32 v106, v107, v106, 0x7fff
                                        ; implicit-def: $vgpr107
; %bb.205:                              ;   in Loop: Header=BB8_130 Depth=2
	s_and_not1_saveexec_b32 s14, s14
; %bb.206:                              ;   in Loop: Header=BB8_130 Depth=2
	v_and_b32_e32 v106, 0xffff, v107
	v_or_b32_e32 v108, 0x10000, v107
	s_delay_alu instid0(VALU_DEP_2) | instskip(NEXT) | instid1(VALU_DEP_2)
	v_cmp_eq_u32_e32 vcc_lo, 0, v106
	v_cndmask_b32_e32 v106, v108, v107, vcc_lo
; %bb.207:                              ;   in Loop: Header=BB8_130 Depth=2
	s_or_b32 exec_lo, exec_lo, s14
	v_and_b32_e32 v107, 0xffff0000, v15
	v_and_b32_e32 v104, 0xffff0000, v104
	s_delay_alu instid0(VALU_DEP_1) | instskip(NEXT) | instid1(VALU_DEP_1)
	v_add_f32_e32 v107, v107, v104
	v_and_b32_e32 v104, 0x7f800000, v107
	s_delay_alu instid0(VALU_DEP_1) | instskip(SKIP_1) | instid1(SALU_CYCLE_1)
	v_cmp_ne_u32_e32 vcc_lo, 0x7f800000, v104
                                        ; implicit-def: $vgpr104
	s_and_saveexec_b32 s14, vcc_lo
	s_xor_b32 s14, exec_lo, s14
; %bb.208:                              ;   in Loop: Header=BB8_130 Depth=2
	v_bfe_u32 v104, v107, 16, 1
	s_delay_alu instid0(VALU_DEP_1)
	v_add3_u32 v104, v107, v104, 0x7fff
                                        ; implicit-def: $vgpr107
; %bb.209:                              ;   in Loop: Header=BB8_130 Depth=2
	s_and_not1_saveexec_b32 s14, s14
; %bb.210:                              ;   in Loop: Header=BB8_130 Depth=2
	v_and_b32_e32 v104, 0xffff, v107
	v_or_b32_e32 v108, 0x10000, v107
	s_delay_alu instid0(VALU_DEP_2) | instskip(NEXT) | instid1(VALU_DEP_2)
	v_cmp_eq_u32_e32 vcc_lo, 0, v104
	v_cndmask_b32_e32 v104, v108, v107, vcc_lo
; %bb.211:                              ;   in Loop: Header=BB8_130 Depth=2
	s_or_b32 exec_lo, exec_lo, s14
	v_and_b32_e32 v105, 0xffff0000, v105
	v_lshlrev_b32_e32 v107, 16, v16
	s_delay_alu instid0(VALU_DEP_1) | instskip(NEXT) | instid1(VALU_DEP_1)
	v_add_f32_e32 v107, v107, v105
	v_and_b32_e32 v105, 0x7f800000, v107
	s_delay_alu instid0(VALU_DEP_1) | instskip(SKIP_1) | instid1(SALU_CYCLE_1)
	v_cmp_ne_u32_e32 vcc_lo, 0x7f800000, v105
                                        ; implicit-def: $vgpr105
	s_and_saveexec_b32 s14, vcc_lo
	s_xor_b32 s14, exec_lo, s14
; %bb.212:                              ;   in Loop: Header=BB8_130 Depth=2
	v_bfe_u32 v105, v107, 16, 1
	s_delay_alu instid0(VALU_DEP_1)
	v_add3_u32 v105, v107, v105, 0x7fff
                                        ; implicit-def: $vgpr107
; %bb.213:                              ;   in Loop: Header=BB8_130 Depth=2
	s_and_not1_saveexec_b32 s14, s14
; %bb.214:                              ;   in Loop: Header=BB8_130 Depth=2
	v_and_b32_e32 v105, 0xffff, v107
	v_or_b32_e32 v108, 0x10000, v107
	s_delay_alu instid0(VALU_DEP_2) | instskip(NEXT) | instid1(VALU_DEP_2)
	v_cmp_eq_u32_e32 vcc_lo, 0, v105
	v_cndmask_b32_e32 v105, v108, v107, vcc_lo
; %bb.215:                              ;   in Loop: Header=BB8_130 Depth=2
	s_or_b32 exec_lo, exec_lo, s14
	v_and_b32_e32 v107, 0xffff0000, v16
	v_and_b32_e32 v94, 0xffff0000, v94
	s_delay_alu instid0(VALU_DEP_1) | instskip(NEXT) | instid1(VALU_DEP_1)
	v_add_f32_e32 v107, v107, v94
	v_and_b32_e32 v94, 0x7f800000, v107
	s_delay_alu instid0(VALU_DEP_1) | instskip(SKIP_1) | instid1(SALU_CYCLE_1)
	v_cmp_ne_u32_e32 vcc_lo, 0x7f800000, v94
                                        ; implicit-def: $vgpr94
	s_and_saveexec_b32 s14, vcc_lo
	s_xor_b32 s14, exec_lo, s14
; %bb.216:                              ;   in Loop: Header=BB8_130 Depth=2
	v_bfe_u32 v94, v107, 16, 1
	s_delay_alu instid0(VALU_DEP_1)
	v_add3_u32 v94, v107, v94, 0x7fff
                                        ; implicit-def: $vgpr107
; %bb.217:                              ;   in Loop: Header=BB8_130 Depth=2
	s_and_not1_saveexec_b32 s14, s14
; %bb.218:                              ;   in Loop: Header=BB8_130 Depth=2
	v_and_b32_e32 v94, 0xffff, v107
	v_or_b32_e32 v108, 0x10000, v107
	s_delay_alu instid0(VALU_DEP_2) | instskip(NEXT) | instid1(VALU_DEP_2)
	v_cmp_eq_u32_e32 vcc_lo, 0, v94
	v_cndmask_b32_e32 v94, v108, v107, vcc_lo
; %bb.219:                              ;   in Loop: Header=BB8_130 Depth=2
	s_or_b32 exec_lo, exec_lo, s14
	v_and_b32_e32 v95, 0xffff0000, v95
	v_lshlrev_b32_e32 v107, 16, v17
	s_delay_alu instid0(VALU_DEP_1) | instskip(NEXT) | instid1(VALU_DEP_1)
	v_add_f32_e32 v107, v107, v95
	v_and_b32_e32 v95, 0x7f800000, v107
	s_delay_alu instid0(VALU_DEP_1) | instskip(SKIP_1) | instid1(SALU_CYCLE_1)
	v_cmp_ne_u32_e32 vcc_lo, 0x7f800000, v95
                                        ; implicit-def: $vgpr95
	s_and_saveexec_b32 s14, vcc_lo
	s_xor_b32 s14, exec_lo, s14
; %bb.220:                              ;   in Loop: Header=BB8_130 Depth=2
	v_bfe_u32 v95, v107, 16, 1
	s_delay_alu instid0(VALU_DEP_1)
	v_add3_u32 v95, v107, v95, 0x7fff
                                        ; implicit-def: $vgpr107
; %bb.221:                              ;   in Loop: Header=BB8_130 Depth=2
	s_and_not1_saveexec_b32 s14, s14
; %bb.222:                              ;   in Loop: Header=BB8_130 Depth=2
	v_and_b32_e32 v95, 0xffff, v107
	v_or_b32_e32 v108, 0x10000, v107
	s_delay_alu instid0(VALU_DEP_2) | instskip(NEXT) | instid1(VALU_DEP_2)
	v_cmp_eq_u32_e32 vcc_lo, 0, v95
	v_cndmask_b32_e32 v95, v108, v107, vcc_lo
; %bb.223:                              ;   in Loop: Header=BB8_130 Depth=2
	s_or_b32 exec_lo, exec_lo, s14
	v_and_b32_e32 v107, 0xffff0000, v17
	v_and_b32_e32 v92, 0xffff0000, v92
	s_delay_alu instid0(VALU_DEP_1) | instskip(NEXT) | instid1(VALU_DEP_1)
	v_add_f32_e32 v107, v107, v92
	v_and_b32_e32 v92, 0x7f800000, v107
	s_delay_alu instid0(VALU_DEP_1) | instskip(SKIP_1) | instid1(SALU_CYCLE_1)
	v_cmp_ne_u32_e32 vcc_lo, 0x7f800000, v92
                                        ; implicit-def: $vgpr92
	s_and_saveexec_b32 s14, vcc_lo
	s_xor_b32 s14, exec_lo, s14
; %bb.224:                              ;   in Loop: Header=BB8_130 Depth=2
	v_bfe_u32 v92, v107, 16, 1
	s_delay_alu instid0(VALU_DEP_1)
	v_add3_u32 v92, v107, v92, 0x7fff
                                        ; implicit-def: $vgpr107
; %bb.225:                              ;   in Loop: Header=BB8_130 Depth=2
	s_and_not1_saveexec_b32 s14, s14
; %bb.226:                              ;   in Loop: Header=BB8_130 Depth=2
	v_and_b32_e32 v92, 0xffff, v107
	v_or_b32_e32 v108, 0x10000, v107
	s_delay_alu instid0(VALU_DEP_2) | instskip(NEXT) | instid1(VALU_DEP_2)
	v_cmp_eq_u32_e32 vcc_lo, 0, v92
	v_cndmask_b32_e32 v92, v108, v107, vcc_lo
; %bb.227:                              ;   in Loop: Header=BB8_130 Depth=2
	s_or_b32 exec_lo, exec_lo, s14
	v_and_b32_e32 v93, 0xffff0000, v93
	v_lshlrev_b32_e32 v107, 16, v10
	s_delay_alu instid0(VALU_DEP_1) | instskip(NEXT) | instid1(VALU_DEP_1)
	v_add_f32_e32 v107, v107, v93
	v_and_b32_e32 v93, 0x7f800000, v107
	s_delay_alu instid0(VALU_DEP_1) | instskip(SKIP_1) | instid1(SALU_CYCLE_1)
	v_cmp_ne_u32_e32 vcc_lo, 0x7f800000, v93
                                        ; implicit-def: $vgpr93
	s_and_saveexec_b32 s14, vcc_lo
	s_xor_b32 s14, exec_lo, s14
; %bb.228:                              ;   in Loop: Header=BB8_130 Depth=2
	v_bfe_u32 v93, v107, 16, 1
	s_delay_alu instid0(VALU_DEP_1)
	v_add3_u32 v93, v107, v93, 0x7fff
                                        ; implicit-def: $vgpr107
; %bb.229:                              ;   in Loop: Header=BB8_130 Depth=2
	s_and_not1_saveexec_b32 s14, s14
; %bb.230:                              ;   in Loop: Header=BB8_130 Depth=2
	v_and_b32_e32 v93, 0xffff, v107
	v_or_b32_e32 v108, 0x10000, v107
	s_delay_alu instid0(VALU_DEP_2) | instskip(NEXT) | instid1(VALU_DEP_2)
	v_cmp_eq_u32_e32 vcc_lo, 0, v93
	v_cndmask_b32_e32 v93, v108, v107, vcc_lo
; %bb.231:                              ;   in Loop: Header=BB8_130 Depth=2
	s_or_b32 exec_lo, exec_lo, s14
	v_and_b32_e32 v107, 0xffff0000, v10
	v_and_b32_e32 v35, 0xffff0000, v35
	s_delay_alu instid0(VALU_DEP_1) | instskip(NEXT) | instid1(VALU_DEP_1)
	v_add_f32_e32 v35, v107, v35
	v_and_b32_e32 v107, 0x7f800000, v35
	s_delay_alu instid0(VALU_DEP_1) | instskip(SKIP_1) | instid1(SALU_CYCLE_1)
	v_cmp_ne_u32_e32 vcc_lo, 0x7f800000, v107
                                        ; implicit-def: $vgpr107
	s_and_saveexec_b32 s14, vcc_lo
	s_xor_b32 s14, exec_lo, s14
; %bb.232:                              ;   in Loop: Header=BB8_130 Depth=2
	v_bfe_u32 v107, v35, 16, 1
	s_delay_alu instid0(VALU_DEP_1)
	v_add3_u32 v107, v35, v107, 0x7fff
                                        ; implicit-def: $vgpr35
; %bb.233:                              ;   in Loop: Header=BB8_130 Depth=2
	s_and_not1_saveexec_b32 s14, s14
; %bb.234:                              ;   in Loop: Header=BB8_130 Depth=2
	v_and_b32_e32 v107, 0xffff, v35
	v_or_b32_e32 v108, 0x10000, v35
	s_delay_alu instid0(VALU_DEP_2) | instskip(NEXT) | instid1(VALU_DEP_2)
	v_cmp_eq_u32_e32 vcc_lo, 0, v107
	v_cndmask_b32_e32 v107, v108, v35, vcc_lo
; %bb.235:                              ;   in Loop: Header=BB8_130 Depth=2
	s_or_b32 exec_lo, exec_lo, s14
	v_and_b32_e32 v35, 0xffff0000, v91
	v_lshlrev_b32_e32 v91, 16, v11
	s_delay_alu instid0(VALU_DEP_1) | instskip(NEXT) | instid1(VALU_DEP_1)
	v_add_f32_e32 v91, v91, v35
	v_and_b32_e32 v35, 0x7f800000, v91
	s_delay_alu instid0(VALU_DEP_1) | instskip(SKIP_1) | instid1(SALU_CYCLE_1)
	v_cmp_ne_u32_e32 vcc_lo, 0x7f800000, v35
                                        ; implicit-def: $vgpr35
	s_and_saveexec_b32 s14, vcc_lo
	s_xor_b32 s14, exec_lo, s14
; %bb.236:                              ;   in Loop: Header=BB8_130 Depth=2
	v_bfe_u32 v35, v91, 16, 1
	s_delay_alu instid0(VALU_DEP_1)
	v_add3_u32 v35, v91, v35, 0x7fff
                                        ; implicit-def: $vgpr91
; %bb.237:                              ;   in Loop: Header=BB8_130 Depth=2
	s_and_not1_saveexec_b32 s14, s14
; %bb.238:                              ;   in Loop: Header=BB8_130 Depth=2
	v_and_b32_e32 v35, 0xffff, v91
	v_or_b32_e32 v108, 0x10000, v91
	s_delay_alu instid0(VALU_DEP_2) | instskip(NEXT) | instid1(VALU_DEP_2)
	v_cmp_eq_u32_e32 vcc_lo, 0, v35
	v_cndmask_b32_e32 v35, v108, v91, vcc_lo
; %bb.239:                              ;   in Loop: Header=BB8_130 Depth=2
	s_or_b32 exec_lo, exec_lo, s14
	v_and_b32_e32 v91, 0xffff0000, v11
	v_and_b32_e32 v33, 0xffff0000, v33
	s_delay_alu instid0(VALU_DEP_1) | instskip(NEXT) | instid1(VALU_DEP_1)
	v_add_f32_e32 v33, v91, v33
	v_and_b32_e32 v91, 0x7f800000, v33
	s_delay_alu instid0(VALU_DEP_1) | instskip(SKIP_1) | instid1(SALU_CYCLE_1)
	v_cmp_ne_u32_e32 vcc_lo, 0x7f800000, v91
                                        ; implicit-def: $vgpr91
	s_and_saveexec_b32 s14, vcc_lo
	s_xor_b32 s14, exec_lo, s14
; %bb.240:                              ;   in Loop: Header=BB8_130 Depth=2
	v_bfe_u32 v91, v33, 16, 1
	s_delay_alu instid0(VALU_DEP_1)
	v_add3_u32 v91, v33, v91, 0x7fff
                                        ; implicit-def: $vgpr33
; %bb.241:                              ;   in Loop: Header=BB8_130 Depth=2
	s_and_not1_saveexec_b32 s14, s14
; %bb.242:                              ;   in Loop: Header=BB8_130 Depth=2
	v_and_b32_e32 v91, 0xffff, v33
	v_or_b32_e32 v108, 0x10000, v33
	s_delay_alu instid0(VALU_DEP_2) | instskip(NEXT) | instid1(VALU_DEP_2)
	v_cmp_eq_u32_e32 vcc_lo, 0, v91
	v_cndmask_b32_e32 v91, v108, v33, vcc_lo
; %bb.243:                              ;   in Loop: Header=BB8_130 Depth=2
	s_or_b32 exec_lo, exec_lo, s14
	v_and_b32_e32 v33, 0xffff0000, v34
	v_lshlrev_b32_e32 v34, 16, v12
	s_mov_b32 s14, exec_lo
                                        ; implicit-def: $vgpr108
	s_delay_alu instid0(VALU_DEP_1) | instskip(NEXT) | instid1(VALU_DEP_1)
	v_add_f32_e32 v33, v34, v33
	v_and_b32_e32 v34, 0x7f800000, v33
	s_delay_alu instid0(VALU_DEP_1)
	v_cmpx_ne_u32_e32 0x7f800000, v34
	s_xor_b32 s14, exec_lo, s14
; %bb.244:                              ;   in Loop: Header=BB8_130 Depth=2
	v_bfe_u32 v34, v33, 16, 1
	s_delay_alu instid0(VALU_DEP_1)
	v_add3_u32 v108, v33, v34, 0x7fff
                                        ; implicit-def: $vgpr33
; %bb.245:                              ;   in Loop: Header=BB8_130 Depth=2
	s_and_not1_saveexec_b32 s14, s14
; %bb.246:                              ;   in Loop: Header=BB8_130 Depth=2
	v_and_b32_e32 v34, 0xffff, v33
	v_or_b32_e32 v108, 0x10000, v33
	s_delay_alu instid0(VALU_DEP_2) | instskip(NEXT) | instid1(VALU_DEP_2)
	v_cmp_eq_u32_e32 vcc_lo, 0, v34
	v_cndmask_b32_e32 v108, v108, v33, vcc_lo
; %bb.247:                              ;   in Loop: Header=BB8_130 Depth=2
	s_or_b32 exec_lo, exec_lo, s14
	v_and_b32_e32 v33, 0xffff0000, v12
	v_and_b32_e32 v20, 0xffff0000, v20
	s_delay_alu instid0(VALU_DEP_1) | instskip(NEXT) | instid1(VALU_DEP_1)
	v_add_f32_e32 v33, v33, v20
	v_and_b32_e32 v20, 0x7f800000, v33
	s_delay_alu instid0(VALU_DEP_1) | instskip(SKIP_1) | instid1(SALU_CYCLE_1)
	v_cmp_ne_u32_e32 vcc_lo, 0x7f800000, v20
                                        ; implicit-def: $vgpr20
	s_and_saveexec_b32 s14, vcc_lo
	s_xor_b32 s14, exec_lo, s14
; %bb.248:                              ;   in Loop: Header=BB8_130 Depth=2
	v_bfe_u32 v20, v33, 16, 1
	s_delay_alu instid0(VALU_DEP_1)
	v_add3_u32 v20, v33, v20, 0x7fff
                                        ; implicit-def: $vgpr33
; %bb.249:                              ;   in Loop: Header=BB8_130 Depth=2
	s_and_not1_saveexec_b32 s14, s14
; %bb.250:                              ;   in Loop: Header=BB8_130 Depth=2
	v_and_b32_e32 v20, 0xffff, v33
	v_or_b32_e32 v34, 0x10000, v33
	s_delay_alu instid0(VALU_DEP_2) | instskip(NEXT) | instid1(VALU_DEP_2)
	v_cmp_eq_u32_e32 vcc_lo, 0, v20
	v_cndmask_b32_e32 v20, v34, v33, vcc_lo
; %bb.251:                              ;   in Loop: Header=BB8_130 Depth=2
	s_or_b32 exec_lo, exec_lo, s14
	v_and_b32_e32 v32, 0xffff0000, v32
	v_lshlrev_b32_e32 v33, 16, v13
	s_mov_b32 s14, exec_lo
                                        ; implicit-def: $vgpr109
	s_delay_alu instid0(VALU_DEP_1) | instskip(NEXT) | instid1(VALU_DEP_1)
	v_add_f32_e32 v32, v33, v32
	v_and_b32_e32 v33, 0x7f800000, v32
	s_delay_alu instid0(VALU_DEP_1)
	v_cmpx_ne_u32_e32 0x7f800000, v33
	s_xor_b32 s14, exec_lo, s14
; %bb.252:                              ;   in Loop: Header=BB8_130 Depth=2
	v_bfe_u32 v33, v32, 16, 1
	s_delay_alu instid0(VALU_DEP_1)
	v_add3_u32 v109, v32, v33, 0x7fff
                                        ; implicit-def: $vgpr32
; %bb.253:                              ;   in Loop: Header=BB8_130 Depth=2
	s_and_not1_saveexec_b32 s14, s14
; %bb.254:                              ;   in Loop: Header=BB8_130 Depth=2
	v_and_b32_e32 v33, 0xffff, v32
	v_or_b32_e32 v34, 0x10000, v32
	s_delay_alu instid0(VALU_DEP_2) | instskip(NEXT) | instid1(VALU_DEP_2)
	v_cmp_eq_u32_e32 vcc_lo, 0, v33
	v_cndmask_b32_e32 v109, v34, v32, vcc_lo
; %bb.255:                              ;   in Loop: Header=BB8_130 Depth=2
	s_or_b32 exec_lo, exec_lo, s14
	v_and_b32_e32 v32, 0xffff0000, v13
	v_and_b32_e32 v19, 0xffff0000, v19
	s_mov_b32 s14, exec_lo
                                        ; implicit-def: $vgpr110
	s_delay_alu instid0(VALU_DEP_1) | instskip(NEXT) | instid1(VALU_DEP_1)
	v_add_f32_e32 v19, v32, v19
	v_and_b32_e32 v32, 0x7f800000, v19
	s_delay_alu instid0(VALU_DEP_1)
	v_cmpx_ne_u32_e32 0x7f800000, v32
	s_xor_b32 s14, exec_lo, s14
; %bb.256:                              ;   in Loop: Header=BB8_130 Depth=2
	v_bfe_u32 v32, v19, 16, 1
	s_delay_alu instid0(VALU_DEP_1)
	v_add3_u32 v110, v19, v32, 0x7fff
                                        ; implicit-def: $vgpr19
; %bb.257:                              ;   in Loop: Header=BB8_130 Depth=2
	s_and_not1_saveexec_b32 s14, s14
; %bb.258:                              ;   in Loop: Header=BB8_130 Depth=2
	v_and_b32_e32 v32, 0xffff, v19
	v_or_b32_e32 v33, 0x10000, v19
	s_delay_alu instid0(VALU_DEP_2) | instskip(NEXT) | instid1(VALU_DEP_2)
	v_cmp_eq_u32_e32 vcc_lo, 0, v32
	v_cndmask_b32_e32 v110, v33, v19, vcc_lo
; %bb.259:                              ;   in Loop: Header=BB8_130 Depth=2
	s_or_b32 exec_lo, exec_lo, s14
	v_dual_lshrrev_b32 v19, 16, v106 :: v_dual_lshrrev_b32 v34, 16, v105
	v_lshrrev_b32_e32 v18, 16, v18
	s_delay_alu instid0(VALU_DEP_2) | instskip(SKIP_1) | instid1(VALU_DEP_3)
	v_and_or_b32 v33, 0xffff0000, v104, v19
	v_lshrrev_b32_e32 v19, 16, v35
	v_and_or_b32 v32, 0xffff0000, v21, v18
	v_dual_lshrrev_b32 v18, 16, v95 :: v_dual_lshrrev_b32 v21, 16, v93
	v_and_or_b32 v34, 0xffff0000, v94, v34
	v_dual_lshrrev_b32 v93, 16, v108 :: v_dual_lshrrev_b32 v94, 16, v109
	s_delay_alu instid0(VALU_DEP_3) | instskip(SKIP_2) | instid1(VALU_DEP_4)
	v_and_or_b32 v35, 0xffff0000, v92, v18
	v_and_or_b32 v19, 0xffff0000, v91, v19
	;; [unrolled: 1-line block ×5, first 2 shown]
	s_clause 0x1
	global_store_b128 v[58:59], v[32:35], off th:TH_STORE_NT
	global_store_b128 v[58:59], v[18:21], off offset:512 th:TH_STORE_NT
	s_wait_xcnt 0x0
	v_add_nc_u64_e32 v[58:59], v[58:59], v[114:115]
.LBB8_260:                              ;   in Loop: Header=BB8_130 Depth=2
	s_or_b32 exec_lo, exec_lo, s15
	v_sub_nc_u32_e32 v90, v90, v96
	v_add_nc_u64_e32 v[60:61], v[60:61], v[114:115]
	v_add_nc_u64_e32 v[62:63], v[62:63], v[114:115]
	s_delay_alu instid0(VALU_DEP_3)
	v_cmp_lt_i32_e64 s14, 0, v90
	s_and_saveexec_b32 s15, s14
	s_cbranch_execz .LBB8_262
; %bb.261:                              ;   in Loop: Header=BB8_130 Depth=2
	s_clause 0x1
	global_load_b128 v[32:35], v[60:61], off th:TH_LOAD_NT
	global_load_b128 v[18:21], v[60:61], off offset:512 th:TH_LOAD_NT
	s_clause 0x1
	global_load_b128 v[14:17], v[62:63], off th:TH_LOAD_NT
	global_load_b128 v[10:13], v[62:63], off offset:512 th:TH_LOAD_NT
	s_wait_xcnt 0x2
	v_add_nc_u64_e32 v[60:61], 0x400, v[60:61]
	s_wait_xcnt 0x0
	v_add_nc_u64_e32 v[62:63], 0x400, v[62:63]
.LBB8_262:                              ;   in Loop: Header=BB8_130 Depth=2
	s_or_b32 exec_lo, exec_lo, s15
	s_wait_loadcnt 0x3
	v_lshlrev_b32_e32 v91, 16, v48
	s_mov_b32 s15, exec_lo
                                        ; implicit-def: $vgpr108
	s_delay_alu instid0(VALU_DEP_1) | instskip(NEXT) | instid1(VALU_DEP_1)
	v_mul_f32_e32 v91, v89, v91
	v_and_b32_e32 v92, 0x7f800000, v91
	s_delay_alu instid0(VALU_DEP_1)
	v_cmpx_ne_u32_e32 0x7f800000, v92
	s_xor_b32 s15, exec_lo, s15
; %bb.263:                              ;   in Loop: Header=BB8_130 Depth=2
	v_bfe_u32 v92, v91, 16, 1
	s_delay_alu instid0(VALU_DEP_1)
	v_add3_u32 v108, v91, v92, 0x7fff
                                        ; implicit-def: $vgpr91
; %bb.264:                              ;   in Loop: Header=BB8_130 Depth=2
	s_and_not1_saveexec_b32 s15, s15
; %bb.265:                              ;   in Loop: Header=BB8_130 Depth=2
	v_and_b32_e32 v92, 0xffff, v91
	v_or_b32_e32 v93, 0x10000, v91
	s_delay_alu instid0(VALU_DEP_2) | instskip(NEXT) | instid1(VALU_DEP_2)
	v_cmp_eq_u32_e32 vcc_lo, 0, v92
	v_cndmask_b32_e32 v108, v93, v91, vcc_lo
; %bb.266:                              ;   in Loop: Header=BB8_130 Depth=2
	s_or_b32 exec_lo, exec_lo, s15
	v_and_b32_e32 v48, 0xffff0000, v48
	s_mov_b32 s15, exec_lo
                                        ; implicit-def: $vgpr106
	s_delay_alu instid0(VALU_DEP_1) | instskip(NEXT) | instid1(VALU_DEP_1)
	v_mul_f32_e32 v48, v89, v48
	v_and_b32_e32 v91, 0x7f800000, v48
	s_delay_alu instid0(VALU_DEP_1)
	v_cmpx_ne_u32_e32 0x7f800000, v91
	s_xor_b32 s15, exec_lo, s15
; %bb.267:                              ;   in Loop: Header=BB8_130 Depth=2
	v_bfe_u32 v91, v48, 16, 1
	s_delay_alu instid0(VALU_DEP_1)
	v_add3_u32 v106, v48, v91, 0x7fff
                                        ; implicit-def: $vgpr48
; %bb.268:                              ;   in Loop: Header=BB8_130 Depth=2
	s_and_not1_saveexec_b32 s15, s15
; %bb.269:                              ;   in Loop: Header=BB8_130 Depth=2
	v_and_b32_e32 v91, 0xffff, v48
	v_or_b32_e32 v92, 0x10000, v48
	s_delay_alu instid0(VALU_DEP_2) | instskip(NEXT) | instid1(VALU_DEP_2)
	v_cmp_eq_u32_e32 vcc_lo, 0, v91
	v_cndmask_b32_e32 v106, v92, v48, vcc_lo
; %bb.270:                              ;   in Loop: Header=BB8_130 Depth=2
	s_or_b32 exec_lo, exec_lo, s15
	v_lshlrev_b32_e32 v48, 16, v49
	s_mov_b32 s15, exec_lo
                                        ; implicit-def: $vgpr107
	s_delay_alu instid0(VALU_DEP_1) | instskip(NEXT) | instid1(VALU_DEP_1)
	v_mul_f32_e32 v48, v89, v48
	v_and_b32_e32 v91, 0x7f800000, v48
	s_delay_alu instid0(VALU_DEP_1)
	v_cmpx_ne_u32_e32 0x7f800000, v91
	s_xor_b32 s15, exec_lo, s15
; %bb.271:                              ;   in Loop: Header=BB8_130 Depth=2
	v_bfe_u32 v91, v48, 16, 1
	s_delay_alu instid0(VALU_DEP_1)
	v_add3_u32 v107, v48, v91, 0x7fff
                                        ; implicit-def: $vgpr48
; %bb.272:                              ;   in Loop: Header=BB8_130 Depth=2
	s_and_not1_saveexec_b32 s15, s15
; %bb.273:                              ;   in Loop: Header=BB8_130 Depth=2
	v_and_b32_e32 v91, 0xffff, v48
	v_or_b32_e32 v92, 0x10000, v48
	s_delay_alu instid0(VALU_DEP_2) | instskip(NEXT) | instid1(VALU_DEP_2)
	v_cmp_eq_u32_e32 vcc_lo, 0, v91
	v_cndmask_b32_e32 v107, v92, v48, vcc_lo
; %bb.274:                              ;   in Loop: Header=BB8_130 Depth=2
	s_or_b32 exec_lo, exec_lo, s15
	v_and_b32_e32 v48, 0xffff0000, v49
	s_mov_b32 s15, exec_lo
                                        ; implicit-def: $vgpr104
	s_delay_alu instid0(VALU_DEP_1) | instskip(NEXT) | instid1(VALU_DEP_1)
	v_mul_f32_e32 v48, v89, v48
	v_and_b32_e32 v49, 0x7f800000, v48
	s_delay_alu instid0(VALU_DEP_1)
	v_cmpx_ne_u32_e32 0x7f800000, v49
	s_xor_b32 s15, exec_lo, s15
; %bb.275:                              ;   in Loop: Header=BB8_130 Depth=2
	v_bfe_u32 v49, v48, 16, 1
	s_delay_alu instid0(VALU_DEP_1)
	v_add3_u32 v104, v48, v49, 0x7fff
                                        ; implicit-def: $vgpr48
; %bb.276:                              ;   in Loop: Header=BB8_130 Depth=2
	s_and_not1_saveexec_b32 s15, s15
; %bb.277:                              ;   in Loop: Header=BB8_130 Depth=2
	v_and_b32_e32 v49, 0xffff, v48
	v_or_b32_e32 v91, 0x10000, v48
	s_delay_alu instid0(VALU_DEP_2) | instskip(NEXT) | instid1(VALU_DEP_2)
	v_cmp_eq_u32_e32 vcc_lo, 0, v49
	v_cndmask_b32_e32 v104, v91, v48, vcc_lo
; %bb.278:                              ;   in Loop: Header=BB8_130 Depth=2
	s_or_b32 exec_lo, exec_lo, s15
	v_lshlrev_b32_e32 v48, 16, v50
	s_mov_b32 s15, exec_lo
                                        ; implicit-def: $vgpr105
	s_delay_alu instid0(VALU_DEP_1) | instskip(NEXT) | instid1(VALU_DEP_1)
	v_mul_f32_e32 v48, v89, v48
	v_and_b32_e32 v49, 0x7f800000, v48
	s_delay_alu instid0(VALU_DEP_1)
	v_cmpx_ne_u32_e32 0x7f800000, v49
	s_xor_b32 s15, exec_lo, s15
; %bb.279:                              ;   in Loop: Header=BB8_130 Depth=2
	v_bfe_u32 v49, v48, 16, 1
	s_delay_alu instid0(VALU_DEP_1)
	v_add3_u32 v105, v48, v49, 0x7fff
                                        ; implicit-def: $vgpr48
; %bb.280:                              ;   in Loop: Header=BB8_130 Depth=2
	s_and_not1_saveexec_b32 s15, s15
; %bb.281:                              ;   in Loop: Header=BB8_130 Depth=2
	v_and_b32_e32 v49, 0xffff, v48
	v_or_b32_e32 v91, 0x10000, v48
	s_delay_alu instid0(VALU_DEP_2) | instskip(NEXT) | instid1(VALU_DEP_2)
	v_cmp_eq_u32_e32 vcc_lo, 0, v49
	v_cndmask_b32_e32 v105, v91, v48, vcc_lo
; %bb.282:                              ;   in Loop: Header=BB8_130 Depth=2
	s_or_b32 exec_lo, exec_lo, s15
	v_and_b32_e32 v48, 0xffff0000, v50
	s_mov_b32 s15, exec_lo
                                        ; implicit-def: $vgpr94
	s_delay_alu instid0(VALU_DEP_1) | instskip(NEXT) | instid1(VALU_DEP_1)
	v_mul_f32_e32 v48, v89, v48
	v_and_b32_e32 v49, 0x7f800000, v48
	s_delay_alu instid0(VALU_DEP_1)
	v_cmpx_ne_u32_e32 0x7f800000, v49
	s_xor_b32 s15, exec_lo, s15
; %bb.283:                              ;   in Loop: Header=BB8_130 Depth=2
	v_bfe_u32 v49, v48, 16, 1
	s_delay_alu instid0(VALU_DEP_1)
	v_add3_u32 v94, v48, v49, 0x7fff
                                        ; implicit-def: $vgpr48
; %bb.284:                              ;   in Loop: Header=BB8_130 Depth=2
	s_and_not1_saveexec_b32 s15, s15
; %bb.285:                              ;   in Loop: Header=BB8_130 Depth=2
	v_and_b32_e32 v49, 0xffff, v48
	v_or_b32_e32 v50, 0x10000, v48
	s_delay_alu instid0(VALU_DEP_2) | instskip(NEXT) | instid1(VALU_DEP_2)
	v_cmp_eq_u32_e32 vcc_lo, 0, v49
	v_cndmask_b32_e32 v94, v50, v48, vcc_lo
; %bb.286:                              ;   in Loop: Header=BB8_130 Depth=2
	s_or_b32 exec_lo, exec_lo, s15
	v_lshlrev_b32_e32 v48, 16, v51
	s_mov_b32 s15, exec_lo
                                        ; implicit-def: $vgpr95
	s_delay_alu instid0(VALU_DEP_1) | instskip(NEXT) | instid1(VALU_DEP_1)
	v_mul_f32_e32 v48, v89, v48
	v_and_b32_e32 v49, 0x7f800000, v48
	s_delay_alu instid0(VALU_DEP_1)
	v_cmpx_ne_u32_e32 0x7f800000, v49
	s_xor_b32 s15, exec_lo, s15
; %bb.287:                              ;   in Loop: Header=BB8_130 Depth=2
	v_bfe_u32 v49, v48, 16, 1
	s_delay_alu instid0(VALU_DEP_1)
	v_add3_u32 v95, v48, v49, 0x7fff
                                        ; implicit-def: $vgpr48
; %bb.288:                              ;   in Loop: Header=BB8_130 Depth=2
	s_and_not1_saveexec_b32 s15, s15
; %bb.289:                              ;   in Loop: Header=BB8_130 Depth=2
	v_and_b32_e32 v49, 0xffff, v48
	v_or_b32_e32 v50, 0x10000, v48
	s_delay_alu instid0(VALU_DEP_2) | instskip(NEXT) | instid1(VALU_DEP_2)
	v_cmp_eq_u32_e32 vcc_lo, 0, v49
	v_cndmask_b32_e32 v95, v50, v48, vcc_lo
; %bb.290:                              ;   in Loop: Header=BB8_130 Depth=2
	s_or_b32 exec_lo, exec_lo, s15
	v_and_b32_e32 v48, 0xffff0000, v51
	s_mov_b32 s15, exec_lo
                                        ; implicit-def: $vgpr92
	s_delay_alu instid0(VALU_DEP_1) | instskip(NEXT) | instid1(VALU_DEP_1)
	v_mul_f32_e32 v48, v89, v48
	v_and_b32_e32 v49, 0x7f800000, v48
	s_delay_alu instid0(VALU_DEP_1)
	v_cmpx_ne_u32_e32 0x7f800000, v49
	s_xor_b32 s15, exec_lo, s15
; %bb.291:                              ;   in Loop: Header=BB8_130 Depth=2
	v_bfe_u32 v49, v48, 16, 1
	s_delay_alu instid0(VALU_DEP_1)
	v_add3_u32 v92, v48, v49, 0x7fff
                                        ; implicit-def: $vgpr48
; %bb.292:                              ;   in Loop: Header=BB8_130 Depth=2
	s_and_not1_saveexec_b32 s15, s15
; %bb.293:                              ;   in Loop: Header=BB8_130 Depth=2
	v_and_b32_e32 v49, 0xffff, v48
	v_or_b32_e32 v50, 0x10000, v48
	s_delay_alu instid0(VALU_DEP_2) | instskip(NEXT) | instid1(VALU_DEP_2)
	v_cmp_eq_u32_e32 vcc_lo, 0, v49
	v_cndmask_b32_e32 v92, v50, v48, vcc_lo
; %bb.294:                              ;   in Loop: Header=BB8_130 Depth=2
	s_or_b32 exec_lo, exec_lo, s15
	s_wait_loadcnt 0x2
	v_lshlrev_b32_e32 v48, 16, v36
	s_mov_b32 s15, exec_lo
                                        ; implicit-def: $vgpr93
	s_delay_alu instid0(VALU_DEP_1) | instskip(NEXT) | instid1(VALU_DEP_1)
	v_mul_f32_e32 v48, v89, v48
	v_and_b32_e32 v49, 0x7f800000, v48
	s_delay_alu instid0(VALU_DEP_1)
	v_cmpx_ne_u32_e32 0x7f800000, v49
	s_xor_b32 s15, exec_lo, s15
; %bb.295:                              ;   in Loop: Header=BB8_130 Depth=2
	v_bfe_u32 v49, v48, 16, 1
	s_delay_alu instid0(VALU_DEP_1)
	v_add3_u32 v93, v48, v49, 0x7fff
                                        ; implicit-def: $vgpr48
; %bb.296:                              ;   in Loop: Header=BB8_130 Depth=2
	s_and_not1_saveexec_b32 s15, s15
; %bb.297:                              ;   in Loop: Header=BB8_130 Depth=2
	v_and_b32_e32 v49, 0xffff, v48
	v_or_b32_e32 v50, 0x10000, v48
	s_delay_alu instid0(VALU_DEP_2) | instskip(NEXT) | instid1(VALU_DEP_2)
	v_cmp_eq_u32_e32 vcc_lo, 0, v49
	v_cndmask_b32_e32 v93, v50, v48, vcc_lo
; %bb.298:                              ;   in Loop: Header=BB8_130 Depth=2
	s_or_b32 exec_lo, exec_lo, s15
	v_and_b32_e32 v36, 0xffff0000, v36
	s_mov_b32 s15, exec_lo
                                        ; implicit-def: $vgpr51
	s_delay_alu instid0(VALU_DEP_1) | instskip(NEXT) | instid1(VALU_DEP_1)
	v_mul_f32_e32 v36, v89, v36
	v_and_b32_e32 v48, 0x7f800000, v36
	s_delay_alu instid0(VALU_DEP_1)
	v_cmpx_ne_u32_e32 0x7f800000, v48
	s_xor_b32 s15, exec_lo, s15
; %bb.299:                              ;   in Loop: Header=BB8_130 Depth=2
	v_bfe_u32 v48, v36, 16, 1
	s_delay_alu instid0(VALU_DEP_1)
	v_add3_u32 v51, v36, v48, 0x7fff
                                        ; implicit-def: $vgpr36
; %bb.300:                              ;   in Loop: Header=BB8_130 Depth=2
	s_and_not1_saveexec_b32 s15, s15
; %bb.301:                              ;   in Loop: Header=BB8_130 Depth=2
	v_and_b32_e32 v48, 0xffff, v36
	v_or_b32_e32 v49, 0x10000, v36
	s_delay_alu instid0(VALU_DEP_2) | instskip(NEXT) | instid1(VALU_DEP_2)
	v_cmp_eq_u32_e32 vcc_lo, 0, v48
	v_cndmask_b32_e32 v51, v49, v36, vcc_lo
; %bb.302:                              ;   in Loop: Header=BB8_130 Depth=2
	s_or_b32 exec_lo, exec_lo, s15
	v_lshlrev_b32_e32 v36, 16, v37
	s_mov_b32 s15, exec_lo
                                        ; implicit-def: $vgpr91
	s_delay_alu instid0(VALU_DEP_1) | instskip(NEXT) | instid1(VALU_DEP_1)
	v_mul_f32_e32 v36, v89, v36
	v_and_b32_e32 v48, 0x7f800000, v36
	s_delay_alu instid0(VALU_DEP_1)
	v_cmpx_ne_u32_e32 0x7f800000, v48
	s_xor_b32 s15, exec_lo, s15
; %bb.303:                              ;   in Loop: Header=BB8_130 Depth=2
	v_bfe_u32 v48, v36, 16, 1
	s_delay_alu instid0(VALU_DEP_1)
	v_add3_u32 v91, v36, v48, 0x7fff
                                        ; implicit-def: $vgpr36
; %bb.304:                              ;   in Loop: Header=BB8_130 Depth=2
	s_and_not1_saveexec_b32 s15, s15
; %bb.305:                              ;   in Loop: Header=BB8_130 Depth=2
	v_and_b32_e32 v48, 0xffff, v36
	v_or_b32_e32 v49, 0x10000, v36
	s_delay_alu instid0(VALU_DEP_2) | instskip(NEXT) | instid1(VALU_DEP_2)
	v_cmp_eq_u32_e32 vcc_lo, 0, v48
	v_cndmask_b32_e32 v91, v49, v36, vcc_lo
; %bb.306:                              ;   in Loop: Header=BB8_130 Depth=2
	s_or_b32 exec_lo, exec_lo, s15
	v_and_b32_e32 v36, 0xffff0000, v37
	s_mov_b32 s15, exec_lo
                                        ; implicit-def: $vgpr49
	s_delay_alu instid0(VALU_DEP_1) | instskip(NEXT) | instid1(VALU_DEP_1)
	v_mul_f32_e32 v36, v89, v36
	v_and_b32_e32 v37, 0x7f800000, v36
	s_delay_alu instid0(VALU_DEP_1)
	v_cmpx_ne_u32_e32 0x7f800000, v37
	s_xor_b32 s15, exec_lo, s15
; %bb.307:                              ;   in Loop: Header=BB8_130 Depth=2
	v_bfe_u32 v37, v36, 16, 1
	s_delay_alu instid0(VALU_DEP_1)
	v_add3_u32 v49, v36, v37, 0x7fff
                                        ; implicit-def: $vgpr36
; %bb.308:                              ;   in Loop: Header=BB8_130 Depth=2
	s_and_not1_saveexec_b32 s15, s15
; %bb.309:                              ;   in Loop: Header=BB8_130 Depth=2
	v_and_b32_e32 v37, 0xffff, v36
	v_or_b32_e32 v48, 0x10000, v36
	s_delay_alu instid0(VALU_DEP_2) | instskip(NEXT) | instid1(VALU_DEP_2)
	v_cmp_eq_u32_e32 vcc_lo, 0, v37
	v_cndmask_b32_e32 v49, v48, v36, vcc_lo
; %bb.310:                              ;   in Loop: Header=BB8_130 Depth=2
	s_or_b32 exec_lo, exec_lo, s15
	v_lshlrev_b32_e32 v36, 16, v38
	s_mov_b32 s15, exec_lo
                                        ; implicit-def: $vgpr50
	s_delay_alu instid0(VALU_DEP_1) | instskip(NEXT) | instid1(VALU_DEP_1)
	v_mul_f32_e32 v36, v89, v36
	v_and_b32_e32 v37, 0x7f800000, v36
	s_delay_alu instid0(VALU_DEP_1)
	v_cmpx_ne_u32_e32 0x7f800000, v37
	s_xor_b32 s15, exec_lo, s15
; %bb.311:                              ;   in Loop: Header=BB8_130 Depth=2
	v_bfe_u32 v37, v36, 16, 1
	s_delay_alu instid0(VALU_DEP_1)
	v_add3_u32 v50, v36, v37, 0x7fff
                                        ; implicit-def: $vgpr36
; %bb.312:                              ;   in Loop: Header=BB8_130 Depth=2
	s_and_not1_saveexec_b32 s15, s15
; %bb.313:                              ;   in Loop: Header=BB8_130 Depth=2
	v_and_b32_e32 v37, 0xffff, v36
	v_or_b32_e32 v48, 0x10000, v36
	s_delay_alu instid0(VALU_DEP_2) | instskip(NEXT) | instid1(VALU_DEP_2)
	v_cmp_eq_u32_e32 vcc_lo, 0, v37
	v_cndmask_b32_e32 v50, v48, v36, vcc_lo
; %bb.314:                              ;   in Loop: Header=BB8_130 Depth=2
	s_or_b32 exec_lo, exec_lo, s15
	v_and_b32_e32 v36, 0xffff0000, v38
	s_mov_b32 s15, exec_lo
                                        ; implicit-def: $vgpr38
	s_delay_alu instid0(VALU_DEP_1) | instskip(NEXT) | instid1(VALU_DEP_1)
	v_mul_f32_e32 v36, v89, v36
	v_and_b32_e32 v37, 0x7f800000, v36
	s_delay_alu instid0(VALU_DEP_1)
	v_cmpx_ne_u32_e32 0x7f800000, v37
	s_xor_b32 s15, exec_lo, s15
; %bb.315:                              ;   in Loop: Header=BB8_130 Depth=2
	v_bfe_u32 v37, v36, 16, 1
	s_delay_alu instid0(VALU_DEP_1)
	v_add3_u32 v38, v36, v37, 0x7fff
                                        ; implicit-def: $vgpr36
; %bb.316:                              ;   in Loop: Header=BB8_130 Depth=2
	s_and_not1_saveexec_b32 s15, s15
; %bb.317:                              ;   in Loop: Header=BB8_130 Depth=2
	v_and_b32_e32 v37, 0xffff, v36
	v_or_b32_e32 v38, 0x10000, v36
	s_delay_alu instid0(VALU_DEP_2) | instskip(NEXT) | instid1(VALU_DEP_2)
	v_cmp_eq_u32_e32 vcc_lo, 0, v37
	v_cndmask_b32_e32 v38, v38, v36, vcc_lo
; %bb.318:                              ;   in Loop: Header=BB8_130 Depth=2
	s_or_b32 exec_lo, exec_lo, s15
	v_lshlrev_b32_e32 v36, 16, v39
	s_mov_b32 s15, exec_lo
                                        ; implicit-def: $vgpr48
	s_delay_alu instid0(VALU_DEP_1) | instskip(NEXT) | instid1(VALU_DEP_1)
	v_mul_f32_e32 v36, v89, v36
	v_and_b32_e32 v37, 0x7f800000, v36
	s_delay_alu instid0(VALU_DEP_1)
	v_cmpx_ne_u32_e32 0x7f800000, v37
	s_xor_b32 s15, exec_lo, s15
; %bb.319:                              ;   in Loop: Header=BB8_130 Depth=2
	v_bfe_u32 v37, v36, 16, 1
	s_delay_alu instid0(VALU_DEP_1)
	v_add3_u32 v48, v36, v37, 0x7fff
                                        ; implicit-def: $vgpr36
; %bb.320:                              ;   in Loop: Header=BB8_130 Depth=2
	s_and_not1_saveexec_b32 s15, s15
; %bb.321:                              ;   in Loop: Header=BB8_130 Depth=2
	v_and_b32_e32 v37, 0xffff, v36
	v_or_b32_e32 v48, 0x10000, v36
	s_delay_alu instid0(VALU_DEP_2) | instskip(NEXT) | instid1(VALU_DEP_2)
	v_cmp_eq_u32_e32 vcc_lo, 0, v37
	v_cndmask_b32_e32 v48, v48, v36, vcc_lo
; %bb.322:                              ;   in Loop: Header=BB8_130 Depth=2
	s_or_b32 exec_lo, exec_lo, s15
	v_and_b32_e32 v36, 0xffff0000, v39
	s_delay_alu instid0(VALU_DEP_1) | instskip(NEXT) | instid1(VALU_DEP_1)
	v_mul_f32_e32 v36, v89, v36
	v_and_b32_e32 v37, 0x7f800000, v36
	s_delay_alu instid0(VALU_DEP_1) | instskip(SKIP_1) | instid1(SALU_CYCLE_1)
	v_cmp_ne_u32_e32 vcc_lo, 0x7f800000, v37
                                        ; implicit-def: $vgpr37
	s_and_saveexec_b32 s15, vcc_lo
	s_xor_b32 s15, exec_lo, s15
; %bb.323:                              ;   in Loop: Header=BB8_130 Depth=2
	v_bfe_u32 v37, v36, 16, 1
	s_delay_alu instid0(VALU_DEP_1)
	v_add3_u32 v37, v36, v37, 0x7fff
                                        ; implicit-def: $vgpr36
; %bb.324:                              ;   in Loop: Header=BB8_130 Depth=2
	s_and_not1_saveexec_b32 s15, s15
; %bb.325:                              ;   in Loop: Header=BB8_130 Depth=2
	v_and_b32_e32 v37, 0xffff, v36
	v_or_b32_e32 v39, 0x10000, v36
	s_delay_alu instid0(VALU_DEP_2) | instskip(NEXT) | instid1(VALU_DEP_2)
	v_cmp_eq_u32_e32 vcc_lo, 0, v37
	v_cndmask_b32_e32 v37, v39, v36, vcc_lo
; %bb.326:                              ;   in Loop: Header=BB8_130 Depth=2
	s_or_b32 exec_lo, exec_lo, s15
	v_and_b32_e32 v36, 0xffff0000, v108
	s_wait_loadcnt 0x1
	v_lshlrev_b32_e32 v39, 16, v26
	s_delay_alu instid0(VALU_DEP_1) | instskip(NEXT) | instid1(VALU_DEP_1)
	v_add_f32_e32 v39, v39, v36
	v_and_b32_e32 v36, 0x7f800000, v39
	s_delay_alu instid0(VALU_DEP_1) | instskip(SKIP_1) | instid1(SALU_CYCLE_1)
	v_cmp_ne_u32_e32 vcc_lo, 0x7f800000, v36
                                        ; implicit-def: $vgpr36
	s_and_saveexec_b32 s15, vcc_lo
	s_xor_b32 s15, exec_lo, s15
; %bb.327:                              ;   in Loop: Header=BB8_130 Depth=2
	v_bfe_u32 v36, v39, 16, 1
	s_delay_alu instid0(VALU_DEP_1)
	v_add3_u32 v36, v39, v36, 0x7fff
                                        ; implicit-def: $vgpr39
; %bb.328:                              ;   in Loop: Header=BB8_130 Depth=2
	s_and_not1_saveexec_b32 s15, s15
; %bb.329:                              ;   in Loop: Header=BB8_130 Depth=2
	v_and_b32_e32 v36, 0xffff, v39
	v_or_b32_e32 v108, 0x10000, v39
	s_delay_alu instid0(VALU_DEP_2) | instskip(NEXT) | instid1(VALU_DEP_2)
	v_cmp_eq_u32_e32 vcc_lo, 0, v36
	v_cndmask_b32_e32 v36, v108, v39, vcc_lo
; %bb.330:                              ;   in Loop: Header=BB8_130 Depth=2
	s_or_b32 exec_lo, exec_lo, s15
	v_and_b32_e32 v26, 0xffff0000, v26
	v_and_b32_e32 v39, 0xffff0000, v106
	s_delay_alu instid0(VALU_DEP_1) | instskip(NEXT) | instid1(VALU_DEP_1)
	v_add_f32_e32 v39, v26, v39
	v_and_b32_e32 v26, 0x7f800000, v39
	s_delay_alu instid0(VALU_DEP_1) | instskip(SKIP_1) | instid1(SALU_CYCLE_1)
	v_cmp_ne_u32_e32 vcc_lo, 0x7f800000, v26
                                        ; implicit-def: $vgpr26
	s_and_saveexec_b32 s15, vcc_lo
	s_xor_b32 s15, exec_lo, s15
; %bb.331:                              ;   in Loop: Header=BB8_130 Depth=2
	v_bfe_u32 v26, v39, 16, 1
	s_delay_alu instid0(VALU_DEP_1)
	v_add3_u32 v26, v39, v26, 0x7fff
                                        ; implicit-def: $vgpr39
; %bb.332:                              ;   in Loop: Header=BB8_130 Depth=2
	s_and_not1_saveexec_b32 s15, s15
; %bb.333:                              ;   in Loop: Header=BB8_130 Depth=2
	v_and_b32_e32 v26, 0xffff, v39
	v_or_b32_e32 v106, 0x10000, v39
	s_delay_alu instid0(VALU_DEP_2) | instskip(NEXT) | instid1(VALU_DEP_2)
	v_cmp_eq_u32_e32 vcc_lo, 0, v26
	v_cndmask_b32_e32 v26, v106, v39, vcc_lo
; %bb.334:                              ;   in Loop: Header=BB8_130 Depth=2
	s_or_b32 exec_lo, exec_lo, s15
	v_and_b32_e32 v39, 0xffff0000, v107
	v_lshlrev_b32_e32 v106, 16, v27
	s_delay_alu instid0(VALU_DEP_1) | instskip(NEXT) | instid1(VALU_DEP_1)
	v_add_f32_e32 v106, v106, v39
	v_and_b32_e32 v39, 0x7f800000, v106
	s_delay_alu instid0(VALU_DEP_1) | instskip(SKIP_1) | instid1(SALU_CYCLE_1)
	v_cmp_ne_u32_e32 vcc_lo, 0x7f800000, v39
                                        ; implicit-def: $vgpr39
	s_and_saveexec_b32 s15, vcc_lo
	s_xor_b32 s15, exec_lo, s15
; %bb.335:                              ;   in Loop: Header=BB8_130 Depth=2
	v_bfe_u32 v39, v106, 16, 1
	s_delay_alu instid0(VALU_DEP_1)
	v_add3_u32 v39, v106, v39, 0x7fff
                                        ; implicit-def: $vgpr106
; %bb.336:                              ;   in Loop: Header=BB8_130 Depth=2
	s_and_not1_saveexec_b32 s15, s15
; %bb.337:                              ;   in Loop: Header=BB8_130 Depth=2
	v_and_b32_e32 v39, 0xffff, v106
	v_or_b32_e32 v107, 0x10000, v106
	s_delay_alu instid0(VALU_DEP_2) | instskip(NEXT) | instid1(VALU_DEP_2)
	v_cmp_eq_u32_e32 vcc_lo, 0, v39
	v_cndmask_b32_e32 v39, v107, v106, vcc_lo
; %bb.338:                              ;   in Loop: Header=BB8_130 Depth=2
	s_or_b32 exec_lo, exec_lo, s15
	v_and_b32_e32 v27, 0xffff0000, v27
	v_and_b32_e32 v104, 0xffff0000, v104
	s_delay_alu instid0(VALU_DEP_1) | instskip(NEXT) | instid1(VALU_DEP_1)
	v_add_f32_e32 v104, v27, v104
	v_and_b32_e32 v27, 0x7f800000, v104
	s_delay_alu instid0(VALU_DEP_1) | instskip(SKIP_1) | instid1(SALU_CYCLE_1)
	v_cmp_ne_u32_e32 vcc_lo, 0x7f800000, v27
                                        ; implicit-def: $vgpr27
	s_and_saveexec_b32 s15, vcc_lo
	s_xor_b32 s15, exec_lo, s15
; %bb.339:                              ;   in Loop: Header=BB8_130 Depth=2
	v_bfe_u32 v27, v104, 16, 1
	s_delay_alu instid0(VALU_DEP_1)
	v_add3_u32 v27, v104, v27, 0x7fff
                                        ; implicit-def: $vgpr104
; %bb.340:                              ;   in Loop: Header=BB8_130 Depth=2
	s_and_not1_saveexec_b32 s15, s15
; %bb.341:                              ;   in Loop: Header=BB8_130 Depth=2
	v_and_b32_e32 v27, 0xffff, v104
	v_or_b32_e32 v106, 0x10000, v104
	s_delay_alu instid0(VALU_DEP_2) | instskip(NEXT) | instid1(VALU_DEP_2)
	v_cmp_eq_u32_e32 vcc_lo, 0, v27
	v_cndmask_b32_e32 v27, v106, v104, vcc_lo
; %bb.342:                              ;   in Loop: Header=BB8_130 Depth=2
	s_or_b32 exec_lo, exec_lo, s15
	v_and_b32_e32 v104, 0xffff0000, v105
	v_lshlrev_b32_e32 v105, 16, v28
	s_delay_alu instid0(VALU_DEP_1) | instskip(NEXT) | instid1(VALU_DEP_1)
	v_add_f32_e32 v105, v105, v104
	v_and_b32_e32 v104, 0x7f800000, v105
	s_delay_alu instid0(VALU_DEP_1) | instskip(SKIP_1) | instid1(SALU_CYCLE_1)
	v_cmp_ne_u32_e32 vcc_lo, 0x7f800000, v104
                                        ; implicit-def: $vgpr104
	s_and_saveexec_b32 s15, vcc_lo
	s_xor_b32 s15, exec_lo, s15
; %bb.343:                              ;   in Loop: Header=BB8_130 Depth=2
	v_bfe_u32 v104, v105, 16, 1
	s_delay_alu instid0(VALU_DEP_1)
	v_add3_u32 v104, v105, v104, 0x7fff
                                        ; implicit-def: $vgpr105
; %bb.344:                              ;   in Loop: Header=BB8_130 Depth=2
	s_and_not1_saveexec_b32 s15, s15
; %bb.345:                              ;   in Loop: Header=BB8_130 Depth=2
	v_and_b32_e32 v104, 0xffff, v105
	v_or_b32_e32 v106, 0x10000, v105
	s_delay_alu instid0(VALU_DEP_2) | instskip(NEXT) | instid1(VALU_DEP_2)
	v_cmp_eq_u32_e32 vcc_lo, 0, v104
	v_cndmask_b32_e32 v104, v106, v105, vcc_lo
; %bb.346:                              ;   in Loop: Header=BB8_130 Depth=2
	s_or_b32 exec_lo, exec_lo, s15
	v_and_b32_e32 v28, 0xffff0000, v28
	v_and_b32_e32 v94, 0xffff0000, v94
	s_delay_alu instid0(VALU_DEP_1) | instskip(NEXT) | instid1(VALU_DEP_1)
	v_add_f32_e32 v94, v28, v94
	v_and_b32_e32 v28, 0x7f800000, v94
	s_delay_alu instid0(VALU_DEP_1) | instskip(SKIP_1) | instid1(SALU_CYCLE_1)
	v_cmp_ne_u32_e32 vcc_lo, 0x7f800000, v28
                                        ; implicit-def: $vgpr28
	s_and_saveexec_b32 s15, vcc_lo
	s_xor_b32 s15, exec_lo, s15
; %bb.347:                              ;   in Loop: Header=BB8_130 Depth=2
	v_bfe_u32 v28, v94, 16, 1
	s_delay_alu instid0(VALU_DEP_1)
	v_add3_u32 v28, v94, v28, 0x7fff
                                        ; implicit-def: $vgpr94
; %bb.348:                              ;   in Loop: Header=BB8_130 Depth=2
	s_and_not1_saveexec_b32 s15, s15
; %bb.349:                              ;   in Loop: Header=BB8_130 Depth=2
	v_and_b32_e32 v28, 0xffff, v94
	v_or_b32_e32 v105, 0x10000, v94
	s_delay_alu instid0(VALU_DEP_2) | instskip(NEXT) | instid1(VALU_DEP_2)
	v_cmp_eq_u32_e32 vcc_lo, 0, v28
	v_cndmask_b32_e32 v28, v105, v94, vcc_lo
; %bb.350:                              ;   in Loop: Header=BB8_130 Depth=2
	s_or_b32 exec_lo, exec_lo, s15
	v_and_b32_e32 v94, 0xffff0000, v95
	v_lshlrev_b32_e32 v95, 16, v29
	s_delay_alu instid0(VALU_DEP_1) | instskip(NEXT) | instid1(VALU_DEP_1)
	v_add_f32_e32 v95, v95, v94
	v_and_b32_e32 v94, 0x7f800000, v95
	s_delay_alu instid0(VALU_DEP_1) | instskip(SKIP_1) | instid1(SALU_CYCLE_1)
	v_cmp_ne_u32_e32 vcc_lo, 0x7f800000, v94
                                        ; implicit-def: $vgpr94
	s_and_saveexec_b32 s15, vcc_lo
	s_xor_b32 s15, exec_lo, s15
; %bb.351:                              ;   in Loop: Header=BB8_130 Depth=2
	v_bfe_u32 v94, v95, 16, 1
	s_delay_alu instid0(VALU_DEP_1)
	v_add3_u32 v94, v95, v94, 0x7fff
                                        ; implicit-def: $vgpr95
; %bb.352:                              ;   in Loop: Header=BB8_130 Depth=2
	s_and_not1_saveexec_b32 s15, s15
; %bb.353:                              ;   in Loop: Header=BB8_130 Depth=2
	v_and_b32_e32 v94, 0xffff, v95
	v_or_b32_e32 v105, 0x10000, v95
	s_delay_alu instid0(VALU_DEP_2) | instskip(NEXT) | instid1(VALU_DEP_2)
	v_cmp_eq_u32_e32 vcc_lo, 0, v94
	v_cndmask_b32_e32 v94, v105, v95, vcc_lo
; %bb.354:                              ;   in Loop: Header=BB8_130 Depth=2
	s_or_b32 exec_lo, exec_lo, s15
	v_and_b32_e32 v29, 0xffff0000, v29
	v_and_b32_e32 v92, 0xffff0000, v92
	s_delay_alu instid0(VALU_DEP_1) | instskip(NEXT) | instid1(VALU_DEP_1)
	v_add_f32_e32 v92, v29, v92
	v_and_b32_e32 v29, 0x7f800000, v92
	s_delay_alu instid0(VALU_DEP_1) | instskip(SKIP_1) | instid1(SALU_CYCLE_1)
	v_cmp_ne_u32_e32 vcc_lo, 0x7f800000, v29
                                        ; implicit-def: $vgpr29
	s_and_saveexec_b32 s15, vcc_lo
	s_xor_b32 s15, exec_lo, s15
; %bb.355:                              ;   in Loop: Header=BB8_130 Depth=2
	v_bfe_u32 v29, v92, 16, 1
	s_delay_alu instid0(VALU_DEP_1)
	v_add3_u32 v29, v92, v29, 0x7fff
                                        ; implicit-def: $vgpr92
; %bb.356:                              ;   in Loop: Header=BB8_130 Depth=2
	s_and_not1_saveexec_b32 s15, s15
; %bb.357:                              ;   in Loop: Header=BB8_130 Depth=2
	v_and_b32_e32 v29, 0xffff, v92
	v_or_b32_e32 v95, 0x10000, v92
	s_delay_alu instid0(VALU_DEP_2) | instskip(NEXT) | instid1(VALU_DEP_2)
	v_cmp_eq_u32_e32 vcc_lo, 0, v29
	v_cndmask_b32_e32 v29, v95, v92, vcc_lo
; %bb.358:                              ;   in Loop: Header=BB8_130 Depth=2
	s_or_b32 exec_lo, exec_lo, s15
	v_and_b32_e32 v92, 0xffff0000, v93
	s_wait_loadcnt 0x0
	v_lshlrev_b32_e32 v93, 16, v22
	s_delay_alu instid0(VALU_DEP_1) | instskip(NEXT) | instid1(VALU_DEP_1)
	v_add_f32_e32 v93, v93, v92
	v_and_b32_e32 v92, 0x7f800000, v93
	s_delay_alu instid0(VALU_DEP_1) | instskip(SKIP_1) | instid1(SALU_CYCLE_1)
	v_cmp_ne_u32_e32 vcc_lo, 0x7f800000, v92
                                        ; implicit-def: $vgpr92
	s_and_saveexec_b32 s15, vcc_lo
	s_xor_b32 s15, exec_lo, s15
; %bb.359:                              ;   in Loop: Header=BB8_130 Depth=2
	v_bfe_u32 v92, v93, 16, 1
	s_delay_alu instid0(VALU_DEP_1)
	v_add3_u32 v92, v93, v92, 0x7fff
                                        ; implicit-def: $vgpr93
; %bb.360:                              ;   in Loop: Header=BB8_130 Depth=2
	s_and_not1_saveexec_b32 s15, s15
; %bb.361:                              ;   in Loop: Header=BB8_130 Depth=2
	v_and_b32_e32 v92, 0xffff, v93
	v_or_b32_e32 v95, 0x10000, v93
	s_delay_alu instid0(VALU_DEP_2) | instskip(NEXT) | instid1(VALU_DEP_2)
	v_cmp_eq_u32_e32 vcc_lo, 0, v92
	v_cndmask_b32_e32 v92, v95, v93, vcc_lo
; %bb.362:                              ;   in Loop: Header=BB8_130 Depth=2
	s_or_b32 exec_lo, exec_lo, s15
	v_and_b32_e32 v22, 0xffff0000, v22
	v_and_b32_e32 v51, 0xffff0000, v51
	s_delay_alu instid0(VALU_DEP_1) | instskip(NEXT) | instid1(VALU_DEP_1)
	v_add_f32_e32 v51, v22, v51
	v_and_b32_e32 v22, 0x7f800000, v51
	s_delay_alu instid0(VALU_DEP_1) | instskip(SKIP_1) | instid1(SALU_CYCLE_1)
	v_cmp_ne_u32_e32 vcc_lo, 0x7f800000, v22
                                        ; implicit-def: $vgpr22
	s_and_saveexec_b32 s15, vcc_lo
	s_xor_b32 s15, exec_lo, s15
; %bb.363:                              ;   in Loop: Header=BB8_130 Depth=2
	v_bfe_u32 v22, v51, 16, 1
	s_delay_alu instid0(VALU_DEP_1)
	v_add3_u32 v22, v51, v22, 0x7fff
                                        ; implicit-def: $vgpr51
; %bb.364:                              ;   in Loop: Header=BB8_130 Depth=2
	s_and_not1_saveexec_b32 s15, s15
; %bb.365:                              ;   in Loop: Header=BB8_130 Depth=2
	v_and_b32_e32 v22, 0xffff, v51
	v_or_b32_e32 v93, 0x10000, v51
	s_delay_alu instid0(VALU_DEP_2) | instskip(NEXT) | instid1(VALU_DEP_2)
	v_cmp_eq_u32_e32 vcc_lo, 0, v22
	v_cndmask_b32_e32 v22, v93, v51, vcc_lo
; %bb.366:                              ;   in Loop: Header=BB8_130 Depth=2
	s_or_b32 exec_lo, exec_lo, s15
	v_and_b32_e32 v51, 0xffff0000, v91
	v_lshlrev_b32_e32 v91, 16, v23
	s_delay_alu instid0(VALU_DEP_1) | instskip(NEXT) | instid1(VALU_DEP_1)
	v_add_f32_e32 v91, v91, v51
	v_and_b32_e32 v51, 0x7f800000, v91
	s_delay_alu instid0(VALU_DEP_1) | instskip(SKIP_1) | instid1(SALU_CYCLE_1)
	v_cmp_ne_u32_e32 vcc_lo, 0x7f800000, v51
                                        ; implicit-def: $vgpr51
	s_and_saveexec_b32 s15, vcc_lo
	s_xor_b32 s15, exec_lo, s15
; %bb.367:                              ;   in Loop: Header=BB8_130 Depth=2
	v_bfe_u32 v51, v91, 16, 1
	s_delay_alu instid0(VALU_DEP_1)
	v_add3_u32 v51, v91, v51, 0x7fff
                                        ; implicit-def: $vgpr91
; %bb.368:                              ;   in Loop: Header=BB8_130 Depth=2
	s_and_not1_saveexec_b32 s15, s15
; %bb.369:                              ;   in Loop: Header=BB8_130 Depth=2
	v_and_b32_e32 v51, 0xffff, v91
	v_or_b32_e32 v93, 0x10000, v91
	s_delay_alu instid0(VALU_DEP_2) | instskip(NEXT) | instid1(VALU_DEP_2)
	v_cmp_eq_u32_e32 vcc_lo, 0, v51
	v_cndmask_b32_e32 v51, v93, v91, vcc_lo
; %bb.370:                              ;   in Loop: Header=BB8_130 Depth=2
	s_or_b32 exec_lo, exec_lo, s15
	v_and_b32_e32 v23, 0xffff0000, v23
	v_and_b32_e32 v49, 0xffff0000, v49
	s_delay_alu instid0(VALU_DEP_1) | instskip(NEXT) | instid1(VALU_DEP_1)
	v_add_f32_e32 v49, v23, v49
	v_and_b32_e32 v23, 0x7f800000, v49
	s_delay_alu instid0(VALU_DEP_1) | instskip(SKIP_1) | instid1(SALU_CYCLE_1)
	v_cmp_ne_u32_e32 vcc_lo, 0x7f800000, v23
                                        ; implicit-def: $vgpr23
	s_and_saveexec_b32 s15, vcc_lo
	s_xor_b32 s15, exec_lo, s15
; %bb.371:                              ;   in Loop: Header=BB8_130 Depth=2
	v_bfe_u32 v23, v49, 16, 1
	s_delay_alu instid0(VALU_DEP_1)
	v_add3_u32 v23, v49, v23, 0x7fff
                                        ; implicit-def: $vgpr49
; %bb.372:                              ;   in Loop: Header=BB8_130 Depth=2
	s_and_not1_saveexec_b32 s15, s15
; %bb.373:                              ;   in Loop: Header=BB8_130 Depth=2
	v_and_b32_e32 v23, 0xffff, v49
	v_or_b32_e32 v91, 0x10000, v49
	s_delay_alu instid0(VALU_DEP_2) | instskip(NEXT) | instid1(VALU_DEP_2)
	v_cmp_eq_u32_e32 vcc_lo, 0, v23
	v_cndmask_b32_e32 v23, v91, v49, vcc_lo
; %bb.374:                              ;   in Loop: Header=BB8_130 Depth=2
	s_or_b32 exec_lo, exec_lo, s15
	v_and_b32_e32 v49, 0xffff0000, v50
	v_lshlrev_b32_e32 v50, 16, v24
	s_delay_alu instid0(VALU_DEP_1) | instskip(NEXT) | instid1(VALU_DEP_1)
	v_add_f32_e32 v50, v50, v49
	v_and_b32_e32 v49, 0x7f800000, v50
	s_delay_alu instid0(VALU_DEP_1) | instskip(SKIP_1) | instid1(SALU_CYCLE_1)
	v_cmp_ne_u32_e32 vcc_lo, 0x7f800000, v49
                                        ; implicit-def: $vgpr49
	s_and_saveexec_b32 s15, vcc_lo
	s_xor_b32 s15, exec_lo, s15
; %bb.375:                              ;   in Loop: Header=BB8_130 Depth=2
	v_bfe_u32 v49, v50, 16, 1
	s_delay_alu instid0(VALU_DEP_1)
	v_add3_u32 v49, v50, v49, 0x7fff
                                        ; implicit-def: $vgpr50
; %bb.376:                              ;   in Loop: Header=BB8_130 Depth=2
	s_and_not1_saveexec_b32 s15, s15
; %bb.377:                              ;   in Loop: Header=BB8_130 Depth=2
	v_and_b32_e32 v49, 0xffff, v50
	v_or_b32_e32 v91, 0x10000, v50
	s_delay_alu instid0(VALU_DEP_2) | instskip(NEXT) | instid1(VALU_DEP_2)
	v_cmp_eq_u32_e32 vcc_lo, 0, v49
	v_cndmask_b32_e32 v49, v91, v50, vcc_lo
; %bb.378:                              ;   in Loop: Header=BB8_130 Depth=2
	s_or_b32 exec_lo, exec_lo, s15
	v_and_b32_e32 v24, 0xffff0000, v24
	v_and_b32_e32 v38, 0xffff0000, v38
	s_delay_alu instid0(VALU_DEP_1) | instskip(NEXT) | instid1(VALU_DEP_1)
	v_add_f32_e32 v38, v24, v38
	v_and_b32_e32 v24, 0x7f800000, v38
	s_delay_alu instid0(VALU_DEP_1) | instskip(SKIP_1) | instid1(SALU_CYCLE_1)
	v_cmp_ne_u32_e32 vcc_lo, 0x7f800000, v24
                                        ; implicit-def: $vgpr24
	s_and_saveexec_b32 s15, vcc_lo
	s_xor_b32 s15, exec_lo, s15
; %bb.379:                              ;   in Loop: Header=BB8_130 Depth=2
	v_bfe_u32 v24, v38, 16, 1
	s_delay_alu instid0(VALU_DEP_1)
	v_add3_u32 v24, v38, v24, 0x7fff
                                        ; implicit-def: $vgpr38
; %bb.380:                              ;   in Loop: Header=BB8_130 Depth=2
	s_and_not1_saveexec_b32 s15, s15
; %bb.381:                              ;   in Loop: Header=BB8_130 Depth=2
	v_and_b32_e32 v24, 0xffff, v38
	v_or_b32_e32 v50, 0x10000, v38
	s_delay_alu instid0(VALU_DEP_2) | instskip(NEXT) | instid1(VALU_DEP_2)
	v_cmp_eq_u32_e32 vcc_lo, 0, v24
	v_cndmask_b32_e32 v24, v50, v38, vcc_lo
; %bb.382:                              ;   in Loop: Header=BB8_130 Depth=2
	s_or_b32 exec_lo, exec_lo, s15
	v_and_b32_e32 v38, 0xffff0000, v48
	v_lshlrev_b32_e32 v48, 16, v25
	s_delay_alu instid0(VALU_DEP_1) | instskip(NEXT) | instid1(VALU_DEP_1)
	v_add_f32_e32 v48, v48, v38
	v_and_b32_e32 v38, 0x7f800000, v48
	s_delay_alu instid0(VALU_DEP_1) | instskip(SKIP_1) | instid1(SALU_CYCLE_1)
	v_cmp_ne_u32_e32 vcc_lo, 0x7f800000, v38
                                        ; implicit-def: $vgpr38
	s_and_saveexec_b32 s15, vcc_lo
	s_xor_b32 s15, exec_lo, s15
; %bb.383:                              ;   in Loop: Header=BB8_130 Depth=2
	v_bfe_u32 v38, v48, 16, 1
	s_delay_alu instid0(VALU_DEP_1)
	v_add3_u32 v38, v48, v38, 0x7fff
                                        ; implicit-def: $vgpr48
; %bb.384:                              ;   in Loop: Header=BB8_130 Depth=2
	s_and_not1_saveexec_b32 s15, s15
; %bb.385:                              ;   in Loop: Header=BB8_130 Depth=2
	v_and_b32_e32 v38, 0xffff, v48
	v_or_b32_e32 v50, 0x10000, v48
	s_delay_alu instid0(VALU_DEP_2) | instskip(NEXT) | instid1(VALU_DEP_2)
	v_cmp_eq_u32_e32 vcc_lo, 0, v38
	v_cndmask_b32_e32 v38, v50, v48, vcc_lo
; %bb.386:                              ;   in Loop: Header=BB8_130 Depth=2
	s_or_b32 exec_lo, exec_lo, s15
	v_and_b32_e32 v25, 0xffff0000, v25
	v_and_b32_e32 v37, 0xffff0000, v37
	s_delay_alu instid0(VALU_DEP_1) | instskip(NEXT) | instid1(VALU_DEP_1)
	v_add_f32_e32 v37, v25, v37
	v_and_b32_e32 v25, 0x7f800000, v37
	s_delay_alu instid0(VALU_DEP_1) | instskip(SKIP_1) | instid1(SALU_CYCLE_1)
	v_cmp_ne_u32_e32 vcc_lo, 0x7f800000, v25
                                        ; implicit-def: $vgpr25
	s_and_saveexec_b32 s15, vcc_lo
	s_xor_b32 s15, exec_lo, s15
; %bb.387:                              ;   in Loop: Header=BB8_130 Depth=2
	v_bfe_u32 v25, v37, 16, 1
	s_delay_alu instid0(VALU_DEP_1)
	v_add3_u32 v25, v37, v25, 0x7fff
                                        ; implicit-def: $vgpr37
; %bb.388:                              ;   in Loop: Header=BB8_130 Depth=2
	s_and_not1_saveexec_b32 s15, s15
	s_cbranch_execz .LBB8_129
; %bb.389:                              ;   in Loop: Header=BB8_130 Depth=2
	v_and_b32_e32 v25, 0xffff, v37
	v_or_b32_e32 v48, 0x10000, v37
	s_delay_alu instid0(VALU_DEP_2) | instskip(NEXT) | instid1(VALU_DEP_2)
	v_cmp_eq_u32_e32 vcc_lo, 0, v25
	v_cndmask_b32_e32 v25, v48, v37, vcc_lo
	s_branch .LBB8_129
.LBB8_390:                              ;   in Loop: Header=BB8_49 Depth=1
	v_dual_mov_b32 v10, v0 :: v_dual_mov_b32 v21, v73
	s_and_saveexec_b32 s14, s13
	s_cbranch_execnz .LBB8_734
	s_branch .LBB8_973
.LBB8_391:                              ;   in Loop: Header=BB8_49 Depth=1
	s_or_b32 exec_lo, exec_lo, s11
	s_delay_alu instid0(SALU_CYCLE_1)
	s_and_b32 s11, s12, exec_lo
.LBB8_392:                              ;   in Loop: Header=BB8_49 Depth=1
	s_or_b32 exec_lo, exec_lo, s10
	s_and_saveexec_b32 s10, s11
	s_cbranch_execz .LBB8_522
; %bb.393:                              ;   in Loop: Header=BB8_49 Depth=1
	s_trap 2
	ds_load_b32 v22, v0
	s_mov_b32 s11, exec_lo
                                        ; implicit-def: $vgpr48
	s_wait_dscnt 0x0
	v_dual_lshlrev_b32 v23, 16, v22 :: v_dual_lshlrev_b32 v22, 16, v32
	s_delay_alu instid0(VALU_DEP_1) | instskip(NEXT) | instid1(VALU_DEP_1)
	v_mov_b32_e32 v24, v23
	v_pk_mul_f32 v[24:25], v[24:25], v[22:23]
	s_delay_alu instid0(VALU_DEP_1) | instskip(NEXT) | instid1(VALU_DEP_1)
	v_and_b32_e32 v22, 0x7f800000, v24
	v_cmpx_ne_u32_e32 0x7f800000, v22
	s_xor_b32 s11, exec_lo, s11
; %bb.394:                              ;   in Loop: Header=BB8_49 Depth=1
	v_bfe_u32 v22, v24, 16, 1
	s_delay_alu instid0(VALU_DEP_1)
	v_add3_u32 v48, v24, v22, 0x7fff
                                        ; implicit-def: $vgpr24_vgpr25
; %bb.395:                              ;   in Loop: Header=BB8_49 Depth=1
	s_and_not1_saveexec_b32 s11, s11
; %bb.396:                              ;   in Loop: Header=BB8_49 Depth=1
	v_and_b32_e32 v22, 0xffff, v24
	v_or_b32_e32 v25, 0x10000, v24
	s_delay_alu instid0(VALU_DEP_2) | instskip(NEXT) | instid1(VALU_DEP_2)
	v_cmp_eq_u32_e32 vcc_lo, 0, v22
	v_cndmask_b32_e32 v48, v25, v24, vcc_lo
; %bb.397:                              ;   in Loop: Header=BB8_49 Depth=1
	s_or_b32 exec_lo, exec_lo, s11
	v_and_b32_e32 v22, 0xffff0000, v32
	s_mov_b32 s11, exec_lo
                                        ; implicit-def: $vgpr38
	s_delay_alu instid0(VALU_DEP_1) | instskip(NEXT) | instid1(VALU_DEP_1)
	v_mul_f32_e32 v22, v23, v22
	v_and_b32_e32 v24, 0x7f800000, v22
	s_delay_alu instid0(VALU_DEP_1)
	v_cmpx_ne_u32_e32 0x7f800000, v24
	s_xor_b32 s11, exec_lo, s11
; %bb.398:                              ;   in Loop: Header=BB8_49 Depth=1
	v_bfe_u32 v24, v22, 16, 1
	s_delay_alu instid0(VALU_DEP_1)
	v_add3_u32 v38, v22, v24, 0x7fff
                                        ; implicit-def: $vgpr22
; %bb.399:                              ;   in Loop: Header=BB8_49 Depth=1
	s_and_not1_saveexec_b32 s11, s11
; %bb.400:                              ;   in Loop: Header=BB8_49 Depth=1
	v_and_b32_e32 v24, 0xffff, v22
	v_or_b32_e32 v25, 0x10000, v22
	s_delay_alu instid0(VALU_DEP_2) | instskip(NEXT) | instid1(VALU_DEP_2)
	v_cmp_eq_u32_e32 vcc_lo, 0, v24
	v_cndmask_b32_e32 v38, v25, v22, vcc_lo
; %bb.401:                              ;   in Loop: Header=BB8_49 Depth=1
	s_or_b32 exec_lo, exec_lo, s11
	v_lshlrev_b32_e32 v22, 16, v33
	s_mov_b32 s11, exec_lo
                                        ; implicit-def: $vgpr39
	s_delay_alu instid0(VALU_DEP_1) | instskip(NEXT) | instid1(VALU_DEP_1)
	v_mul_f32_e32 v22, v23, v22
	v_and_b32_e32 v24, 0x7f800000, v22
	s_delay_alu instid0(VALU_DEP_1)
	v_cmpx_ne_u32_e32 0x7f800000, v24
	s_xor_b32 s11, exec_lo, s11
; %bb.402:                              ;   in Loop: Header=BB8_49 Depth=1
	v_bfe_u32 v24, v22, 16, 1
	s_delay_alu instid0(VALU_DEP_1)
	v_add3_u32 v39, v22, v24, 0x7fff
                                        ; implicit-def: $vgpr22
; %bb.403:                              ;   in Loop: Header=BB8_49 Depth=1
	s_and_not1_saveexec_b32 s11, s11
; %bb.404:                              ;   in Loop: Header=BB8_49 Depth=1
	v_and_b32_e32 v24, 0xffff, v22
	v_or_b32_e32 v25, 0x10000, v22
	s_delay_alu instid0(VALU_DEP_2) | instskip(NEXT) | instid1(VALU_DEP_2)
	v_cmp_eq_u32_e32 vcc_lo, 0, v24
	v_cndmask_b32_e32 v39, v25, v22, vcc_lo
; %bb.405:                              ;   in Loop: Header=BB8_49 Depth=1
	s_or_b32 exec_lo, exec_lo, s11
	v_and_b32_e32 v22, 0xffff0000, v33
	s_mov_b32 s11, exec_lo
                                        ; implicit-def: $vgpr36
	s_delay_alu instid0(VALU_DEP_1) | instskip(NEXT) | instid1(VALU_DEP_1)
	v_mul_f32_e32 v22, v23, v22
	v_and_b32_e32 v24, 0x7f800000, v22
	s_delay_alu instid0(VALU_DEP_1)
	v_cmpx_ne_u32_e32 0x7f800000, v24
	s_xor_b32 s11, exec_lo, s11
; %bb.406:                              ;   in Loop: Header=BB8_49 Depth=1
	v_bfe_u32 v24, v22, 16, 1
	s_delay_alu instid0(VALU_DEP_1)
	v_add3_u32 v36, v22, v24, 0x7fff
                                        ; implicit-def: $vgpr22
; %bb.407:                              ;   in Loop: Header=BB8_49 Depth=1
	s_and_not1_saveexec_b32 s11, s11
; %bb.408:                              ;   in Loop: Header=BB8_49 Depth=1
	v_and_b32_e32 v24, 0xffff, v22
	v_or_b32_e32 v25, 0x10000, v22
	s_delay_alu instid0(VALU_DEP_2) | instskip(NEXT) | instid1(VALU_DEP_2)
	v_cmp_eq_u32_e32 vcc_lo, 0, v24
	v_cndmask_b32_e32 v36, v25, v22, vcc_lo
; %bb.409:                              ;   in Loop: Header=BB8_49 Depth=1
	s_or_b32 exec_lo, exec_lo, s11
	v_lshlrev_b32_e32 v22, 16, v34
	s_mov_b32 s11, exec_lo
                                        ; implicit-def: $vgpr37
	s_delay_alu instid0(VALU_DEP_1) | instskip(NEXT) | instid1(VALU_DEP_1)
	v_mul_f32_e32 v22, v23, v22
	v_and_b32_e32 v24, 0x7f800000, v22
	s_delay_alu instid0(VALU_DEP_1)
	v_cmpx_ne_u32_e32 0x7f800000, v24
	s_xor_b32 s11, exec_lo, s11
; %bb.410:                              ;   in Loop: Header=BB8_49 Depth=1
	v_bfe_u32 v24, v22, 16, 1
	s_delay_alu instid0(VALU_DEP_1)
	v_add3_u32 v37, v22, v24, 0x7fff
                                        ; implicit-def: $vgpr22
; %bb.411:                              ;   in Loop: Header=BB8_49 Depth=1
	s_and_not1_saveexec_b32 s11, s11
; %bb.412:                              ;   in Loop: Header=BB8_49 Depth=1
	v_and_b32_e32 v24, 0xffff, v22
	v_or_b32_e32 v25, 0x10000, v22
	s_delay_alu instid0(VALU_DEP_2) | instskip(NEXT) | instid1(VALU_DEP_2)
	v_cmp_eq_u32_e32 vcc_lo, 0, v24
	v_cndmask_b32_e32 v37, v25, v22, vcc_lo
; %bb.413:                              ;   in Loop: Header=BB8_49 Depth=1
	s_or_b32 exec_lo, exec_lo, s11
	v_and_b32_e32 v22, 0xffff0000, v34
	s_mov_b32 s11, exec_lo
                                        ; implicit-def: $vgpr32
	s_delay_alu instid0(VALU_DEP_1) | instskip(NEXT) | instid1(VALU_DEP_1)
	v_mul_f32_e32 v22, v23, v22
	v_and_b32_e32 v24, 0x7f800000, v22
	s_delay_alu instid0(VALU_DEP_1)
	v_cmpx_ne_u32_e32 0x7f800000, v24
	s_xor_b32 s11, exec_lo, s11
; %bb.414:                              ;   in Loop: Header=BB8_49 Depth=1
	v_bfe_u32 v24, v22, 16, 1
	s_delay_alu instid0(VALU_DEP_1)
	v_add3_u32 v32, v22, v24, 0x7fff
                                        ; implicit-def: $vgpr22
; %bb.415:                              ;   in Loop: Header=BB8_49 Depth=1
	s_and_not1_saveexec_b32 s11, s11
; %bb.416:                              ;   in Loop: Header=BB8_49 Depth=1
	v_and_b32_e32 v24, 0xffff, v22
	v_or_b32_e32 v25, 0x10000, v22
	s_delay_alu instid0(VALU_DEP_2) | instskip(NEXT) | instid1(VALU_DEP_2)
	v_cmp_eq_u32_e32 vcc_lo, 0, v24
	v_cndmask_b32_e32 v32, v25, v22, vcc_lo
; %bb.417:                              ;   in Loop: Header=BB8_49 Depth=1
	s_or_b32 exec_lo, exec_lo, s11
	v_lshlrev_b32_e32 v22, 16, v35
	s_mov_b32 s11, exec_lo
                                        ; implicit-def: $vgpr33
	s_delay_alu instid0(VALU_DEP_1) | instskip(NEXT) | instid1(VALU_DEP_1)
	v_mul_f32_e32 v22, v23, v22
	v_and_b32_e32 v24, 0x7f800000, v22
	s_delay_alu instid0(VALU_DEP_1)
	v_cmpx_ne_u32_e32 0x7f800000, v24
	s_xor_b32 s11, exec_lo, s11
; %bb.418:                              ;   in Loop: Header=BB8_49 Depth=1
	v_bfe_u32 v24, v22, 16, 1
	s_delay_alu instid0(VALU_DEP_1)
	v_add3_u32 v33, v22, v24, 0x7fff
                                        ; implicit-def: $vgpr22
; %bb.419:                              ;   in Loop: Header=BB8_49 Depth=1
	s_and_not1_saveexec_b32 s11, s11
; %bb.420:                              ;   in Loop: Header=BB8_49 Depth=1
	v_and_b32_e32 v24, 0xffff, v22
	v_or_b32_e32 v25, 0x10000, v22
	s_delay_alu instid0(VALU_DEP_2) | instskip(NEXT) | instid1(VALU_DEP_2)
	v_cmp_eq_u32_e32 vcc_lo, 0, v24
	v_cndmask_b32_e32 v33, v25, v22, vcc_lo
; %bb.421:                              ;   in Loop: Header=BB8_49 Depth=1
	s_or_b32 exec_lo, exec_lo, s11
	v_and_b32_e32 v22, 0xffff0000, v35
	s_mov_b32 s11, exec_lo
                                        ; implicit-def: $vgpr28
	s_delay_alu instid0(VALU_DEP_1) | instskip(NEXT) | instid1(VALU_DEP_1)
	v_mul_f32_e32 v22, v23, v22
	v_and_b32_e32 v24, 0x7f800000, v22
	s_delay_alu instid0(VALU_DEP_1)
	v_cmpx_ne_u32_e32 0x7f800000, v24
	s_xor_b32 s11, exec_lo, s11
; %bb.422:                              ;   in Loop: Header=BB8_49 Depth=1
	v_bfe_u32 v24, v22, 16, 1
	s_delay_alu instid0(VALU_DEP_1)
	v_add3_u32 v28, v22, v24, 0x7fff
                                        ; implicit-def: $vgpr22
; %bb.423:                              ;   in Loop: Header=BB8_49 Depth=1
	s_and_not1_saveexec_b32 s11, s11
; %bb.424:                              ;   in Loop: Header=BB8_49 Depth=1
	v_and_b32_e32 v24, 0xffff, v22
	v_or_b32_e32 v25, 0x10000, v22
	s_delay_alu instid0(VALU_DEP_2) | instskip(NEXT) | instid1(VALU_DEP_2)
	v_cmp_eq_u32_e32 vcc_lo, 0, v24
	v_cndmask_b32_e32 v28, v25, v22, vcc_lo
; %bb.425:                              ;   in Loop: Header=BB8_49 Depth=1
	s_or_b32 exec_lo, exec_lo, s11
	v_lshlrev_b32_e32 v22, 16, v18
	s_mov_b32 s11, exec_lo
                                        ; implicit-def: $vgpr29
	s_delay_alu instid0(VALU_DEP_1) | instskip(NEXT) | instid1(VALU_DEP_1)
	v_mul_f32_e32 v22, v23, v22
	v_and_b32_e32 v24, 0x7f800000, v22
	s_delay_alu instid0(VALU_DEP_1)
	v_cmpx_ne_u32_e32 0x7f800000, v24
	s_xor_b32 s11, exec_lo, s11
; %bb.426:                              ;   in Loop: Header=BB8_49 Depth=1
	v_bfe_u32 v24, v22, 16, 1
	s_delay_alu instid0(VALU_DEP_1)
	v_add3_u32 v29, v22, v24, 0x7fff
                                        ; implicit-def: $vgpr22
; %bb.427:                              ;   in Loop: Header=BB8_49 Depth=1
	s_and_not1_saveexec_b32 s11, s11
; %bb.428:                              ;   in Loop: Header=BB8_49 Depth=1
	v_and_b32_e32 v24, 0xffff, v22
	v_or_b32_e32 v25, 0x10000, v22
	s_delay_alu instid0(VALU_DEP_2) | instskip(NEXT) | instid1(VALU_DEP_2)
	v_cmp_eq_u32_e32 vcc_lo, 0, v24
	v_cndmask_b32_e32 v29, v25, v22, vcc_lo
; %bb.429:                              ;   in Loop: Header=BB8_49 Depth=1
	s_or_b32 exec_lo, exec_lo, s11
	v_and_b32_e32 v18, 0xffff0000, v18
	s_mov_b32 s11, exec_lo
                                        ; implicit-def: $vgpr26
	s_delay_alu instid0(VALU_DEP_1) | instskip(NEXT) | instid1(VALU_DEP_1)
	v_mul_f32_e32 v18, v23, v18
	v_and_b32_e32 v22, 0x7f800000, v18
	s_delay_alu instid0(VALU_DEP_1)
	v_cmpx_ne_u32_e32 0x7f800000, v22
	s_xor_b32 s11, exec_lo, s11
; %bb.430:                              ;   in Loop: Header=BB8_49 Depth=1
	v_bfe_u32 v22, v18, 16, 1
	s_delay_alu instid0(VALU_DEP_1)
	v_add3_u32 v26, v18, v22, 0x7fff
                                        ; implicit-def: $vgpr18
; %bb.431:                              ;   in Loop: Header=BB8_49 Depth=1
	s_and_not1_saveexec_b32 s11, s11
; %bb.432:                              ;   in Loop: Header=BB8_49 Depth=1
	v_and_b32_e32 v22, 0xffff, v18
	v_or_b32_e32 v24, 0x10000, v18
	s_delay_alu instid0(VALU_DEP_2) | instskip(NEXT) | instid1(VALU_DEP_2)
	v_cmp_eq_u32_e32 vcc_lo, 0, v22
	v_cndmask_b32_e32 v26, v24, v18, vcc_lo
; %bb.433:                              ;   in Loop: Header=BB8_49 Depth=1
	s_or_b32 exec_lo, exec_lo, s11
	v_lshlrev_b32_e32 v18, 16, v19
	s_mov_b32 s11, exec_lo
                                        ; implicit-def: $vgpr27
	s_delay_alu instid0(VALU_DEP_1) | instskip(NEXT) | instid1(VALU_DEP_1)
	v_mul_f32_e32 v18, v23, v18
	v_and_b32_e32 v22, 0x7f800000, v18
	s_delay_alu instid0(VALU_DEP_1)
	v_cmpx_ne_u32_e32 0x7f800000, v22
	s_xor_b32 s11, exec_lo, s11
; %bb.434:                              ;   in Loop: Header=BB8_49 Depth=1
	v_bfe_u32 v22, v18, 16, 1
	s_delay_alu instid0(VALU_DEP_1)
	v_add3_u32 v27, v18, v22, 0x7fff
                                        ; implicit-def: $vgpr18
; %bb.435:                              ;   in Loop: Header=BB8_49 Depth=1
	s_and_not1_saveexec_b32 s11, s11
; %bb.436:                              ;   in Loop: Header=BB8_49 Depth=1
	v_and_b32_e32 v22, 0xffff, v18
	v_or_b32_e32 v24, 0x10000, v18
	s_delay_alu instid0(VALU_DEP_2) | instskip(NEXT) | instid1(VALU_DEP_2)
	v_cmp_eq_u32_e32 vcc_lo, 0, v22
	v_cndmask_b32_e32 v27, v24, v18, vcc_lo
; %bb.437:                              ;   in Loop: Header=BB8_49 Depth=1
	s_or_b32 exec_lo, exec_lo, s11
	v_and_b32_e32 v18, 0xffff0000, v19
	s_mov_b32 s11, exec_lo
                                        ; implicit-def: $vgpr24
	s_delay_alu instid0(VALU_DEP_1) | instskip(NEXT) | instid1(VALU_DEP_1)
	v_mul_f32_e32 v18, v23, v18
	v_and_b32_e32 v19, 0x7f800000, v18
	s_delay_alu instid0(VALU_DEP_1)
	v_cmpx_ne_u32_e32 0x7f800000, v19
	s_xor_b32 s11, exec_lo, s11
; %bb.438:                              ;   in Loop: Header=BB8_49 Depth=1
	v_bfe_u32 v19, v18, 16, 1
	s_delay_alu instid0(VALU_DEP_1)
	v_add3_u32 v24, v18, v19, 0x7fff
                                        ; implicit-def: $vgpr18
; %bb.439:                              ;   in Loop: Header=BB8_49 Depth=1
	s_and_not1_saveexec_b32 s11, s11
; %bb.440:                              ;   in Loop: Header=BB8_49 Depth=1
	v_and_b32_e32 v19, 0xffff, v18
	v_or_b32_e32 v22, 0x10000, v18
	s_delay_alu instid0(VALU_DEP_2) | instskip(NEXT) | instid1(VALU_DEP_2)
	v_cmp_eq_u32_e32 vcc_lo, 0, v19
	v_cndmask_b32_e32 v24, v22, v18, vcc_lo
; %bb.441:                              ;   in Loop: Header=BB8_49 Depth=1
	s_or_b32 exec_lo, exec_lo, s11
	v_lshlrev_b32_e32 v18, 16, v20
	s_mov_b32 s11, exec_lo
                                        ; implicit-def: $vgpr25
	s_delay_alu instid0(VALU_DEP_1) | instskip(NEXT) | instid1(VALU_DEP_1)
	v_mul_f32_e32 v18, v23, v18
	v_and_b32_e32 v19, 0x7f800000, v18
	s_delay_alu instid0(VALU_DEP_1)
	v_cmpx_ne_u32_e32 0x7f800000, v19
	s_xor_b32 s11, exec_lo, s11
; %bb.442:                              ;   in Loop: Header=BB8_49 Depth=1
	v_bfe_u32 v19, v18, 16, 1
	s_delay_alu instid0(VALU_DEP_1)
	v_add3_u32 v25, v18, v19, 0x7fff
                                        ; implicit-def: $vgpr18
; %bb.443:                              ;   in Loop: Header=BB8_49 Depth=1
	s_and_not1_saveexec_b32 s11, s11
; %bb.444:                              ;   in Loop: Header=BB8_49 Depth=1
	v_and_b32_e32 v19, 0xffff, v18
	v_or_b32_e32 v22, 0x10000, v18
	s_delay_alu instid0(VALU_DEP_2) | instskip(NEXT) | instid1(VALU_DEP_2)
	v_cmp_eq_u32_e32 vcc_lo, 0, v19
	v_cndmask_b32_e32 v25, v22, v18, vcc_lo
; %bb.445:                              ;   in Loop: Header=BB8_49 Depth=1
	s_or_b32 exec_lo, exec_lo, s11
	v_and_b32_e32 v18, 0xffff0000, v20
	s_mov_b32 s11, exec_lo
                                        ; implicit-def: $vgpr20
	s_delay_alu instid0(VALU_DEP_1) | instskip(NEXT) | instid1(VALU_DEP_1)
	v_mul_f32_e32 v18, v23, v18
	v_and_b32_e32 v19, 0x7f800000, v18
	s_delay_alu instid0(VALU_DEP_1)
	v_cmpx_ne_u32_e32 0x7f800000, v19
	s_xor_b32 s11, exec_lo, s11
; %bb.446:                              ;   in Loop: Header=BB8_49 Depth=1
	v_bfe_u32 v19, v18, 16, 1
	s_delay_alu instid0(VALU_DEP_1)
	v_add3_u32 v20, v18, v19, 0x7fff
                                        ; implicit-def: $vgpr18
; %bb.447:                              ;   in Loop: Header=BB8_49 Depth=1
	s_and_not1_saveexec_b32 s11, s11
; %bb.448:                              ;   in Loop: Header=BB8_49 Depth=1
	v_and_b32_e32 v19, 0xffff, v18
	v_or_b32_e32 v20, 0x10000, v18
	s_delay_alu instid0(VALU_DEP_2) | instskip(NEXT) | instid1(VALU_DEP_2)
	v_cmp_eq_u32_e32 vcc_lo, 0, v19
	v_cndmask_b32_e32 v20, v20, v18, vcc_lo
; %bb.449:                              ;   in Loop: Header=BB8_49 Depth=1
	s_or_b32 exec_lo, exec_lo, s11
	v_lshlrev_b32_e32 v18, 16, v21
	s_mov_b32 s11, exec_lo
                                        ; implicit-def: $vgpr22
	s_delay_alu instid0(VALU_DEP_1) | instskip(NEXT) | instid1(VALU_DEP_1)
	v_mul_f32_e32 v18, v23, v18
	v_and_b32_e32 v19, 0x7f800000, v18
	s_delay_alu instid0(VALU_DEP_1)
	v_cmpx_ne_u32_e32 0x7f800000, v19
	s_xor_b32 s11, exec_lo, s11
; %bb.450:                              ;   in Loop: Header=BB8_49 Depth=1
	v_bfe_u32 v19, v18, 16, 1
	s_delay_alu instid0(VALU_DEP_1)
	v_add3_u32 v22, v18, v19, 0x7fff
                                        ; implicit-def: $vgpr18
; %bb.451:                              ;   in Loop: Header=BB8_49 Depth=1
	s_and_not1_saveexec_b32 s11, s11
; %bb.452:                              ;   in Loop: Header=BB8_49 Depth=1
	v_and_b32_e32 v19, 0xffff, v18
	v_or_b32_e32 v22, 0x10000, v18
	s_delay_alu instid0(VALU_DEP_2) | instskip(NEXT) | instid1(VALU_DEP_2)
	v_cmp_eq_u32_e32 vcc_lo, 0, v19
	v_cndmask_b32_e32 v22, v22, v18, vcc_lo
; %bb.453:                              ;   in Loop: Header=BB8_49 Depth=1
	s_or_b32 exec_lo, exec_lo, s11
	v_and_b32_e32 v18, 0xffff0000, v21
	s_delay_alu instid0(VALU_DEP_1) | instskip(NEXT) | instid1(VALU_DEP_1)
	v_mul_f32_e32 v18, v23, v18
	v_and_b32_e32 v19, 0x7f800000, v18
	s_delay_alu instid0(VALU_DEP_1) | instskip(SKIP_1) | instid1(SALU_CYCLE_1)
	v_cmp_ne_u32_e32 vcc_lo, 0x7f800000, v19
                                        ; implicit-def: $vgpr19
	s_and_saveexec_b32 s11, vcc_lo
	s_xor_b32 s11, exec_lo, s11
; %bb.454:                              ;   in Loop: Header=BB8_49 Depth=1
	v_bfe_u32 v19, v18, 16, 1
	s_delay_alu instid0(VALU_DEP_1)
	v_add3_u32 v19, v18, v19, 0x7fff
                                        ; implicit-def: $vgpr18
; %bb.455:                              ;   in Loop: Header=BB8_49 Depth=1
	s_and_not1_saveexec_b32 s11, s11
; %bb.456:                              ;   in Loop: Header=BB8_49 Depth=1
	v_and_b32_e32 v19, 0xffff, v18
	v_or_b32_e32 v21, 0x10000, v18
	s_delay_alu instid0(VALU_DEP_2) | instskip(NEXT) | instid1(VALU_DEP_2)
	v_cmp_eq_u32_e32 vcc_lo, 0, v19
	v_cndmask_b32_e32 v19, v21, v18, vcc_lo
; %bb.457:                              ;   in Loop: Header=BB8_49 Depth=1
	s_or_b32 exec_lo, exec_lo, s11
	v_and_b32_e32 v18, 0xffff0000, v48
	v_lshlrev_b32_e32 v21, 16, v14
	s_delay_alu instid0(VALU_DEP_1) | instskip(NEXT) | instid1(VALU_DEP_1)
	v_add_f32_e32 v21, v21, v18
	v_and_b32_e32 v18, 0x7f800000, v21
	s_delay_alu instid0(VALU_DEP_1) | instskip(SKIP_1) | instid1(SALU_CYCLE_1)
	v_cmp_ne_u32_e32 vcc_lo, 0x7f800000, v18
                                        ; implicit-def: $vgpr18
	s_and_saveexec_b32 s11, vcc_lo
	s_xor_b32 s11, exec_lo, s11
; %bb.458:                              ;   in Loop: Header=BB8_49 Depth=1
	v_bfe_u32 v18, v21, 16, 1
	s_delay_alu instid0(VALU_DEP_1)
	v_add3_u32 v18, v21, v18, 0x7fff
                                        ; implicit-def: $vgpr21
; %bb.459:                              ;   in Loop: Header=BB8_49 Depth=1
	s_and_not1_saveexec_b32 s11, s11
; %bb.460:                              ;   in Loop: Header=BB8_49 Depth=1
	v_and_b32_e32 v18, 0xffff, v21
	v_or_b32_e32 v23, 0x10000, v21
	s_delay_alu instid0(VALU_DEP_2) | instskip(NEXT) | instid1(VALU_DEP_2)
	v_cmp_eq_u32_e32 vcc_lo, 0, v18
	v_cndmask_b32_e32 v18, v23, v21, vcc_lo
; %bb.461:                              ;   in Loop: Header=BB8_49 Depth=1
	s_or_b32 exec_lo, exec_lo, s11
	v_and_b32_e32 v14, 0xffff0000, v14
	v_and_b32_e32 v21, 0xffff0000, v38
	s_delay_alu instid0(VALU_DEP_1) | instskip(NEXT) | instid1(VALU_DEP_1)
	v_add_f32_e32 v21, v14, v21
	v_and_b32_e32 v14, 0x7f800000, v21
	s_delay_alu instid0(VALU_DEP_1) | instskip(SKIP_1) | instid1(SALU_CYCLE_1)
	v_cmp_ne_u32_e32 vcc_lo, 0x7f800000, v14
                                        ; implicit-def: $vgpr14
	s_and_saveexec_b32 s11, vcc_lo
	s_xor_b32 s11, exec_lo, s11
; %bb.462:                              ;   in Loop: Header=BB8_49 Depth=1
	v_bfe_u32 v14, v21, 16, 1
	s_delay_alu instid0(VALU_DEP_1)
	v_add3_u32 v14, v21, v14, 0x7fff
                                        ; implicit-def: $vgpr21
; %bb.463:                              ;   in Loop: Header=BB8_49 Depth=1
	s_and_not1_saveexec_b32 s11, s11
; %bb.464:                              ;   in Loop: Header=BB8_49 Depth=1
	v_and_b32_e32 v14, 0xffff, v21
	v_or_b32_e32 v23, 0x10000, v21
	s_delay_alu instid0(VALU_DEP_2) | instskip(NEXT) | instid1(VALU_DEP_2)
	v_cmp_eq_u32_e32 vcc_lo, 0, v14
	v_cndmask_b32_e32 v14, v23, v21, vcc_lo
; %bb.465:                              ;   in Loop: Header=BB8_49 Depth=1
	s_or_b32 exec_lo, exec_lo, s11
	v_and_b32_e32 v21, 0xffff0000, v39
	v_lshlrev_b32_e32 v23, 16, v15
	s_delay_alu instid0(VALU_DEP_1) | instskip(NEXT) | instid1(VALU_DEP_1)
	v_add_f32_e32 v23, v23, v21
	v_and_b32_e32 v21, 0x7f800000, v23
	s_delay_alu instid0(VALU_DEP_1) | instskip(SKIP_1) | instid1(SALU_CYCLE_1)
	v_cmp_ne_u32_e32 vcc_lo, 0x7f800000, v21
                                        ; implicit-def: $vgpr21
	s_and_saveexec_b32 s11, vcc_lo
	s_xor_b32 s11, exec_lo, s11
; %bb.466:                              ;   in Loop: Header=BB8_49 Depth=1
	v_bfe_u32 v21, v23, 16, 1
	s_delay_alu instid0(VALU_DEP_1)
	v_add3_u32 v21, v23, v21, 0x7fff
                                        ; implicit-def: $vgpr23
; %bb.467:                              ;   in Loop: Header=BB8_49 Depth=1
	s_and_not1_saveexec_b32 s11, s11
; %bb.468:                              ;   in Loop: Header=BB8_49 Depth=1
	v_and_b32_e32 v21, 0xffff, v23
	v_or_b32_e32 v34, 0x10000, v23
	s_delay_alu instid0(VALU_DEP_2) | instskip(NEXT) | instid1(VALU_DEP_2)
	v_cmp_eq_u32_e32 vcc_lo, 0, v21
	v_cndmask_b32_e32 v21, v34, v23, vcc_lo
; %bb.469:                              ;   in Loop: Header=BB8_49 Depth=1
	s_or_b32 exec_lo, exec_lo, s11
	v_and_b32_e32 v15, 0xffff0000, v15
	v_and_b32_e32 v23, 0xffff0000, v36
	s_delay_alu instid0(VALU_DEP_1) | instskip(NEXT) | instid1(VALU_DEP_1)
	v_add_f32_e32 v23, v15, v23
	v_and_b32_e32 v15, 0x7f800000, v23
	s_delay_alu instid0(VALU_DEP_1) | instskip(SKIP_1) | instid1(SALU_CYCLE_1)
	v_cmp_ne_u32_e32 vcc_lo, 0x7f800000, v15
                                        ; implicit-def: $vgpr15
	s_and_saveexec_b32 s11, vcc_lo
	s_xor_b32 s11, exec_lo, s11
; %bb.470:                              ;   in Loop: Header=BB8_49 Depth=1
	v_bfe_u32 v15, v23, 16, 1
	s_delay_alu instid0(VALU_DEP_1)
	v_add3_u32 v15, v23, v15, 0x7fff
                                        ; implicit-def: $vgpr23
; %bb.471:                              ;   in Loop: Header=BB8_49 Depth=1
	s_and_not1_saveexec_b32 s11, s11
; %bb.472:                              ;   in Loop: Header=BB8_49 Depth=1
	v_and_b32_e32 v15, 0xffff, v23
	v_or_b32_e32 v34, 0x10000, v23
	s_delay_alu instid0(VALU_DEP_2) | instskip(NEXT) | instid1(VALU_DEP_2)
	v_cmp_eq_u32_e32 vcc_lo, 0, v15
	v_cndmask_b32_e32 v15, v34, v23, vcc_lo
; %bb.473:                              ;   in Loop: Header=BB8_49 Depth=1
	s_or_b32 exec_lo, exec_lo, s11
	v_and_b32_e32 v23, 0xffff0000, v37
	v_lshlrev_b32_e32 v34, 16, v16
	s_delay_alu instid0(VALU_DEP_1) | instskip(NEXT) | instid1(VALU_DEP_1)
	v_add_f32_e32 v34, v34, v23
	v_and_b32_e32 v23, 0x7f800000, v34
	s_delay_alu instid0(VALU_DEP_1) | instskip(SKIP_1) | instid1(SALU_CYCLE_1)
	v_cmp_ne_u32_e32 vcc_lo, 0x7f800000, v23
                                        ; implicit-def: $vgpr23
	s_and_saveexec_b32 s11, vcc_lo
	s_xor_b32 s11, exec_lo, s11
; %bb.474:                              ;   in Loop: Header=BB8_49 Depth=1
	v_bfe_u32 v23, v34, 16, 1
	s_delay_alu instid0(VALU_DEP_1)
	v_add3_u32 v23, v34, v23, 0x7fff
                                        ; implicit-def: $vgpr34
; %bb.475:                              ;   in Loop: Header=BB8_49 Depth=1
	s_and_not1_saveexec_b32 s11, s11
; %bb.476:                              ;   in Loop: Header=BB8_49 Depth=1
	v_and_b32_e32 v23, 0xffff, v34
	v_or_b32_e32 v35, 0x10000, v34
	s_delay_alu instid0(VALU_DEP_2) | instskip(NEXT) | instid1(VALU_DEP_2)
	v_cmp_eq_u32_e32 vcc_lo, 0, v23
	v_cndmask_b32_e32 v23, v35, v34, vcc_lo
; %bb.477:                              ;   in Loop: Header=BB8_49 Depth=1
	s_or_b32 exec_lo, exec_lo, s11
	v_and_b32_e32 v16, 0xffff0000, v16
	v_and_b32_e32 v32, 0xffff0000, v32
	s_delay_alu instid0(VALU_DEP_1) | instskip(NEXT) | instid1(VALU_DEP_1)
	v_add_f32_e32 v32, v16, v32
	v_and_b32_e32 v16, 0x7f800000, v32
	s_delay_alu instid0(VALU_DEP_1) | instskip(SKIP_1) | instid1(SALU_CYCLE_1)
	v_cmp_ne_u32_e32 vcc_lo, 0x7f800000, v16
                                        ; implicit-def: $vgpr16
	s_and_saveexec_b32 s11, vcc_lo
	s_xor_b32 s11, exec_lo, s11
; %bb.478:                              ;   in Loop: Header=BB8_49 Depth=1
	v_bfe_u32 v16, v32, 16, 1
	s_delay_alu instid0(VALU_DEP_1)
	v_add3_u32 v16, v32, v16, 0x7fff
                                        ; implicit-def: $vgpr32
; %bb.479:                              ;   in Loop: Header=BB8_49 Depth=1
	s_and_not1_saveexec_b32 s11, s11
; %bb.480:                              ;   in Loop: Header=BB8_49 Depth=1
	v_and_b32_e32 v16, 0xffff, v32
	v_or_b32_e32 v34, 0x10000, v32
	s_delay_alu instid0(VALU_DEP_2) | instskip(NEXT) | instid1(VALU_DEP_2)
	v_cmp_eq_u32_e32 vcc_lo, 0, v16
	v_cndmask_b32_e32 v16, v34, v32, vcc_lo
; %bb.481:                              ;   in Loop: Header=BB8_49 Depth=1
	s_or_b32 exec_lo, exec_lo, s11
	v_and_b32_e32 v32, 0xffff0000, v33
	v_lshlrev_b32_e32 v33, 16, v17
	s_delay_alu instid0(VALU_DEP_1) | instskip(NEXT) | instid1(VALU_DEP_1)
	v_add_f32_e32 v33, v33, v32
	v_and_b32_e32 v32, 0x7f800000, v33
	s_delay_alu instid0(VALU_DEP_1) | instskip(SKIP_1) | instid1(SALU_CYCLE_1)
	v_cmp_ne_u32_e32 vcc_lo, 0x7f800000, v32
                                        ; implicit-def: $vgpr32
	s_and_saveexec_b32 s11, vcc_lo
	s_xor_b32 s11, exec_lo, s11
; %bb.482:                              ;   in Loop: Header=BB8_49 Depth=1
	v_bfe_u32 v32, v33, 16, 1
	s_delay_alu instid0(VALU_DEP_1)
	v_add3_u32 v32, v33, v32, 0x7fff
                                        ; implicit-def: $vgpr33
; %bb.483:                              ;   in Loop: Header=BB8_49 Depth=1
	s_and_not1_saveexec_b32 s11, s11
; %bb.484:                              ;   in Loop: Header=BB8_49 Depth=1
	v_and_b32_e32 v32, 0xffff, v33
	v_or_b32_e32 v34, 0x10000, v33
	s_delay_alu instid0(VALU_DEP_2) | instskip(NEXT) | instid1(VALU_DEP_2)
	v_cmp_eq_u32_e32 vcc_lo, 0, v32
	v_cndmask_b32_e32 v32, v34, v33, vcc_lo
; %bb.485:                              ;   in Loop: Header=BB8_49 Depth=1
	s_or_b32 exec_lo, exec_lo, s11
	v_and_b32_e32 v17, 0xffff0000, v17
	v_and_b32_e32 v28, 0xffff0000, v28
	s_delay_alu instid0(VALU_DEP_1) | instskip(NEXT) | instid1(VALU_DEP_1)
	v_add_f32_e32 v28, v17, v28
	v_and_b32_e32 v17, 0x7f800000, v28
	s_delay_alu instid0(VALU_DEP_1) | instskip(SKIP_1) | instid1(SALU_CYCLE_1)
	v_cmp_ne_u32_e32 vcc_lo, 0x7f800000, v17
                                        ; implicit-def: $vgpr17
	s_and_saveexec_b32 s11, vcc_lo
	s_xor_b32 s11, exec_lo, s11
; %bb.486:                              ;   in Loop: Header=BB8_49 Depth=1
	v_bfe_u32 v17, v28, 16, 1
	s_delay_alu instid0(VALU_DEP_1)
	v_add3_u32 v17, v28, v17, 0x7fff
                                        ; implicit-def: $vgpr28
; %bb.487:                              ;   in Loop: Header=BB8_49 Depth=1
	s_and_not1_saveexec_b32 s11, s11
; %bb.488:                              ;   in Loop: Header=BB8_49 Depth=1
	v_and_b32_e32 v17, 0xffff, v28
	v_or_b32_e32 v33, 0x10000, v28
	s_delay_alu instid0(VALU_DEP_2) | instskip(NEXT) | instid1(VALU_DEP_2)
	v_cmp_eq_u32_e32 vcc_lo, 0, v17
	v_cndmask_b32_e32 v17, v33, v28, vcc_lo
; %bb.489:                              ;   in Loop: Header=BB8_49 Depth=1
	s_or_b32 exec_lo, exec_lo, s11
	v_and_b32_e32 v28, 0xffff0000, v29
	v_lshlrev_b32_e32 v29, 16, v10
	s_delay_alu instid0(VALU_DEP_1) | instskip(NEXT) | instid1(VALU_DEP_1)
	v_add_f32_e32 v29, v29, v28
	v_and_b32_e32 v28, 0x7f800000, v29
	s_delay_alu instid0(VALU_DEP_1) | instskip(SKIP_1) | instid1(SALU_CYCLE_1)
	v_cmp_ne_u32_e32 vcc_lo, 0x7f800000, v28
                                        ; implicit-def: $vgpr28
	s_and_saveexec_b32 s11, vcc_lo
	s_xor_b32 s11, exec_lo, s11
; %bb.490:                              ;   in Loop: Header=BB8_49 Depth=1
	v_bfe_u32 v28, v29, 16, 1
	s_delay_alu instid0(VALU_DEP_1)
	v_add3_u32 v28, v29, v28, 0x7fff
                                        ; implicit-def: $vgpr29
; %bb.491:                              ;   in Loop: Header=BB8_49 Depth=1
	s_and_not1_saveexec_b32 s11, s11
; %bb.492:                              ;   in Loop: Header=BB8_49 Depth=1
	v_and_b32_e32 v28, 0xffff, v29
	v_or_b32_e32 v33, 0x10000, v29
	s_delay_alu instid0(VALU_DEP_2) | instskip(NEXT) | instid1(VALU_DEP_2)
	v_cmp_eq_u32_e32 vcc_lo, 0, v28
	v_cndmask_b32_e32 v28, v33, v29, vcc_lo
; %bb.493:                              ;   in Loop: Header=BB8_49 Depth=1
	s_or_b32 exec_lo, exec_lo, s11
	v_and_b32_e32 v10, 0xffff0000, v10
	v_and_b32_e32 v26, 0xffff0000, v26
	s_delay_alu instid0(VALU_DEP_1) | instskip(NEXT) | instid1(VALU_DEP_1)
	v_add_f32_e32 v26, v10, v26
	v_and_b32_e32 v10, 0x7f800000, v26
	s_delay_alu instid0(VALU_DEP_1) | instskip(SKIP_1) | instid1(SALU_CYCLE_1)
	v_cmp_ne_u32_e32 vcc_lo, 0x7f800000, v10
                                        ; implicit-def: $vgpr10
	s_and_saveexec_b32 s11, vcc_lo
	s_xor_b32 s11, exec_lo, s11
; %bb.494:                              ;   in Loop: Header=BB8_49 Depth=1
	v_bfe_u32 v10, v26, 16, 1
	s_delay_alu instid0(VALU_DEP_1)
	v_add3_u32 v10, v26, v10, 0x7fff
                                        ; implicit-def: $vgpr26
; %bb.495:                              ;   in Loop: Header=BB8_49 Depth=1
	s_and_not1_saveexec_b32 s11, s11
; %bb.496:                              ;   in Loop: Header=BB8_49 Depth=1
	v_and_b32_e32 v10, 0xffff, v26
	v_or_b32_e32 v29, 0x10000, v26
	s_delay_alu instid0(VALU_DEP_2) | instskip(NEXT) | instid1(VALU_DEP_2)
	v_cmp_eq_u32_e32 vcc_lo, 0, v10
	v_cndmask_b32_e32 v10, v29, v26, vcc_lo
; %bb.497:                              ;   in Loop: Header=BB8_49 Depth=1
	s_or_b32 exec_lo, exec_lo, s11
	v_and_b32_e32 v26, 0xffff0000, v27
	v_lshlrev_b32_e32 v27, 16, v11
	s_delay_alu instid0(VALU_DEP_1) | instskip(NEXT) | instid1(VALU_DEP_1)
	v_add_f32_e32 v27, v27, v26
	v_and_b32_e32 v26, 0x7f800000, v27
	s_delay_alu instid0(VALU_DEP_1) | instskip(SKIP_1) | instid1(SALU_CYCLE_1)
	v_cmp_ne_u32_e32 vcc_lo, 0x7f800000, v26
                                        ; implicit-def: $vgpr26
	s_and_saveexec_b32 s11, vcc_lo
	s_xor_b32 s11, exec_lo, s11
; %bb.498:                              ;   in Loop: Header=BB8_49 Depth=1
	v_bfe_u32 v26, v27, 16, 1
	s_delay_alu instid0(VALU_DEP_1)
	v_add3_u32 v26, v27, v26, 0x7fff
                                        ; implicit-def: $vgpr27
; %bb.499:                              ;   in Loop: Header=BB8_49 Depth=1
	s_and_not1_saveexec_b32 s11, s11
; %bb.500:                              ;   in Loop: Header=BB8_49 Depth=1
	v_and_b32_e32 v26, 0xffff, v27
	v_or_b32_e32 v29, 0x10000, v27
	s_delay_alu instid0(VALU_DEP_2) | instskip(NEXT) | instid1(VALU_DEP_2)
	v_cmp_eq_u32_e32 vcc_lo, 0, v26
	v_cndmask_b32_e32 v26, v29, v27, vcc_lo
; %bb.501:                              ;   in Loop: Header=BB8_49 Depth=1
	s_or_b32 exec_lo, exec_lo, s11
	v_and_b32_e32 v11, 0xffff0000, v11
	v_and_b32_e32 v24, 0xffff0000, v24
	s_delay_alu instid0(VALU_DEP_1) | instskip(NEXT) | instid1(VALU_DEP_1)
	v_add_f32_e32 v24, v11, v24
	v_and_b32_e32 v11, 0x7f800000, v24
	s_delay_alu instid0(VALU_DEP_1) | instskip(SKIP_1) | instid1(SALU_CYCLE_1)
	v_cmp_ne_u32_e32 vcc_lo, 0x7f800000, v11
                                        ; implicit-def: $vgpr11
	s_and_saveexec_b32 s11, vcc_lo
	s_xor_b32 s11, exec_lo, s11
; %bb.502:                              ;   in Loop: Header=BB8_49 Depth=1
	v_bfe_u32 v11, v24, 16, 1
	s_delay_alu instid0(VALU_DEP_1)
	v_add3_u32 v11, v24, v11, 0x7fff
                                        ; implicit-def: $vgpr24
; %bb.503:                              ;   in Loop: Header=BB8_49 Depth=1
	s_and_not1_saveexec_b32 s11, s11
; %bb.504:                              ;   in Loop: Header=BB8_49 Depth=1
	v_and_b32_e32 v11, 0xffff, v24
	v_or_b32_e32 v27, 0x10000, v24
	s_delay_alu instid0(VALU_DEP_2) | instskip(NEXT) | instid1(VALU_DEP_2)
	v_cmp_eq_u32_e32 vcc_lo, 0, v11
	v_cndmask_b32_e32 v11, v27, v24, vcc_lo
; %bb.505:                              ;   in Loop: Header=BB8_49 Depth=1
	s_or_b32 exec_lo, exec_lo, s11
	v_and_b32_e32 v24, 0xffff0000, v25
	v_lshlrev_b32_e32 v25, 16, v12
	s_delay_alu instid0(VALU_DEP_1) | instskip(NEXT) | instid1(VALU_DEP_1)
	v_add_f32_e32 v25, v25, v24
	v_and_b32_e32 v24, 0x7f800000, v25
	s_delay_alu instid0(VALU_DEP_1) | instskip(SKIP_1) | instid1(SALU_CYCLE_1)
	v_cmp_ne_u32_e32 vcc_lo, 0x7f800000, v24
                                        ; implicit-def: $vgpr24
	s_and_saveexec_b32 s11, vcc_lo
	s_xor_b32 s11, exec_lo, s11
; %bb.506:                              ;   in Loop: Header=BB8_49 Depth=1
	v_bfe_u32 v24, v25, 16, 1
	s_delay_alu instid0(VALU_DEP_1)
	v_add3_u32 v24, v25, v24, 0x7fff
                                        ; implicit-def: $vgpr25
; %bb.507:                              ;   in Loop: Header=BB8_49 Depth=1
	s_and_not1_saveexec_b32 s11, s11
; %bb.508:                              ;   in Loop: Header=BB8_49 Depth=1
	v_and_b32_e32 v24, 0xffff, v25
	v_or_b32_e32 v27, 0x10000, v25
	s_delay_alu instid0(VALU_DEP_2) | instskip(NEXT) | instid1(VALU_DEP_2)
	v_cmp_eq_u32_e32 vcc_lo, 0, v24
	v_cndmask_b32_e32 v24, v27, v25, vcc_lo
; %bb.509:                              ;   in Loop: Header=BB8_49 Depth=1
	s_or_b32 exec_lo, exec_lo, s11
	v_and_b32_e32 v12, 0xffff0000, v12
	v_and_b32_e32 v20, 0xffff0000, v20
	s_delay_alu instid0(VALU_DEP_1) | instskip(NEXT) | instid1(VALU_DEP_1)
	v_add_f32_e32 v20, v12, v20
	v_and_b32_e32 v12, 0x7f800000, v20
	s_delay_alu instid0(VALU_DEP_1) | instskip(SKIP_1) | instid1(SALU_CYCLE_1)
	v_cmp_ne_u32_e32 vcc_lo, 0x7f800000, v12
                                        ; implicit-def: $vgpr12
	s_and_saveexec_b32 s11, vcc_lo
	s_xor_b32 s11, exec_lo, s11
; %bb.510:                              ;   in Loop: Header=BB8_49 Depth=1
	v_bfe_u32 v12, v20, 16, 1
	s_delay_alu instid0(VALU_DEP_1)
	v_add3_u32 v12, v20, v12, 0x7fff
                                        ; implicit-def: $vgpr20
; %bb.511:                              ;   in Loop: Header=BB8_49 Depth=1
	s_and_not1_saveexec_b32 s11, s11
; %bb.512:                              ;   in Loop: Header=BB8_49 Depth=1
	v_and_b32_e32 v12, 0xffff, v20
	v_or_b32_e32 v25, 0x10000, v20
	s_delay_alu instid0(VALU_DEP_2) | instskip(NEXT) | instid1(VALU_DEP_2)
	v_cmp_eq_u32_e32 vcc_lo, 0, v12
	v_cndmask_b32_e32 v12, v25, v20, vcc_lo
; %bb.513:                              ;   in Loop: Header=BB8_49 Depth=1
	s_or_b32 exec_lo, exec_lo, s11
	v_and_b32_e32 v20, 0xffff0000, v22
	v_lshlrev_b32_e32 v22, 16, v13
	s_delay_alu instid0(VALU_DEP_1) | instskip(NEXT) | instid1(VALU_DEP_1)
	v_add_f32_e32 v22, v22, v20
	v_and_b32_e32 v20, 0x7f800000, v22
	s_delay_alu instid0(VALU_DEP_1) | instskip(SKIP_1) | instid1(SALU_CYCLE_1)
	v_cmp_ne_u32_e32 vcc_lo, 0x7f800000, v20
                                        ; implicit-def: $vgpr20
	s_and_saveexec_b32 s11, vcc_lo
	s_xor_b32 s11, exec_lo, s11
; %bb.514:                              ;   in Loop: Header=BB8_49 Depth=1
	v_bfe_u32 v20, v22, 16, 1
	s_delay_alu instid0(VALU_DEP_1)
	v_add3_u32 v20, v22, v20, 0x7fff
                                        ; implicit-def: $vgpr22
; %bb.515:                              ;   in Loop: Header=BB8_49 Depth=1
	s_and_not1_saveexec_b32 s11, s11
; %bb.516:                              ;   in Loop: Header=BB8_49 Depth=1
	v_and_b32_e32 v20, 0xffff, v22
	v_or_b32_e32 v25, 0x10000, v22
	s_delay_alu instid0(VALU_DEP_2) | instskip(NEXT) | instid1(VALU_DEP_2)
	v_cmp_eq_u32_e32 vcc_lo, 0, v20
	v_cndmask_b32_e32 v20, v25, v22, vcc_lo
; %bb.517:                              ;   in Loop: Header=BB8_49 Depth=1
	s_or_b32 exec_lo, exec_lo, s11
	v_and_b32_e32 v13, 0xffff0000, v13
	v_and_b32_e32 v19, 0xffff0000, v19
	s_delay_alu instid0(VALU_DEP_1) | instskip(NEXT) | instid1(VALU_DEP_1)
	v_add_f32_e32 v19, v13, v19
	v_and_b32_e32 v13, 0x7f800000, v19
	s_delay_alu instid0(VALU_DEP_1) | instskip(SKIP_1) | instid1(SALU_CYCLE_1)
	v_cmp_ne_u32_e32 vcc_lo, 0x7f800000, v13
                                        ; implicit-def: $vgpr13
	s_and_saveexec_b32 s11, vcc_lo
	s_xor_b32 s11, exec_lo, s11
; %bb.518:                              ;   in Loop: Header=BB8_49 Depth=1
	v_bfe_u32 v13, v19, 16, 1
	s_delay_alu instid0(VALU_DEP_1)
	v_add3_u32 v13, v19, v13, 0x7fff
                                        ; implicit-def: $vgpr19
; %bb.519:                              ;   in Loop: Header=BB8_49 Depth=1
	s_and_not1_saveexec_b32 s11, s11
; %bb.520:                              ;   in Loop: Header=BB8_49 Depth=1
	v_and_b32_e32 v13, 0xffff, v19
	v_or_b32_e32 v22, 0x10000, v19
	s_delay_alu instid0(VALU_DEP_2) | instskip(NEXT) | instid1(VALU_DEP_2)
	v_cmp_eq_u32_e32 vcc_lo, 0, v13
	v_cndmask_b32_e32 v13, v22, v19, vcc_lo
; %bb.521:                              ;   in Loop: Header=BB8_49 Depth=1
	s_or_b32 exec_lo, exec_lo, s11
	v_dual_lshrrev_b32 v19, 16, v21 :: v_dual_lshrrev_b32 v18, 16, v18
	v_dual_lshrrev_b32 v21, 16, v23 :: v_dual_lshrrev_b32 v22, 16, v24
	v_lshrrev_b32_e32 v20, 16, v20
	s_delay_alu instid0(VALU_DEP_3) | instskip(NEXT) | instid1(VALU_DEP_4)
	v_and_or_b32 v15, 0xffff0000, v15, v19
	v_and_or_b32 v14, 0xffff0000, v14, v18
	v_lshrrev_b32_e32 v18, 16, v32
	v_and_or_b32 v16, 0xffff0000, v16, v21
	v_dual_lshrrev_b32 v19, 16, v26 :: v_dual_lshrrev_b32 v21, 16, v28
	v_and_or_b32 v12, 0xffff0000, v12, v22
	s_delay_alu instid0(VALU_DEP_4) | instskip(SKIP_1) | instid1(VALU_DEP_4)
	v_and_or_b32 v17, 0xffff0000, v17, v18
	v_and_or_b32 v13, 0xffff0000, v13, v20
	;; [unrolled: 1-line block ×4, first 2 shown]
	s_clause 0x1
	global_store_b128 v[58:59], v[14:17], off th:TH_STORE_NT
	global_store_b128 v[58:59], v[10:13], off offset:512 th:TH_STORE_NT
.LBB8_522:                              ;   in Loop: Header=BB8_49 Depth=1
	s_wait_xcnt 0x0
	s_or_b32 exec_lo, exec_lo, s10
	v_lshlrev_b32_e32 v22, 10, v88
	s_mov_b32 s28, exec_lo
                                        ; implicit-def: $vgpr20
                                        ; implicit-def: $vgpr10
                                        ; implicit-def: $vgpr21
	s_delay_alu instid0(VALU_DEP_1)
	v_cmpx_ne_u32_e64 v79, v22
	s_cbranch_execz .LBB8_733
; %bb.523:                              ;   in Loop: Header=BB8_49 Depth=1
	v_lshlrev_b32_e32 v10, 5, v90
	v_sub_nc_u32_e32 v12, v79, v22
	s_mov_b32 s12, 0
	s_mov_b32 s29, exec_lo
	s_delay_alu instid0(VALU_DEP_1) | instskip(NEXT) | instid1(VALU_DEP_1)
	v_dual_sub_nc_u32 v10, v73, v10 :: v_dual_ashrrev_i32 v14, 31, v12
	v_ashrrev_i32_e32 v11, 31, v10
	s_delay_alu instid0(VALU_DEP_1) | instskip(NEXT) | instid1(VALU_DEP_1)
	v_lshrrev_b32_e32 v11, 27, v11
	v_add_nc_u32_e32 v11, v10, v11
	s_delay_alu instid0(VALU_DEP_1) | instskip(NEXT) | instid1(VALU_DEP_1)
	v_and_b32_e32 v13, 0xffffffe0, v11
	v_dual_sub_nc_u32 v23, v10, v13 :: v_dual_lshrrev_b32 v10, 23, v14
	v_ashrrev_i32_e32 v13, 5, v11
	s_delay_alu instid0(VALU_DEP_2) | instskip(NEXT) | instid1(VALU_DEP_1)
	v_dual_lshlrev_b32 v11, 4, v23 :: v_dual_add_nc_u32 v14, v12, v10
	v_lshl_add_u32 v15, v13, 9, v11
	s_delay_alu instid0(VALU_DEP_2) | instskip(NEXT) | instid1(VALU_DEP_2)
	v_and_b32_e32 v24, 0xfffffe00, v14
	v_dual_ashrrev_i32 v14, 9, v14 :: v_dual_sub_nc_u32 v27, v12, v15
	s_delay_alu instid0(VALU_DEP_2) | instskip(NEXT) | instid1(VALU_DEP_1)
	v_dual_add_nc_u32 v10, v15, v22 :: v_dual_sub_nc_u32 v25, v12, v24
	v_cmp_lt_i32_e64 s10, 15, v25
	s_delay_alu instid0(VALU_DEP_1) | instskip(NEXT) | instid1(VALU_DEP_1)
	v_add_co_ci_u32_e64 v16, null, 0, v14, s10
	v_dual_ashrrev_i32 v11, 31, v10 :: v_dual_sub_nc_u32 v26, v16, v13
	s_delay_alu instid0(VALU_DEP_1)
	v_add_nc_u64_e32 v[14:15], v[10:11], v[56:57]
	v_cmpx_lt_i32_e32 15, v27
	s_cbranch_execz .LBB8_664
; %bb.524:                              ;   in Loop: Header=BB8_49 Depth=1
	s_trap 2
	ds_load_b64 v[12:13], v0
	ds_load_b32 v20, v0
	v_add_nc_u64_e32 v[16:17], v[10:11], v[46:47]
	s_mov_b32 s42, 0
	s_mov_b32 s40, 0
                                        ; implicit-def: $sgpr41
	s_wait_dscnt 0x1
	v_add_nc_u64_e32 v[18:19], v[12:13], v[10:11]
	s_wait_dscnt 0x0
	v_lshlrev_b32_e32 v28, 16, v20
	s_branch .LBB8_526
.LBB8_525:                              ;   in Loop: Header=BB8_526 Depth=2
	s_or_b32 exec_lo, exec_lo, s11
	s_delay_alu instid0(VALU_DEP_1) | instskip(SKIP_3) | instid1(SALU_CYCLE_1)
	v_cmp_gt_i32_e32 vcc_lo, 16, v27
	s_or_b32 s40, vcc_lo, s40
	s_and_not1_b32 s11, s41, exec_lo
	s_and_b32 s12, s42, exec_lo
	s_or_b32 s41, s11, s12
	s_and_not1_b32 exec_lo, exec_lo, s40
	s_cbranch_execz .LBB8_663
.LBB8_526:                              ;   Parent Loop BB8_49 Depth=1
                                        ; =>  This Loop Header: Depth=2
                                        ;       Child Loop BB8_527 Depth 3
                                        ;       Child Loop BB8_596 Depth 3
	s_add_co_i32 s11, s33, 0xb0
	s_mov_b64 s[14:15], 0
	s_mov_b32 s43, s11
	s_mov_b32 s44, -1
.LBB8_527:                              ;   Parent Loop BB8_49 Depth=1
                                        ;     Parent Loop BB8_526 Depth=2
                                        ; =>    This Inner Loop Header: Depth=3
	s_cmp_eq_u32 s14, 1
	s_cselect_b32 vcc_lo, -1, 0
	s_cmp_eq_u32 s14, 0
	v_dual_cndmask_b32 v21, v17, v19 :: v_dual_cndmask_b32 v20, v16, v18
	s_cselect_b32 s11, -1, 0
	s_and_b32 s12, exec_lo, s44
	s_mov_b64 s[14:15], 1
	s_mov_b32 s44, 0
	global_load_b128 v[10:13], v[20:21], off th:TH_LOAD_NT
	s_wait_xcnt 0x0
	v_add_nc_u64_e32 v[20:21], 0x200, v[20:21]
	s_delay_alu instid0(VALU_DEP_1)
	v_dual_cndmask_b32 v17, v17, v21, s11 :: v_dual_cndmask_b32 v16, v16, v20, s11
	v_dual_cndmask_b32 v19, v19, v21 :: v_dual_cndmask_b32 v18, v18, v20
	s_mov_b32 vcc_lo, s12
	s_wait_loadcnt 0x0
	scratch_store_b128 off, v[10:13], s43
	s_wait_xcnt 0x0
	s_mov_b32 s43, s24
	s_cbranch_vccnz .LBB8_527
; %bb.528:                              ;   in Loop: Header=BB8_526 Depth=2
	s_and_saveexec_b32 s11, s42
	s_cbranch_execz .LBB8_594
; %bb.529:                              ;   in Loop: Header=BB8_526 Depth=2
	scratch_load_b128 v[10:13], off, s33 offset:208
	s_wait_loadcnt 0x0
	v_lshlrev_b32_e32 v20, 16, v10
	s_delay_alu instid0(VALU_DEP_1) | instskip(NEXT) | instid1(VALU_DEP_1)
	v_mul_f32_e32 v20, v28, v20
	v_and_b32_e32 v21, 0x7f800000, v20
	s_delay_alu instid0(VALU_DEP_1) | instskip(SKIP_2) | instid1(SALU_CYCLE_1)
	v_cmp_ne_u32_e32 vcc_lo, 0x7f800000, v21
                                        ; implicit-def: $vgpr21
	s_wait_xcnt 0x0
	s_and_saveexec_b32 s12, vcc_lo
	s_xor_b32 s12, exec_lo, s12
; %bb.530:                              ;   in Loop: Header=BB8_526 Depth=2
	v_bfe_u32 v21, v20, 16, 1
	s_delay_alu instid0(VALU_DEP_1)
	v_add3_u32 v21, v20, v21, 0x7fff
                                        ; implicit-def: $vgpr20
; %bb.531:                              ;   in Loop: Header=BB8_526 Depth=2
	s_and_not1_saveexec_b32 s12, s12
; %bb.532:                              ;   in Loop: Header=BB8_526 Depth=2
	v_and_b32_e32 v21, 0xffff, v20
	v_or_b32_e32 v29, 0x10000, v20
	s_delay_alu instid0(VALU_DEP_2) | instskip(NEXT) | instid1(VALU_DEP_2)
	v_cmp_eq_u32_e32 vcc_lo, 0, v21
	v_cndmask_b32_e32 v21, v29, v20, vcc_lo
; %bb.533:                              ;   in Loop: Header=BB8_526 Depth=2
	s_or_b32 exec_lo, exec_lo, s12
	v_and_b32_e32 v10, 0xffff0000, v10
	s_delay_alu instid0(VALU_DEP_1) | instskip(NEXT) | instid1(VALU_DEP_1)
	v_mul_f32_e32 v10, v28, v10
	v_and_b32_e32 v20, 0x7f800000, v10
	s_delay_alu instid0(VALU_DEP_1) | instskip(SKIP_1) | instid1(SALU_CYCLE_1)
	v_cmp_ne_u32_e32 vcc_lo, 0x7f800000, v20
                                        ; implicit-def: $vgpr20
	s_and_saveexec_b32 s12, vcc_lo
	s_xor_b32 s12, exec_lo, s12
; %bb.534:                              ;   in Loop: Header=BB8_526 Depth=2
	v_bfe_u32 v20, v10, 16, 1
	s_delay_alu instid0(VALU_DEP_1)
	v_add3_u32 v20, v10, v20, 0x7fff
                                        ; implicit-def: $vgpr10
; %bb.535:                              ;   in Loop: Header=BB8_526 Depth=2
	s_and_not1_saveexec_b32 s12, s12
; %bb.536:                              ;   in Loop: Header=BB8_526 Depth=2
	v_and_b32_e32 v20, 0xffff, v10
	v_or_b32_e32 v29, 0x10000, v10
	s_delay_alu instid0(VALU_DEP_2) | instskip(NEXT) | instid1(VALU_DEP_2)
	v_cmp_eq_u32_e32 vcc_lo, 0, v20
	v_cndmask_b32_e32 v20, v29, v10, vcc_lo
; %bb.537:                              ;   in Loop: Header=BB8_526 Depth=2
	s_or_b32 exec_lo, exec_lo, s12
	v_lshlrev_b32_e32 v10, 16, v11
	s_mov_b32 s12, exec_lo
                                        ; implicit-def: $vgpr37
	s_delay_alu instid0(VALU_DEP_1) | instskip(NEXT) | instid1(VALU_DEP_1)
	v_mul_f32_e32 v10, v28, v10
	v_and_b32_e32 v29, 0x7f800000, v10
	s_delay_alu instid0(VALU_DEP_1)
	v_cmpx_ne_u32_e32 0x7f800000, v29
	s_xor_b32 s12, exec_lo, s12
; %bb.538:                              ;   in Loop: Header=BB8_526 Depth=2
	v_bfe_u32 v29, v10, 16, 1
	s_delay_alu instid0(VALU_DEP_1)
	v_add3_u32 v37, v10, v29, 0x7fff
                                        ; implicit-def: $vgpr10
; %bb.539:                              ;   in Loop: Header=BB8_526 Depth=2
	s_and_not1_saveexec_b32 s12, s12
; %bb.540:                              ;   in Loop: Header=BB8_526 Depth=2
	v_and_b32_e32 v29, 0xffff, v10
	v_or_b32_e32 v32, 0x10000, v10
	s_delay_alu instid0(VALU_DEP_2) | instskip(NEXT) | instid1(VALU_DEP_2)
	v_cmp_eq_u32_e32 vcc_lo, 0, v29
	v_cndmask_b32_e32 v37, v32, v10, vcc_lo
; %bb.541:                              ;   in Loop: Header=BB8_526 Depth=2
	s_or_b32 exec_lo, exec_lo, s12
	v_and_b32_e32 v10, 0xffff0000, v11
	s_mov_b32 s12, exec_lo
                                        ; implicit-def: $vgpr35
	s_delay_alu instid0(VALU_DEP_1) | instskip(NEXT) | instid1(VALU_DEP_1)
	v_mul_f32_e32 v10, v28, v10
	v_and_b32_e32 v11, 0x7f800000, v10
	s_delay_alu instid0(VALU_DEP_1)
	v_cmpx_ne_u32_e32 0x7f800000, v11
	s_xor_b32 s12, exec_lo, s12
; %bb.542:                              ;   in Loop: Header=BB8_526 Depth=2
	v_bfe_u32 v11, v10, 16, 1
	s_delay_alu instid0(VALU_DEP_1)
	v_add3_u32 v35, v10, v11, 0x7fff
                                        ; implicit-def: $vgpr10
; %bb.543:                              ;   in Loop: Header=BB8_526 Depth=2
	s_and_not1_saveexec_b32 s12, s12
; %bb.544:                              ;   in Loop: Header=BB8_526 Depth=2
	v_and_b32_e32 v11, 0xffff, v10
	v_or_b32_e32 v29, 0x10000, v10
	s_delay_alu instid0(VALU_DEP_2) | instskip(NEXT) | instid1(VALU_DEP_2)
	v_cmp_eq_u32_e32 vcc_lo, 0, v11
	v_cndmask_b32_e32 v35, v29, v10, vcc_lo
; %bb.545:                              ;   in Loop: Header=BB8_526 Depth=2
	s_or_b32 exec_lo, exec_lo, s12
	v_lshlrev_b32_e32 v10, 16, v12
	s_mov_b32 s12, exec_lo
                                        ; implicit-def: $vgpr36
	s_delay_alu instid0(VALU_DEP_1) | instskip(NEXT) | instid1(VALU_DEP_1)
	v_mul_f32_e32 v10, v28, v10
	v_and_b32_e32 v11, 0x7f800000, v10
	s_delay_alu instid0(VALU_DEP_1)
	v_cmpx_ne_u32_e32 0x7f800000, v11
	s_xor_b32 s12, exec_lo, s12
; %bb.546:                              ;   in Loop: Header=BB8_526 Depth=2
	v_bfe_u32 v11, v10, 16, 1
	s_delay_alu instid0(VALU_DEP_1)
	v_add3_u32 v36, v10, v11, 0x7fff
                                        ; implicit-def: $vgpr10
; %bb.547:                              ;   in Loop: Header=BB8_526 Depth=2
	s_and_not1_saveexec_b32 s12, s12
; %bb.548:                              ;   in Loop: Header=BB8_526 Depth=2
	v_and_b32_e32 v11, 0xffff, v10
	v_or_b32_e32 v29, 0x10000, v10
	s_delay_alu instid0(VALU_DEP_2) | instskip(NEXT) | instid1(VALU_DEP_2)
	v_cmp_eq_u32_e32 vcc_lo, 0, v11
	v_cndmask_b32_e32 v36, v29, v10, vcc_lo
; %bb.549:                              ;   in Loop: Header=BB8_526 Depth=2
	s_or_b32 exec_lo, exec_lo, s12
	v_and_b32_e32 v10, 0xffff0000, v12
	s_mov_b32 s12, exec_lo
                                        ; implicit-def: $vgpr33
	s_delay_alu instid0(VALU_DEP_1) | instskip(NEXT) | instid1(VALU_DEP_1)
	v_mul_f32_e32 v10, v28, v10
	v_and_b32_e32 v11, 0x7f800000, v10
	s_delay_alu instid0(VALU_DEP_1)
	v_cmpx_ne_u32_e32 0x7f800000, v11
	s_xor_b32 s12, exec_lo, s12
; %bb.550:                              ;   in Loop: Header=BB8_526 Depth=2
	v_bfe_u32 v11, v10, 16, 1
	s_delay_alu instid0(VALU_DEP_1)
	v_add3_u32 v33, v10, v11, 0x7fff
                                        ; implicit-def: $vgpr10
; %bb.551:                              ;   in Loop: Header=BB8_526 Depth=2
	s_and_not1_saveexec_b32 s12, s12
; %bb.552:                              ;   in Loop: Header=BB8_526 Depth=2
	v_and_b32_e32 v11, 0xffff, v10
	v_or_b32_e32 v12, 0x10000, v10
	s_delay_alu instid0(VALU_DEP_2) | instskip(NEXT) | instid1(VALU_DEP_2)
	v_cmp_eq_u32_e32 vcc_lo, 0, v11
	v_cndmask_b32_e32 v33, v12, v10, vcc_lo
; %bb.553:                              ;   in Loop: Header=BB8_526 Depth=2
	s_or_b32 exec_lo, exec_lo, s12
	v_lshlrev_b32_e32 v10, 16, v13
	s_mov_b32 s12, exec_lo
                                        ; implicit-def: $vgpr34
	s_delay_alu instid0(VALU_DEP_1) | instskip(NEXT) | instid1(VALU_DEP_1)
	v_mul_f32_e32 v10, v28, v10
	v_and_b32_e32 v11, 0x7f800000, v10
	s_delay_alu instid0(VALU_DEP_1)
	v_cmpx_ne_u32_e32 0x7f800000, v11
	s_xor_b32 s12, exec_lo, s12
; %bb.554:                              ;   in Loop: Header=BB8_526 Depth=2
	v_bfe_u32 v11, v10, 16, 1
	s_delay_alu instid0(VALU_DEP_1)
	v_add3_u32 v34, v10, v11, 0x7fff
                                        ; implicit-def: $vgpr10
; %bb.555:                              ;   in Loop: Header=BB8_526 Depth=2
	s_and_not1_saveexec_b32 s12, s12
; %bb.556:                              ;   in Loop: Header=BB8_526 Depth=2
	v_and_b32_e32 v11, 0xffff, v10
	v_or_b32_e32 v12, 0x10000, v10
	s_delay_alu instid0(VALU_DEP_2) | instskip(NEXT) | instid1(VALU_DEP_2)
	v_cmp_eq_u32_e32 vcc_lo, 0, v11
	v_cndmask_b32_e32 v34, v12, v10, vcc_lo
; %bb.557:                              ;   in Loop: Header=BB8_526 Depth=2
	s_or_b32 exec_lo, exec_lo, s12
	v_and_b32_e32 v10, 0xffff0000, v13
	s_mov_b32 s12, exec_lo
                                        ; implicit-def: $vgpr29
	s_delay_alu instid0(VALU_DEP_1) | instskip(NEXT) | instid1(VALU_DEP_1)
	v_mul_f32_e32 v10, v28, v10
	v_and_b32_e32 v11, 0x7f800000, v10
	s_delay_alu instid0(VALU_DEP_1)
	v_cmpx_ne_u32_e32 0x7f800000, v11
	s_xor_b32 s12, exec_lo, s12
; %bb.558:                              ;   in Loop: Header=BB8_526 Depth=2
	v_bfe_u32 v11, v10, 16, 1
	s_delay_alu instid0(VALU_DEP_1)
	v_add3_u32 v29, v10, v11, 0x7fff
                                        ; implicit-def: $vgpr10
; %bb.559:                              ;   in Loop: Header=BB8_526 Depth=2
	s_and_not1_saveexec_b32 s12, s12
; %bb.560:                              ;   in Loop: Header=BB8_526 Depth=2
	v_and_b32_e32 v11, 0xffff, v10
	v_or_b32_e32 v12, 0x10000, v10
	s_delay_alu instid0(VALU_DEP_2) | instskip(NEXT) | instid1(VALU_DEP_2)
	v_cmp_eq_u32_e32 vcc_lo, 0, v11
	v_cndmask_b32_e32 v29, v12, v10, vcc_lo
; %bb.561:                              ;   in Loop: Header=BB8_526 Depth=2
	s_or_b32 exec_lo, exec_lo, s12
	scratch_load_b128 v[10:13], off, s33 offset:224
	v_and_b32_e32 v21, 0xffff0000, v21
	s_wait_loadcnt 0x0
	v_lshlrev_b32_e32 v32, 16, v10
	s_delay_alu instid0(VALU_DEP_1) | instskip(NEXT) | instid1(VALU_DEP_1)
	v_add_f32_e32 v21, v21, v32
	v_and_b32_e32 v32, 0x7f800000, v21
	s_delay_alu instid0(VALU_DEP_1) | instskip(SKIP_2) | instid1(SALU_CYCLE_1)
	v_cmp_ne_u32_e32 vcc_lo, 0x7f800000, v32
                                        ; implicit-def: $vgpr32
	s_wait_xcnt 0x0
	s_and_saveexec_b32 s12, vcc_lo
	s_xor_b32 s12, exec_lo, s12
; %bb.562:                              ;   in Loop: Header=BB8_526 Depth=2
	v_bfe_u32 v32, v21, 16, 1
	s_delay_alu instid0(VALU_DEP_1)
	v_add3_u32 v32, v21, v32, 0x7fff
                                        ; implicit-def: $vgpr21
; %bb.563:                              ;   in Loop: Header=BB8_526 Depth=2
	s_and_not1_saveexec_b32 s12, s12
; %bb.564:                              ;   in Loop: Header=BB8_526 Depth=2
	v_and_b32_e32 v32, 0xffff, v21
	v_or_b32_e32 v38, 0x10000, v21
	s_delay_alu instid0(VALU_DEP_2) | instskip(NEXT) | instid1(VALU_DEP_2)
	v_cmp_eq_u32_e32 vcc_lo, 0, v32
	v_cndmask_b32_e32 v32, v38, v21, vcc_lo
; %bb.565:                              ;   in Loop: Header=BB8_526 Depth=2
	s_or_b32 exec_lo, exec_lo, s12
	v_and_b32_e32 v21, 0xffff0000, v10
	v_and_b32_e32 v20, 0xffff0000, v20
	s_delay_alu instid0(VALU_DEP_2) | instskip(NEXT) | instid1(VALU_DEP_1)
	v_mov_b32_e32 v10, v21
	v_pk_add_f32 v[20:21], v[10:11], v[20:21]
	s_delay_alu instid0(VALU_DEP_1) | instskip(NEXT) | instid1(VALU_DEP_1)
	v_and_b32_e32 v10, 0x7f800000, v20
	v_cmp_ne_u32_e32 vcc_lo, 0x7f800000, v10
                                        ; implicit-def: $vgpr10
	s_and_saveexec_b32 s12, vcc_lo
	s_delay_alu instid0(SALU_CYCLE_1)
	s_xor_b32 s12, exec_lo, s12
; %bb.566:                              ;   in Loop: Header=BB8_526 Depth=2
	v_bfe_u32 v10, v20, 16, 1
	s_delay_alu instid0(VALU_DEP_1)
	v_add3_u32 v10, v20, v10, 0x7fff
                                        ; implicit-def: $vgpr20_vgpr21
; %bb.567:                              ;   in Loop: Header=BB8_526 Depth=2
	s_and_not1_saveexec_b32 s12, s12
; %bb.568:                              ;   in Loop: Header=BB8_526 Depth=2
	v_and_b32_e32 v10, 0xffff, v20
	v_or_b32_e32 v21, 0x10000, v20
	s_delay_alu instid0(VALU_DEP_2) | instskip(NEXT) | instid1(VALU_DEP_2)
	v_cmp_eq_u32_e32 vcc_lo, 0, v10
	v_cndmask_b32_e32 v10, v21, v20, vcc_lo
; %bb.569:                              ;   in Loop: Header=BB8_526 Depth=2
	s_or_b32 exec_lo, exec_lo, s12
	v_and_b32_e32 v20, 0xffff0000, v37
	v_lshlrev_b32_e32 v21, 16, v11
	s_delay_alu instid0(VALU_DEP_1) | instskip(NEXT) | instid1(VALU_DEP_1)
	v_add_f32_e32 v21, v20, v21
	v_and_b32_e32 v20, 0x7f800000, v21
	s_delay_alu instid0(VALU_DEP_1) | instskip(SKIP_1) | instid1(SALU_CYCLE_1)
	v_cmp_ne_u32_e32 vcc_lo, 0x7f800000, v20
                                        ; implicit-def: $vgpr20
	s_and_saveexec_b32 s12, vcc_lo
	s_xor_b32 s12, exec_lo, s12
; %bb.570:                              ;   in Loop: Header=BB8_526 Depth=2
	v_bfe_u32 v20, v21, 16, 1
	s_delay_alu instid0(VALU_DEP_1)
	v_add3_u32 v20, v21, v20, 0x7fff
                                        ; implicit-def: $vgpr21
; %bb.571:                              ;   in Loop: Header=BB8_526 Depth=2
	s_and_not1_saveexec_b32 s12, s12
; %bb.572:                              ;   in Loop: Header=BB8_526 Depth=2
	v_and_b32_e32 v20, 0xffff, v21
	v_or_b32_e32 v37, 0x10000, v21
	s_delay_alu instid0(VALU_DEP_2) | instskip(NEXT) | instid1(VALU_DEP_2)
	v_cmp_eq_u32_e32 vcc_lo, 0, v20
	v_cndmask_b32_e32 v20, v37, v21, vcc_lo
; %bb.573:                              ;   in Loop: Header=BB8_526 Depth=2
	s_or_b32 exec_lo, exec_lo, s12
	v_and_b32_e32 v11, 0xffff0000, v11
	v_and_b32_e32 v21, 0xffff0000, v35
	s_delay_alu instid0(VALU_DEP_1) | instskip(NEXT) | instid1(VALU_DEP_1)
	v_add_f32_e32 v21, v21, v11
	v_and_b32_e32 v11, 0x7f800000, v21
	s_delay_alu instid0(VALU_DEP_1) | instskip(SKIP_1) | instid1(SALU_CYCLE_1)
	v_cmp_ne_u32_e32 vcc_lo, 0x7f800000, v11
                                        ; implicit-def: $vgpr11
	s_and_saveexec_b32 s12, vcc_lo
	s_xor_b32 s12, exec_lo, s12
; %bb.574:                              ;   in Loop: Header=BB8_526 Depth=2
	v_bfe_u32 v11, v21, 16, 1
	s_delay_alu instid0(VALU_DEP_1)
	v_add3_u32 v11, v21, v11, 0x7fff
                                        ; implicit-def: $vgpr21
; %bb.575:                              ;   in Loop: Header=BB8_526 Depth=2
	s_and_not1_saveexec_b32 s12, s12
; %bb.576:                              ;   in Loop: Header=BB8_526 Depth=2
	v_and_b32_e32 v11, 0xffff, v21
	v_or_b32_e32 v35, 0x10000, v21
	s_delay_alu instid0(VALU_DEP_2) | instskip(NEXT) | instid1(VALU_DEP_2)
	v_cmp_eq_u32_e32 vcc_lo, 0, v11
	v_cndmask_b32_e32 v11, v35, v21, vcc_lo
; %bb.577:                              ;   in Loop: Header=BB8_526 Depth=2
	s_or_b32 exec_lo, exec_lo, s12
	v_and_b32_e32 v21, 0xffff0000, v36
	v_lshlrev_b32_e32 v35, 16, v12
	s_delay_alu instid0(VALU_DEP_1) | instskip(NEXT) | instid1(VALU_DEP_1)
	v_add_f32_e32 v35, v21, v35
	v_and_b32_e32 v21, 0x7f800000, v35
	s_delay_alu instid0(VALU_DEP_1) | instskip(SKIP_1) | instid1(SALU_CYCLE_1)
	v_cmp_ne_u32_e32 vcc_lo, 0x7f800000, v21
                                        ; implicit-def: $vgpr21
	s_and_saveexec_b32 s12, vcc_lo
	s_xor_b32 s12, exec_lo, s12
; %bb.578:                              ;   in Loop: Header=BB8_526 Depth=2
	v_bfe_u32 v21, v35, 16, 1
	s_delay_alu instid0(VALU_DEP_1)
	v_add3_u32 v21, v35, v21, 0x7fff
                                        ; implicit-def: $vgpr35
; %bb.579:                              ;   in Loop: Header=BB8_526 Depth=2
	s_and_not1_saveexec_b32 s12, s12
; %bb.580:                              ;   in Loop: Header=BB8_526 Depth=2
	v_and_b32_e32 v21, 0xffff, v35
	v_or_b32_e32 v36, 0x10000, v35
	s_delay_alu instid0(VALU_DEP_2) | instskip(NEXT) | instid1(VALU_DEP_2)
	v_cmp_eq_u32_e32 vcc_lo, 0, v21
	v_cndmask_b32_e32 v21, v36, v35, vcc_lo
; %bb.581:                              ;   in Loop: Header=BB8_526 Depth=2
	s_or_b32 exec_lo, exec_lo, s12
	v_and_b32_e32 v12, 0xffff0000, v12
	v_and_b32_e32 v33, 0xffff0000, v33
	s_delay_alu instid0(VALU_DEP_1) | instskip(NEXT) | instid1(VALU_DEP_1)
	v_add_f32_e32 v33, v33, v12
	v_and_b32_e32 v12, 0x7f800000, v33
	s_delay_alu instid0(VALU_DEP_1) | instskip(SKIP_1) | instid1(SALU_CYCLE_1)
	v_cmp_ne_u32_e32 vcc_lo, 0x7f800000, v12
                                        ; implicit-def: $vgpr12
	s_and_saveexec_b32 s12, vcc_lo
	s_xor_b32 s12, exec_lo, s12
; %bb.582:                              ;   in Loop: Header=BB8_526 Depth=2
	v_bfe_u32 v12, v33, 16, 1
	s_delay_alu instid0(VALU_DEP_1)
	v_add3_u32 v12, v33, v12, 0x7fff
                                        ; implicit-def: $vgpr33
; %bb.583:                              ;   in Loop: Header=BB8_526 Depth=2
	s_and_not1_saveexec_b32 s12, s12
; %bb.584:                              ;   in Loop: Header=BB8_526 Depth=2
	v_and_b32_e32 v12, 0xffff, v33
	v_or_b32_e32 v35, 0x10000, v33
	s_delay_alu instid0(VALU_DEP_2) | instskip(NEXT) | instid1(VALU_DEP_2)
	v_cmp_eq_u32_e32 vcc_lo, 0, v12
	v_cndmask_b32_e32 v12, v35, v33, vcc_lo
; %bb.585:                              ;   in Loop: Header=BB8_526 Depth=2
	s_or_b32 exec_lo, exec_lo, s12
	v_and_b32_e32 v33, 0xffff0000, v34
	v_lshlrev_b32_e32 v34, 16, v13
	s_delay_alu instid0(VALU_DEP_1) | instskip(NEXT) | instid1(VALU_DEP_1)
	v_add_f32_e32 v34, v33, v34
	v_and_b32_e32 v33, 0x7f800000, v34
	s_delay_alu instid0(VALU_DEP_1) | instskip(SKIP_1) | instid1(SALU_CYCLE_1)
	v_cmp_ne_u32_e32 vcc_lo, 0x7f800000, v33
                                        ; implicit-def: $vgpr33
	s_and_saveexec_b32 s12, vcc_lo
	s_xor_b32 s12, exec_lo, s12
; %bb.586:                              ;   in Loop: Header=BB8_526 Depth=2
	v_bfe_u32 v33, v34, 16, 1
	s_delay_alu instid0(VALU_DEP_1)
	v_add3_u32 v33, v34, v33, 0x7fff
                                        ; implicit-def: $vgpr34
; %bb.587:                              ;   in Loop: Header=BB8_526 Depth=2
	s_and_not1_saveexec_b32 s12, s12
; %bb.588:                              ;   in Loop: Header=BB8_526 Depth=2
	v_and_b32_e32 v33, 0xffff, v34
	v_or_b32_e32 v35, 0x10000, v34
	s_delay_alu instid0(VALU_DEP_2) | instskip(NEXT) | instid1(VALU_DEP_2)
	v_cmp_eq_u32_e32 vcc_lo, 0, v33
	v_cndmask_b32_e32 v33, v35, v34, vcc_lo
; %bb.589:                              ;   in Loop: Header=BB8_526 Depth=2
	s_or_b32 exec_lo, exec_lo, s12
	v_and_b32_e32 v13, 0xffff0000, v13
	v_and_b32_e32 v29, 0xffff0000, v29
	s_delay_alu instid0(VALU_DEP_1) | instskip(NEXT) | instid1(VALU_DEP_1)
	v_add_f32_e32 v29, v29, v13
	v_and_b32_e32 v13, 0x7f800000, v29
	s_delay_alu instid0(VALU_DEP_1) | instskip(SKIP_1) | instid1(SALU_CYCLE_1)
	v_cmp_ne_u32_e32 vcc_lo, 0x7f800000, v13
                                        ; implicit-def: $vgpr13
	s_and_saveexec_b32 s12, vcc_lo
	s_xor_b32 s12, exec_lo, s12
; %bb.590:                              ;   in Loop: Header=BB8_526 Depth=2
	v_bfe_u32 v13, v29, 16, 1
	s_delay_alu instid0(VALU_DEP_1)
	v_add3_u32 v13, v29, v13, 0x7fff
                                        ; implicit-def: $vgpr29
; %bb.591:                              ;   in Loop: Header=BB8_526 Depth=2
	s_and_not1_saveexec_b32 s12, s12
; %bb.592:                              ;   in Loop: Header=BB8_526 Depth=2
	v_and_b32_e32 v13, 0xffff, v29
	v_or_b32_e32 v34, 0x10000, v29
	s_delay_alu instid0(VALU_DEP_2) | instskip(NEXT) | instid1(VALU_DEP_2)
	v_cmp_eq_u32_e32 vcc_lo, 0, v13
	v_cndmask_b32_e32 v13, v34, v29, vcc_lo
; %bb.593:                              ;   in Loop: Header=BB8_526 Depth=2
	s_or_b32 exec_lo, exec_lo, s12
	v_dual_lshrrev_b32 v20, 16, v20 :: v_dual_lshrrev_b32 v21, 16, v21
	v_dual_lshrrev_b32 v29, 16, v32 :: v_dual_lshrrev_b32 v32, 16, v33
	s_delay_alu instid0(VALU_DEP_2) | instskip(NEXT) | instid1(VALU_DEP_3)
	v_and_or_b32 v11, 0xffff0000, v11, v20
	v_and_or_b32 v12, 0xffff0000, v12, v21
	s_delay_alu instid0(VALU_DEP_3) | instskip(NEXT) | instid1(VALU_DEP_4)
	v_and_or_b32 v10, 0xffff0000, v10, v29
	v_and_or_b32 v13, 0xffff0000, v13, v32
	global_store_b128 v[14:15], v[10:13], off th:TH_STORE_NT
	s_wait_xcnt 0x0
	v_add_nc_u64_e32 v[14:15], v[116:117], v[14:15]
	scratch_store_b128 off, v[10:13], s33 offset:208
.LBB8_594:                              ;   in Loop: Header=BB8_526 Depth=2
	s_wait_xcnt 0x0
	s_or_b32 exec_lo, exec_lo, s11
	v_sub_nc_u32_e32 v27, v27, v74
	v_add_nc_u64_e32 v[16:17], v[16:17], v[100:101]
	v_add_nc_u64_e32 v[18:19], v[18:19], v[100:101]
	s_delay_alu instid0(VALU_DEP_3)
	v_cmp_lt_i32_e64 s42, 15, v27
	s_and_saveexec_b32 s43, s42
	s_cbranch_execz .LBB8_597
; %bb.595:                              ;   in Loop: Header=BB8_526 Depth=2
	s_add_co_i32 s11, s33, 0xd0
	s_mov_b64 s[14:15], 0
	s_mov_b32 s44, s11
	s_mov_b32 s45, -1
.LBB8_596:                              ;   Parent Loop BB8_49 Depth=1
                                        ;     Parent Loop BB8_526 Depth=2
                                        ; =>    This Inner Loop Header: Depth=3
	s_cmp_eq_u32 s14, 1
	s_cselect_b32 vcc_lo, -1, 0
	s_cmp_eq_u32 s14, 0
	v_dual_cndmask_b32 v21, v17, v19 :: v_dual_cndmask_b32 v20, v16, v18
	s_cselect_b32 s11, -1, 0
	s_and_b32 s12, exec_lo, s45
	s_mov_b64 s[14:15], 1
	s_mov_b32 s45, 0
	global_load_b128 v[10:13], v[20:21], off th:TH_LOAD_NT
	s_wait_xcnt 0x0
	v_add_nc_u64_e32 v[20:21], 0x200, v[20:21]
	s_delay_alu instid0(VALU_DEP_1)
	v_dual_cndmask_b32 v17, v17, v21, s11 :: v_dual_cndmask_b32 v16, v16, v20, s11
	v_dual_cndmask_b32 v19, v19, v21 :: v_dual_cndmask_b32 v18, v18, v20
	s_mov_b32 vcc_lo, s12
	s_wait_loadcnt 0x0
	scratch_store_b128 off, v[10:13], s44
	s_wait_xcnt 0x0
	s_mov_b32 s44, s23
	s_cbranch_vccnz .LBB8_596
.LBB8_597:                              ;   in Loop: Header=BB8_526 Depth=2
	s_or_b32 exec_lo, exec_lo, s43
	scratch_load_b128 v[10:13], off, s33 offset:176
	s_wait_loadcnt 0x0
	v_lshlrev_b32_e32 v20, 16, v10
	s_delay_alu instid0(VALU_DEP_1) | instskip(NEXT) | instid1(VALU_DEP_1)
	v_mul_f32_e32 v20, v28, v20
	v_and_b32_e32 v21, 0x7f800000, v20
	s_delay_alu instid0(VALU_DEP_1) | instskip(SKIP_2) | instid1(SALU_CYCLE_1)
	v_cmp_ne_u32_e32 vcc_lo, 0x7f800000, v21
                                        ; implicit-def: $vgpr21
	s_wait_xcnt 0x0
	s_and_saveexec_b32 s11, vcc_lo
	s_xor_b32 s11, exec_lo, s11
; %bb.598:                              ;   in Loop: Header=BB8_526 Depth=2
	v_bfe_u32 v21, v20, 16, 1
	s_delay_alu instid0(VALU_DEP_1)
	v_add3_u32 v21, v20, v21, 0x7fff
                                        ; implicit-def: $vgpr20
; %bb.599:                              ;   in Loop: Header=BB8_526 Depth=2
	s_and_not1_saveexec_b32 s11, s11
; %bb.600:                              ;   in Loop: Header=BB8_526 Depth=2
	v_and_b32_e32 v21, 0xffff, v20
	v_or_b32_e32 v29, 0x10000, v20
	s_delay_alu instid0(VALU_DEP_2) | instskip(NEXT) | instid1(VALU_DEP_2)
	v_cmp_eq_u32_e32 vcc_lo, 0, v21
	v_cndmask_b32_e32 v21, v29, v20, vcc_lo
; %bb.601:                              ;   in Loop: Header=BB8_526 Depth=2
	s_or_b32 exec_lo, exec_lo, s11
	v_and_b32_e32 v10, 0xffff0000, v10
	s_delay_alu instid0(VALU_DEP_1) | instskip(NEXT) | instid1(VALU_DEP_1)
	v_mul_f32_e32 v10, v28, v10
	v_and_b32_e32 v20, 0x7f800000, v10
	s_delay_alu instid0(VALU_DEP_1) | instskip(SKIP_1) | instid1(SALU_CYCLE_1)
	v_cmp_ne_u32_e32 vcc_lo, 0x7f800000, v20
                                        ; implicit-def: $vgpr20
	s_and_saveexec_b32 s11, vcc_lo
	s_xor_b32 s11, exec_lo, s11
; %bb.602:                              ;   in Loop: Header=BB8_526 Depth=2
	v_bfe_u32 v20, v10, 16, 1
	s_delay_alu instid0(VALU_DEP_1)
	v_add3_u32 v20, v10, v20, 0x7fff
                                        ; implicit-def: $vgpr10
; %bb.603:                              ;   in Loop: Header=BB8_526 Depth=2
	s_and_not1_saveexec_b32 s11, s11
; %bb.604:                              ;   in Loop: Header=BB8_526 Depth=2
	v_and_b32_e32 v20, 0xffff, v10
	v_or_b32_e32 v29, 0x10000, v10
	s_delay_alu instid0(VALU_DEP_2) | instskip(NEXT) | instid1(VALU_DEP_2)
	v_cmp_eq_u32_e32 vcc_lo, 0, v20
	v_cndmask_b32_e32 v20, v29, v10, vcc_lo
; %bb.605:                              ;   in Loop: Header=BB8_526 Depth=2
	s_or_b32 exec_lo, exec_lo, s11
	v_lshlrev_b32_e32 v10, 16, v11
	s_mov_b32 s11, exec_lo
                                        ; implicit-def: $vgpr37
	s_delay_alu instid0(VALU_DEP_1) | instskip(NEXT) | instid1(VALU_DEP_1)
	v_mul_f32_e32 v10, v28, v10
	v_and_b32_e32 v29, 0x7f800000, v10
	s_delay_alu instid0(VALU_DEP_1)
	v_cmpx_ne_u32_e32 0x7f800000, v29
	s_xor_b32 s11, exec_lo, s11
; %bb.606:                              ;   in Loop: Header=BB8_526 Depth=2
	v_bfe_u32 v29, v10, 16, 1
	s_delay_alu instid0(VALU_DEP_1)
	v_add3_u32 v37, v10, v29, 0x7fff
                                        ; implicit-def: $vgpr10
; %bb.607:                              ;   in Loop: Header=BB8_526 Depth=2
	s_and_not1_saveexec_b32 s11, s11
; %bb.608:                              ;   in Loop: Header=BB8_526 Depth=2
	v_and_b32_e32 v29, 0xffff, v10
	v_or_b32_e32 v32, 0x10000, v10
	s_delay_alu instid0(VALU_DEP_2) | instskip(NEXT) | instid1(VALU_DEP_2)
	v_cmp_eq_u32_e32 vcc_lo, 0, v29
	v_cndmask_b32_e32 v37, v32, v10, vcc_lo
; %bb.609:                              ;   in Loop: Header=BB8_526 Depth=2
	s_or_b32 exec_lo, exec_lo, s11
	v_and_b32_e32 v10, 0xffff0000, v11
	s_mov_b32 s11, exec_lo
                                        ; implicit-def: $vgpr35
	s_delay_alu instid0(VALU_DEP_1) | instskip(NEXT) | instid1(VALU_DEP_1)
	v_mul_f32_e32 v10, v28, v10
	v_and_b32_e32 v11, 0x7f800000, v10
	s_delay_alu instid0(VALU_DEP_1)
	v_cmpx_ne_u32_e32 0x7f800000, v11
	s_xor_b32 s11, exec_lo, s11
; %bb.610:                              ;   in Loop: Header=BB8_526 Depth=2
	v_bfe_u32 v11, v10, 16, 1
	s_delay_alu instid0(VALU_DEP_1)
	v_add3_u32 v35, v10, v11, 0x7fff
                                        ; implicit-def: $vgpr10
; %bb.611:                              ;   in Loop: Header=BB8_526 Depth=2
	s_and_not1_saveexec_b32 s11, s11
; %bb.612:                              ;   in Loop: Header=BB8_526 Depth=2
	v_and_b32_e32 v11, 0xffff, v10
	v_or_b32_e32 v29, 0x10000, v10
	s_delay_alu instid0(VALU_DEP_2) | instskip(NEXT) | instid1(VALU_DEP_2)
	v_cmp_eq_u32_e32 vcc_lo, 0, v11
	v_cndmask_b32_e32 v35, v29, v10, vcc_lo
; %bb.613:                              ;   in Loop: Header=BB8_526 Depth=2
	s_or_b32 exec_lo, exec_lo, s11
	v_lshlrev_b32_e32 v10, 16, v12
	s_mov_b32 s11, exec_lo
                                        ; implicit-def: $vgpr36
	s_delay_alu instid0(VALU_DEP_1) | instskip(NEXT) | instid1(VALU_DEP_1)
	v_mul_f32_e32 v10, v28, v10
	v_and_b32_e32 v11, 0x7f800000, v10
	s_delay_alu instid0(VALU_DEP_1)
	v_cmpx_ne_u32_e32 0x7f800000, v11
	s_xor_b32 s11, exec_lo, s11
; %bb.614:                              ;   in Loop: Header=BB8_526 Depth=2
	v_bfe_u32 v11, v10, 16, 1
	s_delay_alu instid0(VALU_DEP_1)
	v_add3_u32 v36, v10, v11, 0x7fff
                                        ; implicit-def: $vgpr10
; %bb.615:                              ;   in Loop: Header=BB8_526 Depth=2
	s_and_not1_saveexec_b32 s11, s11
; %bb.616:                              ;   in Loop: Header=BB8_526 Depth=2
	v_and_b32_e32 v11, 0xffff, v10
	v_or_b32_e32 v29, 0x10000, v10
	s_delay_alu instid0(VALU_DEP_2) | instskip(NEXT) | instid1(VALU_DEP_2)
	v_cmp_eq_u32_e32 vcc_lo, 0, v11
	v_cndmask_b32_e32 v36, v29, v10, vcc_lo
; %bb.617:                              ;   in Loop: Header=BB8_526 Depth=2
	s_or_b32 exec_lo, exec_lo, s11
	v_and_b32_e32 v10, 0xffff0000, v12
	s_mov_b32 s11, exec_lo
                                        ; implicit-def: $vgpr33
	s_delay_alu instid0(VALU_DEP_1) | instskip(NEXT) | instid1(VALU_DEP_1)
	v_mul_f32_e32 v10, v28, v10
	v_and_b32_e32 v11, 0x7f800000, v10
	s_delay_alu instid0(VALU_DEP_1)
	v_cmpx_ne_u32_e32 0x7f800000, v11
	s_xor_b32 s11, exec_lo, s11
; %bb.618:                              ;   in Loop: Header=BB8_526 Depth=2
	v_bfe_u32 v11, v10, 16, 1
	s_delay_alu instid0(VALU_DEP_1)
	v_add3_u32 v33, v10, v11, 0x7fff
                                        ; implicit-def: $vgpr10
; %bb.619:                              ;   in Loop: Header=BB8_526 Depth=2
	s_and_not1_saveexec_b32 s11, s11
; %bb.620:                              ;   in Loop: Header=BB8_526 Depth=2
	v_and_b32_e32 v11, 0xffff, v10
	v_or_b32_e32 v12, 0x10000, v10
	s_delay_alu instid0(VALU_DEP_2) | instskip(NEXT) | instid1(VALU_DEP_2)
	v_cmp_eq_u32_e32 vcc_lo, 0, v11
	v_cndmask_b32_e32 v33, v12, v10, vcc_lo
; %bb.621:                              ;   in Loop: Header=BB8_526 Depth=2
	s_or_b32 exec_lo, exec_lo, s11
	v_lshlrev_b32_e32 v10, 16, v13
	s_mov_b32 s11, exec_lo
                                        ; implicit-def: $vgpr34
	s_delay_alu instid0(VALU_DEP_1) | instskip(NEXT) | instid1(VALU_DEP_1)
	v_mul_f32_e32 v10, v28, v10
	v_and_b32_e32 v11, 0x7f800000, v10
	s_delay_alu instid0(VALU_DEP_1)
	v_cmpx_ne_u32_e32 0x7f800000, v11
	s_xor_b32 s11, exec_lo, s11
; %bb.622:                              ;   in Loop: Header=BB8_526 Depth=2
	v_bfe_u32 v11, v10, 16, 1
	s_delay_alu instid0(VALU_DEP_1)
	v_add3_u32 v34, v10, v11, 0x7fff
                                        ; implicit-def: $vgpr10
; %bb.623:                              ;   in Loop: Header=BB8_526 Depth=2
	s_and_not1_saveexec_b32 s11, s11
; %bb.624:                              ;   in Loop: Header=BB8_526 Depth=2
	v_and_b32_e32 v11, 0xffff, v10
	v_or_b32_e32 v12, 0x10000, v10
	s_delay_alu instid0(VALU_DEP_2) | instskip(NEXT) | instid1(VALU_DEP_2)
	v_cmp_eq_u32_e32 vcc_lo, 0, v11
	v_cndmask_b32_e32 v34, v12, v10, vcc_lo
; %bb.625:                              ;   in Loop: Header=BB8_526 Depth=2
	s_or_b32 exec_lo, exec_lo, s11
	v_and_b32_e32 v10, 0xffff0000, v13
	s_mov_b32 s11, exec_lo
                                        ; implicit-def: $vgpr32
	s_delay_alu instid0(VALU_DEP_1) | instskip(NEXT) | instid1(VALU_DEP_1)
	v_mul_f32_e32 v10, v28, v10
	v_and_b32_e32 v11, 0x7f800000, v10
	s_delay_alu instid0(VALU_DEP_1)
	v_cmpx_ne_u32_e32 0x7f800000, v11
	s_xor_b32 s11, exec_lo, s11
; %bb.626:                              ;   in Loop: Header=BB8_526 Depth=2
	v_bfe_u32 v11, v10, 16, 1
	s_delay_alu instid0(VALU_DEP_1)
	v_add3_u32 v32, v10, v11, 0x7fff
                                        ; implicit-def: $vgpr10
; %bb.627:                              ;   in Loop: Header=BB8_526 Depth=2
	s_and_not1_saveexec_b32 s11, s11
; %bb.628:                              ;   in Loop: Header=BB8_526 Depth=2
	v_and_b32_e32 v11, 0xffff, v10
	v_or_b32_e32 v12, 0x10000, v10
	s_delay_alu instid0(VALU_DEP_2) | instskip(NEXT) | instid1(VALU_DEP_2)
	v_cmp_eq_u32_e32 vcc_lo, 0, v11
	v_cndmask_b32_e32 v32, v12, v10, vcc_lo
; %bb.629:                              ;   in Loop: Header=BB8_526 Depth=2
	s_or_b32 exec_lo, exec_lo, s11
	scratch_load_b128 v[10:13], off, s33 offset:192
	v_and_b32_e32 v21, 0xffff0000, v21
	s_wait_loadcnt 0x0
	v_lshlrev_b32_e32 v29, 16, v10
	s_delay_alu instid0(VALU_DEP_1) | instskip(NEXT) | instid1(VALU_DEP_1)
	v_add_f32_e32 v21, v21, v29
	v_and_b32_e32 v29, 0x7f800000, v21
	s_delay_alu instid0(VALU_DEP_1) | instskip(SKIP_2) | instid1(SALU_CYCLE_1)
	v_cmp_ne_u32_e32 vcc_lo, 0x7f800000, v29
                                        ; implicit-def: $vgpr29
	s_wait_xcnt 0x0
	s_and_saveexec_b32 s11, vcc_lo
	s_xor_b32 s11, exec_lo, s11
; %bb.630:                              ;   in Loop: Header=BB8_526 Depth=2
	v_bfe_u32 v29, v21, 16, 1
	s_delay_alu instid0(VALU_DEP_1)
	v_add3_u32 v29, v21, v29, 0x7fff
                                        ; implicit-def: $vgpr21
; %bb.631:                              ;   in Loop: Header=BB8_526 Depth=2
	s_and_not1_saveexec_b32 s11, s11
; %bb.632:                              ;   in Loop: Header=BB8_526 Depth=2
	v_and_b32_e32 v29, 0xffff, v21
	v_or_b32_e32 v38, 0x10000, v21
	s_delay_alu instid0(VALU_DEP_2) | instskip(NEXT) | instid1(VALU_DEP_2)
	v_cmp_eq_u32_e32 vcc_lo, 0, v29
	v_cndmask_b32_e32 v29, v38, v21, vcc_lo
; %bb.633:                              ;   in Loop: Header=BB8_526 Depth=2
	s_or_b32 exec_lo, exec_lo, s11
	v_and_b32_e32 v21, 0xffff0000, v10
	v_and_b32_e32 v20, 0xffff0000, v20
	s_delay_alu instid0(VALU_DEP_2) | instskip(NEXT) | instid1(VALU_DEP_1)
	v_mov_b32_e32 v10, v21
	v_pk_add_f32 v[20:21], v[10:11], v[20:21]
	s_delay_alu instid0(VALU_DEP_1) | instskip(NEXT) | instid1(VALU_DEP_1)
	v_and_b32_e32 v10, 0x7f800000, v20
	v_cmp_ne_u32_e32 vcc_lo, 0x7f800000, v10
                                        ; implicit-def: $vgpr10
	s_and_saveexec_b32 s11, vcc_lo
	s_delay_alu instid0(SALU_CYCLE_1)
	s_xor_b32 s11, exec_lo, s11
; %bb.634:                              ;   in Loop: Header=BB8_526 Depth=2
	v_bfe_u32 v10, v20, 16, 1
	s_delay_alu instid0(VALU_DEP_1)
	v_add3_u32 v10, v20, v10, 0x7fff
                                        ; implicit-def: $vgpr20_vgpr21
; %bb.635:                              ;   in Loop: Header=BB8_526 Depth=2
	s_and_not1_saveexec_b32 s11, s11
; %bb.636:                              ;   in Loop: Header=BB8_526 Depth=2
	v_and_b32_e32 v10, 0xffff, v20
	v_or_b32_e32 v21, 0x10000, v20
	s_delay_alu instid0(VALU_DEP_2) | instskip(NEXT) | instid1(VALU_DEP_2)
	v_cmp_eq_u32_e32 vcc_lo, 0, v10
	v_cndmask_b32_e32 v10, v21, v20, vcc_lo
; %bb.637:                              ;   in Loop: Header=BB8_526 Depth=2
	s_or_b32 exec_lo, exec_lo, s11
	v_and_b32_e32 v20, 0xffff0000, v37
	v_lshlrev_b32_e32 v21, 16, v11
	s_delay_alu instid0(VALU_DEP_1) | instskip(NEXT) | instid1(VALU_DEP_1)
	v_add_f32_e32 v21, v20, v21
	v_and_b32_e32 v20, 0x7f800000, v21
	s_delay_alu instid0(VALU_DEP_1) | instskip(SKIP_1) | instid1(SALU_CYCLE_1)
	v_cmp_ne_u32_e32 vcc_lo, 0x7f800000, v20
                                        ; implicit-def: $vgpr20
	s_and_saveexec_b32 s11, vcc_lo
	s_xor_b32 s11, exec_lo, s11
; %bb.638:                              ;   in Loop: Header=BB8_526 Depth=2
	v_bfe_u32 v20, v21, 16, 1
	s_delay_alu instid0(VALU_DEP_1)
	v_add3_u32 v20, v21, v20, 0x7fff
                                        ; implicit-def: $vgpr21
; %bb.639:                              ;   in Loop: Header=BB8_526 Depth=2
	s_and_not1_saveexec_b32 s11, s11
; %bb.640:                              ;   in Loop: Header=BB8_526 Depth=2
	v_and_b32_e32 v20, 0xffff, v21
	v_or_b32_e32 v37, 0x10000, v21
	s_delay_alu instid0(VALU_DEP_2) | instskip(NEXT) | instid1(VALU_DEP_2)
	v_cmp_eq_u32_e32 vcc_lo, 0, v20
	v_cndmask_b32_e32 v20, v37, v21, vcc_lo
; %bb.641:                              ;   in Loop: Header=BB8_526 Depth=2
	s_or_b32 exec_lo, exec_lo, s11
	v_and_b32_e32 v11, 0xffff0000, v11
	v_and_b32_e32 v21, 0xffff0000, v35
	s_delay_alu instid0(VALU_DEP_1) | instskip(NEXT) | instid1(VALU_DEP_1)
	v_add_f32_e32 v21, v21, v11
	v_and_b32_e32 v11, 0x7f800000, v21
	s_delay_alu instid0(VALU_DEP_1) | instskip(SKIP_1) | instid1(SALU_CYCLE_1)
	v_cmp_ne_u32_e32 vcc_lo, 0x7f800000, v11
                                        ; implicit-def: $vgpr11
	s_and_saveexec_b32 s11, vcc_lo
	s_xor_b32 s11, exec_lo, s11
; %bb.642:                              ;   in Loop: Header=BB8_526 Depth=2
	v_bfe_u32 v11, v21, 16, 1
	s_delay_alu instid0(VALU_DEP_1)
	v_add3_u32 v11, v21, v11, 0x7fff
                                        ; implicit-def: $vgpr21
; %bb.643:                              ;   in Loop: Header=BB8_526 Depth=2
	s_and_not1_saveexec_b32 s11, s11
; %bb.644:                              ;   in Loop: Header=BB8_526 Depth=2
	v_and_b32_e32 v11, 0xffff, v21
	v_or_b32_e32 v35, 0x10000, v21
	s_delay_alu instid0(VALU_DEP_2) | instskip(NEXT) | instid1(VALU_DEP_2)
	v_cmp_eq_u32_e32 vcc_lo, 0, v11
	v_cndmask_b32_e32 v11, v35, v21, vcc_lo
; %bb.645:                              ;   in Loop: Header=BB8_526 Depth=2
	s_or_b32 exec_lo, exec_lo, s11
	v_and_b32_e32 v21, 0xffff0000, v36
	v_lshlrev_b32_e32 v35, 16, v12
	s_delay_alu instid0(VALU_DEP_1) | instskip(NEXT) | instid1(VALU_DEP_1)
	v_add_f32_e32 v35, v21, v35
	v_and_b32_e32 v21, 0x7f800000, v35
	s_delay_alu instid0(VALU_DEP_1) | instskip(SKIP_1) | instid1(SALU_CYCLE_1)
	v_cmp_ne_u32_e32 vcc_lo, 0x7f800000, v21
                                        ; implicit-def: $vgpr21
	s_and_saveexec_b32 s11, vcc_lo
	s_xor_b32 s11, exec_lo, s11
; %bb.646:                              ;   in Loop: Header=BB8_526 Depth=2
	v_bfe_u32 v21, v35, 16, 1
	s_delay_alu instid0(VALU_DEP_1)
	v_add3_u32 v21, v35, v21, 0x7fff
                                        ; implicit-def: $vgpr35
; %bb.647:                              ;   in Loop: Header=BB8_526 Depth=2
	s_and_not1_saveexec_b32 s11, s11
; %bb.648:                              ;   in Loop: Header=BB8_526 Depth=2
	v_and_b32_e32 v21, 0xffff, v35
	v_or_b32_e32 v36, 0x10000, v35
	s_delay_alu instid0(VALU_DEP_2) | instskip(NEXT) | instid1(VALU_DEP_2)
	v_cmp_eq_u32_e32 vcc_lo, 0, v21
	v_cndmask_b32_e32 v21, v36, v35, vcc_lo
; %bb.649:                              ;   in Loop: Header=BB8_526 Depth=2
	s_or_b32 exec_lo, exec_lo, s11
	v_and_b32_e32 v12, 0xffff0000, v12
	v_and_b32_e32 v33, 0xffff0000, v33
	s_delay_alu instid0(VALU_DEP_1) | instskip(NEXT) | instid1(VALU_DEP_1)
	v_add_f32_e32 v33, v33, v12
	v_and_b32_e32 v12, 0x7f800000, v33
	s_delay_alu instid0(VALU_DEP_1) | instskip(SKIP_1) | instid1(SALU_CYCLE_1)
	v_cmp_ne_u32_e32 vcc_lo, 0x7f800000, v12
                                        ; implicit-def: $vgpr12
	s_and_saveexec_b32 s11, vcc_lo
	s_xor_b32 s11, exec_lo, s11
; %bb.650:                              ;   in Loop: Header=BB8_526 Depth=2
	v_bfe_u32 v12, v33, 16, 1
	s_delay_alu instid0(VALU_DEP_1)
	v_add3_u32 v12, v33, v12, 0x7fff
                                        ; implicit-def: $vgpr33
; %bb.651:                              ;   in Loop: Header=BB8_526 Depth=2
	s_and_not1_saveexec_b32 s11, s11
; %bb.652:                              ;   in Loop: Header=BB8_526 Depth=2
	v_and_b32_e32 v12, 0xffff, v33
	v_or_b32_e32 v35, 0x10000, v33
	s_delay_alu instid0(VALU_DEP_2) | instskip(NEXT) | instid1(VALU_DEP_2)
	v_cmp_eq_u32_e32 vcc_lo, 0, v12
	v_cndmask_b32_e32 v12, v35, v33, vcc_lo
; %bb.653:                              ;   in Loop: Header=BB8_526 Depth=2
	s_or_b32 exec_lo, exec_lo, s11
	v_and_b32_e32 v33, 0xffff0000, v34
	v_lshlrev_b32_e32 v34, 16, v13
	s_delay_alu instid0(VALU_DEP_1) | instskip(NEXT) | instid1(VALU_DEP_1)
	v_add_f32_e32 v34, v33, v34
	v_and_b32_e32 v33, 0x7f800000, v34
	s_delay_alu instid0(VALU_DEP_1) | instskip(SKIP_1) | instid1(SALU_CYCLE_1)
	v_cmp_ne_u32_e32 vcc_lo, 0x7f800000, v33
                                        ; implicit-def: $vgpr33
	s_and_saveexec_b32 s11, vcc_lo
	s_xor_b32 s11, exec_lo, s11
; %bb.654:                              ;   in Loop: Header=BB8_526 Depth=2
	v_bfe_u32 v33, v34, 16, 1
	s_delay_alu instid0(VALU_DEP_1)
	v_add3_u32 v33, v34, v33, 0x7fff
                                        ; implicit-def: $vgpr34
; %bb.655:                              ;   in Loop: Header=BB8_526 Depth=2
	s_and_not1_saveexec_b32 s11, s11
; %bb.656:                              ;   in Loop: Header=BB8_526 Depth=2
	v_and_b32_e32 v33, 0xffff, v34
	v_or_b32_e32 v35, 0x10000, v34
	s_delay_alu instid0(VALU_DEP_2) | instskip(NEXT) | instid1(VALU_DEP_2)
	v_cmp_eq_u32_e32 vcc_lo, 0, v33
	v_cndmask_b32_e32 v33, v35, v34, vcc_lo
; %bb.657:                              ;   in Loop: Header=BB8_526 Depth=2
	s_or_b32 exec_lo, exec_lo, s11
	v_and_b32_e32 v13, 0xffff0000, v13
	v_and_b32_e32 v32, 0xffff0000, v32
	s_delay_alu instid0(VALU_DEP_1) | instskip(NEXT) | instid1(VALU_DEP_1)
	v_add_f32_e32 v32, v32, v13
	v_and_b32_e32 v13, 0x7f800000, v32
	s_delay_alu instid0(VALU_DEP_1) | instskip(SKIP_1) | instid1(SALU_CYCLE_1)
	v_cmp_ne_u32_e32 vcc_lo, 0x7f800000, v13
                                        ; implicit-def: $vgpr13
	s_and_saveexec_b32 s11, vcc_lo
	s_xor_b32 s11, exec_lo, s11
; %bb.658:                              ;   in Loop: Header=BB8_526 Depth=2
	v_bfe_u32 v13, v32, 16, 1
	s_delay_alu instid0(VALU_DEP_1)
	v_add3_u32 v13, v32, v13, 0x7fff
                                        ; implicit-def: $vgpr32
; %bb.659:                              ;   in Loop: Header=BB8_526 Depth=2
	s_and_not1_saveexec_b32 s11, s11
; %bb.660:                              ;   in Loop: Header=BB8_526 Depth=2
	v_and_b32_e32 v13, 0xffff, v32
	v_or_b32_e32 v34, 0x10000, v32
	s_delay_alu instid0(VALU_DEP_2) | instskip(NEXT) | instid1(VALU_DEP_2)
	v_cmp_eq_u32_e32 vcc_lo, 0, v13
	v_cndmask_b32_e32 v13, v34, v32, vcc_lo
; %bb.661:                              ;   in Loop: Header=BB8_526 Depth=2
	s_or_b32 exec_lo, exec_lo, s11
	v_dual_lshrrev_b32 v20, 16, v20 :: v_dual_lshrrev_b32 v29, 16, v29
	v_dual_lshrrev_b32 v21, 16, v21 :: v_dual_sub_nc_u32 v26, v26, v96
	v_lshrrev_b32_e32 v32, 16, v33
	s_delay_alu instid0(VALU_DEP_3) | instskip(NEXT) | instid1(VALU_DEP_4)
	v_and_or_b32 v11, 0xffff0000, v11, v20
	v_and_or_b32 v10, 0xffff0000, v10, v29
	s_delay_alu instid0(VALU_DEP_4) | instskip(NEXT) | instid1(VALU_DEP_4)
	v_and_or_b32 v12, 0xffff0000, v12, v21
	v_and_or_b32 v13, 0xffff0000, v13, v32
	global_store_b128 v[14:15], v[10:13], off th:TH_STORE_NT
	s_wait_xcnt 0x0
	v_add_nc_u64_e32 v[14:15], 0x200, v[14:15]
	scratch_store_b128 off, v[10:13], s33 offset:176
	s_wait_xcnt 0x0
	s_and_saveexec_b32 s11, s42
	s_cbranch_execz .LBB8_525
; %bb.662:                              ;   in Loop: Header=BB8_526 Depth=2
	v_add_nc_u64_e32 v[16:17], v[16:17], v[100:101]
	v_add_nc_u64_e32 v[18:19], v[18:19], v[100:101]
	;; [unrolled: 1-line block ×3, first 2 shown]
	v_dual_sub_nc_u32 v27, v27, v74 :: v_dual_sub_nc_u32 v26, v26, v96
	s_branch .LBB8_525
.LBB8_663:                              ;   in Loop: Header=BB8_49 Depth=1
	s_or_b32 exec_lo, exec_lo, s40
	s_delay_alu instid0(SALU_CYCLE_1)
	s_and_b32 s12, s41, exec_lo
.LBB8_664:                              ;   in Loop: Header=BB8_49 Depth=1
	s_or_b32 exec_lo, exec_lo, s29
	s_and_saveexec_b32 s11, s12
	s_cbranch_execz .LBB8_730
; %bb.665:                              ;   in Loop: Header=BB8_49 Depth=1
	s_trap 2
	scratch_load_b128 v[10:13], off, s33 offset:208
	ds_load_b32 v16, v0
	s_wait_loadcnt_dscnt 0x0
	v_dual_lshlrev_b32 v18, 16, v16 :: v_dual_lshlrev_b32 v16, 16, v10
	s_delay_alu instid0(VALU_DEP_1) | instskip(NEXT) | instid1(VALU_DEP_1)
	v_mul_f32_e32 v16, v18, v16
	v_and_b32_e32 v17, 0x7f800000, v16
	s_delay_alu instid0(VALU_DEP_1) | instskip(SKIP_2) | instid1(SALU_CYCLE_1)
	v_cmp_ne_u32_e32 vcc_lo, 0x7f800000, v17
                                        ; implicit-def: $vgpr17
	s_wait_xcnt 0x0
	s_and_saveexec_b32 s12, vcc_lo
	s_xor_b32 s12, exec_lo, s12
; %bb.666:                              ;   in Loop: Header=BB8_49 Depth=1
	v_bfe_u32 v17, v16, 16, 1
	s_delay_alu instid0(VALU_DEP_1)
	v_add3_u32 v17, v16, v17, 0x7fff
                                        ; implicit-def: $vgpr16
; %bb.667:                              ;   in Loop: Header=BB8_49 Depth=1
	s_and_not1_saveexec_b32 s12, s12
; %bb.668:                              ;   in Loop: Header=BB8_49 Depth=1
	v_and_b32_e32 v17, 0xffff, v16
	v_or_b32_e32 v19, 0x10000, v16
	s_delay_alu instid0(VALU_DEP_2) | instskip(NEXT) | instid1(VALU_DEP_2)
	v_cmp_eq_u32_e32 vcc_lo, 0, v17
	v_cndmask_b32_e32 v17, v19, v16, vcc_lo
; %bb.669:                              ;   in Loop: Header=BB8_49 Depth=1
	s_or_b32 exec_lo, exec_lo, s12
	v_and_b32_e32 v10, 0xffff0000, v10
	s_delay_alu instid0(VALU_DEP_1) | instskip(NEXT) | instid1(VALU_DEP_1)
	v_mul_f32_e32 v10, v18, v10
	v_and_b32_e32 v16, 0x7f800000, v10
	s_delay_alu instid0(VALU_DEP_1) | instskip(SKIP_1) | instid1(SALU_CYCLE_1)
	v_cmp_ne_u32_e32 vcc_lo, 0x7f800000, v16
                                        ; implicit-def: $vgpr16
	s_and_saveexec_b32 s12, vcc_lo
	s_xor_b32 s12, exec_lo, s12
; %bb.670:                              ;   in Loop: Header=BB8_49 Depth=1
	v_bfe_u32 v16, v10, 16, 1
	s_delay_alu instid0(VALU_DEP_1)
	v_add3_u32 v16, v10, v16, 0x7fff
                                        ; implicit-def: $vgpr10
; %bb.671:                              ;   in Loop: Header=BB8_49 Depth=1
	s_and_not1_saveexec_b32 s12, s12
; %bb.672:                              ;   in Loop: Header=BB8_49 Depth=1
	v_and_b32_e32 v16, 0xffff, v10
	v_or_b32_e32 v19, 0x10000, v10
	s_delay_alu instid0(VALU_DEP_2) | instskip(NEXT) | instid1(VALU_DEP_2)
	v_cmp_eq_u32_e32 vcc_lo, 0, v16
	v_cndmask_b32_e32 v16, v19, v10, vcc_lo
; %bb.673:                              ;   in Loop: Header=BB8_49 Depth=1
	s_or_b32 exec_lo, exec_lo, s12
	v_lshlrev_b32_e32 v10, 16, v11
	s_mov_b32 s12, exec_lo
                                        ; implicit-def: $vgpr29
	s_delay_alu instid0(VALU_DEP_1) | instskip(NEXT) | instid1(VALU_DEP_1)
	v_mul_f32_e32 v10, v18, v10
	v_and_b32_e32 v19, 0x7f800000, v10
	s_delay_alu instid0(VALU_DEP_1)
	v_cmpx_ne_u32_e32 0x7f800000, v19
	s_xor_b32 s12, exec_lo, s12
; %bb.674:                              ;   in Loop: Header=BB8_49 Depth=1
	v_bfe_u32 v19, v10, 16, 1
	s_delay_alu instid0(VALU_DEP_1)
	v_add3_u32 v29, v10, v19, 0x7fff
                                        ; implicit-def: $vgpr10
; %bb.675:                              ;   in Loop: Header=BB8_49 Depth=1
	s_and_not1_saveexec_b32 s12, s12
; %bb.676:                              ;   in Loop: Header=BB8_49 Depth=1
	v_and_b32_e32 v19, 0xffff, v10
	v_or_b32_e32 v20, 0x10000, v10
	s_delay_alu instid0(VALU_DEP_2) | instskip(NEXT) | instid1(VALU_DEP_2)
	v_cmp_eq_u32_e32 vcc_lo, 0, v19
	v_cndmask_b32_e32 v29, v20, v10, vcc_lo
; %bb.677:                              ;   in Loop: Header=BB8_49 Depth=1
	s_or_b32 exec_lo, exec_lo, s12
	v_and_b32_e32 v10, 0xffff0000, v11
	s_mov_b32 s12, exec_lo
                                        ; implicit-def: $vgpr27
	s_delay_alu instid0(VALU_DEP_1) | instskip(NEXT) | instid1(VALU_DEP_1)
	v_mul_f32_e32 v10, v18, v10
	v_and_b32_e32 v11, 0x7f800000, v10
	s_delay_alu instid0(VALU_DEP_1)
	v_cmpx_ne_u32_e32 0x7f800000, v11
	s_xor_b32 s12, exec_lo, s12
; %bb.678:                              ;   in Loop: Header=BB8_49 Depth=1
	v_bfe_u32 v11, v10, 16, 1
	s_delay_alu instid0(VALU_DEP_1)
	v_add3_u32 v27, v10, v11, 0x7fff
                                        ; implicit-def: $vgpr10
; %bb.679:                              ;   in Loop: Header=BB8_49 Depth=1
	s_and_not1_saveexec_b32 s12, s12
; %bb.680:                              ;   in Loop: Header=BB8_49 Depth=1
	v_and_b32_e32 v11, 0xffff, v10
	v_or_b32_e32 v19, 0x10000, v10
	s_delay_alu instid0(VALU_DEP_2) | instskip(NEXT) | instid1(VALU_DEP_2)
	v_cmp_eq_u32_e32 vcc_lo, 0, v11
	v_cndmask_b32_e32 v27, v19, v10, vcc_lo
; %bb.681:                              ;   in Loop: Header=BB8_49 Depth=1
	s_or_b32 exec_lo, exec_lo, s12
	v_lshlrev_b32_e32 v10, 16, v12
	s_mov_b32 s12, exec_lo
                                        ; implicit-def: $vgpr28
	s_delay_alu instid0(VALU_DEP_1) | instskip(NEXT) | instid1(VALU_DEP_1)
	v_mul_f32_e32 v10, v18, v10
	v_and_b32_e32 v11, 0x7f800000, v10
	s_delay_alu instid0(VALU_DEP_1)
	v_cmpx_ne_u32_e32 0x7f800000, v11
	s_xor_b32 s12, exec_lo, s12
; %bb.682:                              ;   in Loop: Header=BB8_49 Depth=1
	v_bfe_u32 v11, v10, 16, 1
	s_delay_alu instid0(VALU_DEP_1)
	v_add3_u32 v28, v10, v11, 0x7fff
                                        ; implicit-def: $vgpr10
; %bb.683:                              ;   in Loop: Header=BB8_49 Depth=1
	s_and_not1_saveexec_b32 s12, s12
; %bb.684:                              ;   in Loop: Header=BB8_49 Depth=1
	v_and_b32_e32 v11, 0xffff, v10
	v_or_b32_e32 v19, 0x10000, v10
	s_delay_alu instid0(VALU_DEP_2) | instskip(NEXT) | instid1(VALU_DEP_2)
	v_cmp_eq_u32_e32 vcc_lo, 0, v11
	v_cndmask_b32_e32 v28, v19, v10, vcc_lo
; %bb.685:                              ;   in Loop: Header=BB8_49 Depth=1
	s_or_b32 exec_lo, exec_lo, s12
	v_and_b32_e32 v10, 0xffff0000, v12
	s_mov_b32 s12, exec_lo
                                        ; implicit-def: $vgpr20
	s_delay_alu instid0(VALU_DEP_1) | instskip(NEXT) | instid1(VALU_DEP_1)
	v_mul_f32_e32 v10, v18, v10
	v_and_b32_e32 v11, 0x7f800000, v10
	s_delay_alu instid0(VALU_DEP_1)
	v_cmpx_ne_u32_e32 0x7f800000, v11
	s_xor_b32 s12, exec_lo, s12
; %bb.686:                              ;   in Loop: Header=BB8_49 Depth=1
	v_bfe_u32 v11, v10, 16, 1
	s_delay_alu instid0(VALU_DEP_1)
	v_add3_u32 v20, v10, v11, 0x7fff
                                        ; implicit-def: $vgpr10
; %bb.687:                              ;   in Loop: Header=BB8_49 Depth=1
	s_and_not1_saveexec_b32 s12, s12
; %bb.688:                              ;   in Loop: Header=BB8_49 Depth=1
	v_and_b32_e32 v11, 0xffff, v10
	v_or_b32_e32 v12, 0x10000, v10
	s_delay_alu instid0(VALU_DEP_2) | instskip(NEXT) | instid1(VALU_DEP_2)
	v_cmp_eq_u32_e32 vcc_lo, 0, v11
	v_cndmask_b32_e32 v20, v12, v10, vcc_lo
; %bb.689:                              ;   in Loop: Header=BB8_49 Depth=1
	s_or_b32 exec_lo, exec_lo, s12
	v_lshlrev_b32_e32 v10, 16, v13
	s_mov_b32 s12, exec_lo
                                        ; implicit-def: $vgpr21
	s_delay_alu instid0(VALU_DEP_1) | instskip(NEXT) | instid1(VALU_DEP_1)
	v_mul_f32_e32 v10, v18, v10
	v_and_b32_e32 v11, 0x7f800000, v10
	s_delay_alu instid0(VALU_DEP_1)
	v_cmpx_ne_u32_e32 0x7f800000, v11
	s_xor_b32 s12, exec_lo, s12
; %bb.690:                              ;   in Loop: Header=BB8_49 Depth=1
	v_bfe_u32 v11, v10, 16, 1
	s_delay_alu instid0(VALU_DEP_1)
	v_add3_u32 v21, v10, v11, 0x7fff
                                        ; implicit-def: $vgpr10
; %bb.691:                              ;   in Loop: Header=BB8_49 Depth=1
	s_and_not1_saveexec_b32 s12, s12
; %bb.692:                              ;   in Loop: Header=BB8_49 Depth=1
	v_and_b32_e32 v11, 0xffff, v10
	v_or_b32_e32 v12, 0x10000, v10
	s_delay_alu instid0(VALU_DEP_2) | instskip(NEXT) | instid1(VALU_DEP_2)
	v_cmp_eq_u32_e32 vcc_lo, 0, v11
	v_cndmask_b32_e32 v21, v12, v10, vcc_lo
; %bb.693:                              ;   in Loop: Header=BB8_49 Depth=1
	s_or_b32 exec_lo, exec_lo, s12
	v_and_b32_e32 v10, 0xffff0000, v13
	s_mov_b32 s12, exec_lo
	s_delay_alu instid0(VALU_DEP_1) | instskip(NEXT) | instid1(VALU_DEP_1)
	v_mul_f32_e32 v10, v18, v10
                                        ; implicit-def: $vgpr18
	v_and_b32_e32 v11, 0x7f800000, v10
	s_delay_alu instid0(VALU_DEP_1)
	v_cmpx_ne_u32_e32 0x7f800000, v11
	s_xor_b32 s12, exec_lo, s12
; %bb.694:                              ;   in Loop: Header=BB8_49 Depth=1
	v_bfe_u32 v11, v10, 16, 1
	s_delay_alu instid0(VALU_DEP_1)
	v_add3_u32 v18, v10, v11, 0x7fff
                                        ; implicit-def: $vgpr10
; %bb.695:                              ;   in Loop: Header=BB8_49 Depth=1
	s_and_not1_saveexec_b32 s12, s12
; %bb.696:                              ;   in Loop: Header=BB8_49 Depth=1
	v_and_b32_e32 v11, 0xffff, v10
	v_or_b32_e32 v12, 0x10000, v10
	s_delay_alu instid0(VALU_DEP_2) | instskip(NEXT) | instid1(VALU_DEP_2)
	v_cmp_eq_u32_e32 vcc_lo, 0, v11
	v_cndmask_b32_e32 v18, v12, v10, vcc_lo
; %bb.697:                              ;   in Loop: Header=BB8_49 Depth=1
	s_or_b32 exec_lo, exec_lo, s12
	scratch_load_b128 v[10:13], off, s33 offset:224
	v_and_b32_e32 v17, 0xffff0000, v17
	s_wait_loadcnt 0x0
	v_lshlrev_b32_e32 v19, 16, v10
	s_delay_alu instid0(VALU_DEP_1) | instskip(NEXT) | instid1(VALU_DEP_1)
	v_add_f32_e32 v17, v17, v19
	v_and_b32_e32 v19, 0x7f800000, v17
	s_delay_alu instid0(VALU_DEP_1) | instskip(SKIP_2) | instid1(SALU_CYCLE_1)
	v_cmp_ne_u32_e32 vcc_lo, 0x7f800000, v19
                                        ; implicit-def: $vgpr19
	s_wait_xcnt 0x0
	s_and_saveexec_b32 s12, vcc_lo
	s_xor_b32 s12, exec_lo, s12
; %bb.698:                              ;   in Loop: Header=BB8_49 Depth=1
	v_bfe_u32 v19, v17, 16, 1
	s_delay_alu instid0(VALU_DEP_1)
	v_add3_u32 v19, v17, v19, 0x7fff
                                        ; implicit-def: $vgpr17
; %bb.699:                              ;   in Loop: Header=BB8_49 Depth=1
	s_and_not1_saveexec_b32 s12, s12
; %bb.700:                              ;   in Loop: Header=BB8_49 Depth=1
	v_and_b32_e32 v19, 0xffff, v17
	v_or_b32_e32 v32, 0x10000, v17
	s_delay_alu instid0(VALU_DEP_2) | instskip(NEXT) | instid1(VALU_DEP_2)
	v_cmp_eq_u32_e32 vcc_lo, 0, v19
	v_cndmask_b32_e32 v19, v32, v17, vcc_lo
; %bb.701:                              ;   in Loop: Header=BB8_49 Depth=1
	s_or_b32 exec_lo, exec_lo, s12
	v_and_b32_e32 v17, 0xffff0000, v10
	v_and_b32_e32 v16, 0xffff0000, v16
	s_delay_alu instid0(VALU_DEP_2) | instskip(NEXT) | instid1(VALU_DEP_1)
	v_mov_b32_e32 v10, v17
	v_pk_add_f32 v[16:17], v[10:11], v[16:17]
	s_delay_alu instid0(VALU_DEP_1) | instskip(NEXT) | instid1(VALU_DEP_1)
	v_and_b32_e32 v10, 0x7f800000, v16
	v_cmp_ne_u32_e32 vcc_lo, 0x7f800000, v10
                                        ; implicit-def: $vgpr10
	s_and_saveexec_b32 s12, vcc_lo
	s_delay_alu instid0(SALU_CYCLE_1)
	s_xor_b32 s12, exec_lo, s12
; %bb.702:                              ;   in Loop: Header=BB8_49 Depth=1
	v_bfe_u32 v10, v16, 16, 1
	s_delay_alu instid0(VALU_DEP_1)
	v_add3_u32 v10, v16, v10, 0x7fff
                                        ; implicit-def: $vgpr16_vgpr17
; %bb.703:                              ;   in Loop: Header=BB8_49 Depth=1
	s_and_not1_saveexec_b32 s12, s12
; %bb.704:                              ;   in Loop: Header=BB8_49 Depth=1
	v_and_b32_e32 v10, 0xffff, v16
	v_or_b32_e32 v17, 0x10000, v16
	s_delay_alu instid0(VALU_DEP_2) | instskip(NEXT) | instid1(VALU_DEP_2)
	v_cmp_eq_u32_e32 vcc_lo, 0, v10
	v_cndmask_b32_e32 v10, v17, v16, vcc_lo
; %bb.705:                              ;   in Loop: Header=BB8_49 Depth=1
	s_or_b32 exec_lo, exec_lo, s12
	v_and_b32_e32 v16, 0xffff0000, v29
	v_lshlrev_b32_e32 v17, 16, v11
	s_delay_alu instid0(VALU_DEP_1) | instskip(NEXT) | instid1(VALU_DEP_1)
	v_add_f32_e32 v17, v16, v17
	v_and_b32_e32 v16, 0x7f800000, v17
	s_delay_alu instid0(VALU_DEP_1) | instskip(SKIP_1) | instid1(SALU_CYCLE_1)
	v_cmp_ne_u32_e32 vcc_lo, 0x7f800000, v16
                                        ; implicit-def: $vgpr16
	s_and_saveexec_b32 s12, vcc_lo
	s_xor_b32 s12, exec_lo, s12
; %bb.706:                              ;   in Loop: Header=BB8_49 Depth=1
	v_bfe_u32 v16, v17, 16, 1
	s_delay_alu instid0(VALU_DEP_1)
	v_add3_u32 v16, v17, v16, 0x7fff
                                        ; implicit-def: $vgpr17
; %bb.707:                              ;   in Loop: Header=BB8_49 Depth=1
	s_and_not1_saveexec_b32 s12, s12
; %bb.708:                              ;   in Loop: Header=BB8_49 Depth=1
	v_and_b32_e32 v16, 0xffff, v17
	v_or_b32_e32 v29, 0x10000, v17
	s_delay_alu instid0(VALU_DEP_2) | instskip(NEXT) | instid1(VALU_DEP_2)
	v_cmp_eq_u32_e32 vcc_lo, 0, v16
	v_cndmask_b32_e32 v16, v29, v17, vcc_lo
; %bb.709:                              ;   in Loop: Header=BB8_49 Depth=1
	s_or_b32 exec_lo, exec_lo, s12
	v_and_b32_e32 v11, 0xffff0000, v11
	v_and_b32_e32 v17, 0xffff0000, v27
	s_delay_alu instid0(VALU_DEP_1) | instskip(NEXT) | instid1(VALU_DEP_1)
	v_add_f32_e32 v17, v17, v11
	v_and_b32_e32 v11, 0x7f800000, v17
	s_delay_alu instid0(VALU_DEP_1) | instskip(SKIP_1) | instid1(SALU_CYCLE_1)
	v_cmp_ne_u32_e32 vcc_lo, 0x7f800000, v11
                                        ; implicit-def: $vgpr11
	s_and_saveexec_b32 s12, vcc_lo
	s_xor_b32 s12, exec_lo, s12
; %bb.710:                              ;   in Loop: Header=BB8_49 Depth=1
	v_bfe_u32 v11, v17, 16, 1
	s_delay_alu instid0(VALU_DEP_1)
	v_add3_u32 v11, v17, v11, 0x7fff
                                        ; implicit-def: $vgpr17
; %bb.711:                              ;   in Loop: Header=BB8_49 Depth=1
	s_and_not1_saveexec_b32 s12, s12
; %bb.712:                              ;   in Loop: Header=BB8_49 Depth=1
	v_and_b32_e32 v11, 0xffff, v17
	v_or_b32_e32 v27, 0x10000, v17
	s_delay_alu instid0(VALU_DEP_2) | instskip(NEXT) | instid1(VALU_DEP_2)
	v_cmp_eq_u32_e32 vcc_lo, 0, v11
	v_cndmask_b32_e32 v11, v27, v17, vcc_lo
; %bb.713:                              ;   in Loop: Header=BB8_49 Depth=1
	s_or_b32 exec_lo, exec_lo, s12
	v_and_b32_e32 v17, 0xffff0000, v28
	v_lshlrev_b32_e32 v27, 16, v12
	s_delay_alu instid0(VALU_DEP_1) | instskip(NEXT) | instid1(VALU_DEP_1)
	v_add_f32_e32 v27, v17, v27
	v_and_b32_e32 v17, 0x7f800000, v27
	s_delay_alu instid0(VALU_DEP_1) | instskip(SKIP_1) | instid1(SALU_CYCLE_1)
	v_cmp_ne_u32_e32 vcc_lo, 0x7f800000, v17
                                        ; implicit-def: $vgpr17
	s_and_saveexec_b32 s12, vcc_lo
	s_xor_b32 s12, exec_lo, s12
; %bb.714:                              ;   in Loop: Header=BB8_49 Depth=1
	v_bfe_u32 v17, v27, 16, 1
	s_delay_alu instid0(VALU_DEP_1)
	v_add3_u32 v17, v27, v17, 0x7fff
                                        ; implicit-def: $vgpr27
; %bb.715:                              ;   in Loop: Header=BB8_49 Depth=1
	s_and_not1_saveexec_b32 s12, s12
; %bb.716:                              ;   in Loop: Header=BB8_49 Depth=1
	v_and_b32_e32 v17, 0xffff, v27
	v_or_b32_e32 v28, 0x10000, v27
	s_delay_alu instid0(VALU_DEP_2) | instskip(NEXT) | instid1(VALU_DEP_2)
	v_cmp_eq_u32_e32 vcc_lo, 0, v17
	v_cndmask_b32_e32 v17, v28, v27, vcc_lo
; %bb.717:                              ;   in Loop: Header=BB8_49 Depth=1
	s_or_b32 exec_lo, exec_lo, s12
	v_and_b32_e32 v12, 0xffff0000, v12
	v_and_b32_e32 v20, 0xffff0000, v20
	s_delay_alu instid0(VALU_DEP_1) | instskip(NEXT) | instid1(VALU_DEP_1)
	v_add_f32_e32 v20, v20, v12
	v_and_b32_e32 v12, 0x7f800000, v20
	s_delay_alu instid0(VALU_DEP_1) | instskip(SKIP_1) | instid1(SALU_CYCLE_1)
	v_cmp_ne_u32_e32 vcc_lo, 0x7f800000, v12
                                        ; implicit-def: $vgpr12
	s_and_saveexec_b32 s12, vcc_lo
	s_xor_b32 s12, exec_lo, s12
; %bb.718:                              ;   in Loop: Header=BB8_49 Depth=1
	v_bfe_u32 v12, v20, 16, 1
	s_delay_alu instid0(VALU_DEP_1)
	v_add3_u32 v12, v20, v12, 0x7fff
                                        ; implicit-def: $vgpr20
; %bb.719:                              ;   in Loop: Header=BB8_49 Depth=1
	s_and_not1_saveexec_b32 s12, s12
; %bb.720:                              ;   in Loop: Header=BB8_49 Depth=1
	v_and_b32_e32 v12, 0xffff, v20
	v_or_b32_e32 v27, 0x10000, v20
	s_delay_alu instid0(VALU_DEP_2) | instskip(NEXT) | instid1(VALU_DEP_2)
	v_cmp_eq_u32_e32 vcc_lo, 0, v12
	v_cndmask_b32_e32 v12, v27, v20, vcc_lo
; %bb.721:                              ;   in Loop: Header=BB8_49 Depth=1
	s_or_b32 exec_lo, exec_lo, s12
	v_and_b32_e32 v20, 0xffff0000, v21
	v_lshlrev_b32_e32 v21, 16, v13
	s_delay_alu instid0(VALU_DEP_1) | instskip(NEXT) | instid1(VALU_DEP_1)
	v_add_f32_e32 v21, v20, v21
	v_and_b32_e32 v20, 0x7f800000, v21
	s_delay_alu instid0(VALU_DEP_1) | instskip(SKIP_1) | instid1(SALU_CYCLE_1)
	v_cmp_ne_u32_e32 vcc_lo, 0x7f800000, v20
                                        ; implicit-def: $vgpr20
	s_and_saveexec_b32 s12, vcc_lo
	s_xor_b32 s12, exec_lo, s12
; %bb.722:                              ;   in Loop: Header=BB8_49 Depth=1
	v_bfe_u32 v20, v21, 16, 1
	s_delay_alu instid0(VALU_DEP_1)
	v_add3_u32 v20, v21, v20, 0x7fff
                                        ; implicit-def: $vgpr21
; %bb.723:                              ;   in Loop: Header=BB8_49 Depth=1
	s_and_not1_saveexec_b32 s12, s12
; %bb.724:                              ;   in Loop: Header=BB8_49 Depth=1
	v_and_b32_e32 v20, 0xffff, v21
	v_or_b32_e32 v27, 0x10000, v21
	s_delay_alu instid0(VALU_DEP_2) | instskip(NEXT) | instid1(VALU_DEP_2)
	v_cmp_eq_u32_e32 vcc_lo, 0, v20
	v_cndmask_b32_e32 v20, v27, v21, vcc_lo
; %bb.725:                              ;   in Loop: Header=BB8_49 Depth=1
	s_or_b32 exec_lo, exec_lo, s12
	v_and_b32_e32 v13, 0xffff0000, v13
	v_and_b32_e32 v18, 0xffff0000, v18
	s_delay_alu instid0(VALU_DEP_1) | instskip(NEXT) | instid1(VALU_DEP_1)
	v_add_f32_e32 v18, v18, v13
	v_and_b32_e32 v13, 0x7f800000, v18
	s_delay_alu instid0(VALU_DEP_1) | instskip(SKIP_1) | instid1(SALU_CYCLE_1)
	v_cmp_ne_u32_e32 vcc_lo, 0x7f800000, v13
                                        ; implicit-def: $vgpr13
	s_and_saveexec_b32 s12, vcc_lo
	s_xor_b32 s12, exec_lo, s12
; %bb.726:                              ;   in Loop: Header=BB8_49 Depth=1
	v_bfe_u32 v13, v18, 16, 1
	s_delay_alu instid0(VALU_DEP_1)
	v_add3_u32 v13, v18, v13, 0x7fff
                                        ; implicit-def: $vgpr18
; %bb.727:                              ;   in Loop: Header=BB8_49 Depth=1
	s_and_not1_saveexec_b32 s12, s12
; %bb.728:                              ;   in Loop: Header=BB8_49 Depth=1
	v_and_b32_e32 v13, 0xffff, v18
	v_or_b32_e32 v21, 0x10000, v18
	s_delay_alu instid0(VALU_DEP_2) | instskip(NEXT) | instid1(VALU_DEP_2)
	v_cmp_eq_u32_e32 vcc_lo, 0, v13
	v_cndmask_b32_e32 v13, v21, v18, vcc_lo
; %bb.729:                              ;   in Loop: Header=BB8_49 Depth=1
	s_or_b32 exec_lo, exec_lo, s12
	v_dual_lshrrev_b32 v16, 16, v16 :: v_dual_lshrrev_b32 v18, 16, v19
	v_dual_lshrrev_b32 v17, 16, v17 :: v_dual_lshrrev_b32 v19, 16, v20
	s_delay_alu instid0(VALU_DEP_2) | instskip(NEXT) | instid1(VALU_DEP_3)
	v_and_or_b32 v11, 0xffff0000, v11, v16
	v_and_or_b32 v10, 0xffff0000, v10, v18
	s_delay_alu instid0(VALU_DEP_3) | instskip(NEXT) | instid1(VALU_DEP_4)
	v_and_or_b32 v12, 0xffff0000, v12, v17
	v_and_or_b32 v13, 0xffff0000, v13, v19
	global_store_b128 v[14:15], v[10:13], off th:TH_STORE_NT
.LBB8_730:                              ;   in Loop: Header=BB8_49 Depth=1
	s_wait_xcnt 0x0
	s_or_b32 exec_lo, exec_lo, s11
	v_and_b32_e32 v11, 14, v79
	s_mov_b32 s12, s13
	s_mov_b32 s11, exec_lo
                                        ; implicit-def: $vgpr20
                                        ; implicit-def: $vgpr10
                                        ; implicit-def: $vgpr21
	s_delay_alu instid0(VALU_DEP_1) | instskip(NEXT) | instid1(VALU_DEP_1)
	v_cndmask_b32_e64 v79, v25, v11, s10
	v_cmpx_ne_u32_e32 0, v79
	s_cbranch_execz .LBB8_732
; %bb.731:                              ;   in Loop: Header=BB8_49 Depth=1
	v_cmp_lt_i32_e32 vcc_lo, 0, v26
	s_or_b32 s12, s13, exec_lo
	v_dual_cndmask_b32 v10, 0, v96 :: v_dual_sub_nc_u32 v11, v25, v11
	s_delay_alu instid0(VALU_DEP_1) | instskip(NEXT) | instid1(VALU_DEP_1)
	v_dual_cndmask_b32 v11, 0, v11, s10 :: v_dual_sub_nc_u32 v10, v10, v26
	v_add3_u32 v20, v24, v22, v11
	s_delay_alu instid0(VALU_DEP_2) | instskip(NEXT) | instid1(VALU_DEP_1)
	v_lshl_add_u32 v10, v10, 5, v23
	v_ashrrev_i32_e32 v12, 31, v10
	s_delay_alu instid0(VALU_DEP_1) | instskip(NEXT) | instid1(VALU_DEP_1)
	v_lshrrev_b32_e32 v12, 27, v12
	v_add_nc_u32_e32 v12, v10, v12
	s_delay_alu instid0(VALU_DEP_1) | instskip(NEXT) | instid1(VALU_DEP_1)
	v_and_b32_e32 v12, 0xffffffe0, v12
	v_sub_nc_u32_e32 v21, v10, v12
.LBB8_732:                              ;   in Loop: Header=BB8_49 Depth=1
	s_or_b32 exec_lo, exec_lo, s11
	s_delay_alu instid0(SALU_CYCLE_1) | instskip(SKIP_1) | instid1(SALU_CYCLE_1)
	s_and_not1_b32 s10, s13, exec_lo
	s_and_b32 s11, s12, exec_lo
	s_or_b32 s13, s10, s11
.LBB8_733:                              ;   in Loop: Header=BB8_49 Depth=1
	s_or_b32 exec_lo, exec_lo, s28
	s_and_saveexec_b32 s14, s13
	s_cbranch_execz .LBB8_973
.LBB8_734:                              ;   in Loop: Header=BB8_49 Depth=1
	s_delay_alu instid0(VALU_DEP_1) | instskip(SKIP_2) | instid1(VALU_DEP_3)
	v_dual_ashrrev_i32 v11, 31, v10 :: v_dual_ashrrev_i32 v12, 31, v79
	v_dual_mov_b32 v58, 0 :: v_dual_mov_b32 v50, 0
	v_dual_mov_b32 v37, 0 :: v_dual_mov_b32 v36, 0
	v_dual_mov_b32 v60, 0 :: v_dual_lshrrev_b32 v11, 27, v11
	v_dual_mov_b32 v34, 0 :: v_dual_mov_b32 v23, 0
	v_dual_mov_b32 v17, 0 :: v_dual_mov_b32 v16, 0
	s_delay_alu instid0(VALU_DEP_3) | instskip(SKIP_3) | instid1(VALU_DEP_2)
	v_dual_add_nc_u32 v10, v10, v11 :: v_dual_lshlrev_b32 v11, 1, v21
	v_lshrrev_b32_e32 v12, 23, v12
	s_mov_b32 s11, 0
	s_mov_b32 s10, exec_lo
	v_dual_mov_b32 v39, 0 :: v_dual_ashrrev_i32 v10, 5, v10
	s_delay_alu instid0(VALU_DEP_2) | instskip(NEXT) | instid1(VALU_DEP_2)
	v_dual_add_nc_u32 v12, v79, v12 :: v_dual_mov_b32 v38, 0
	v_dual_mov_b32 v35, 0 :: v_dual_lshlrev_b32 v13, 9, v10
	s_delay_alu instid0(VALU_DEP_2) | instskip(SKIP_1) | instid1(VALU_DEP_3)
	v_dual_mov_b32 v19, 0 :: v_dual_ashrrev_i32 v22, 9, v12
	v_dual_mov_b32 v12, 0 :: v_dual_mov_b32 v18, 0
	v_add3_u32 v14, v20, v11, v13
	s_delay_alu instid0(VALU_DEP_3) | instskip(NEXT) | instid1(VALU_DEP_2)
	v_dual_mov_b32 v13, 0 :: v_dual_sub_nc_u32 v33, v22, v10
	v_ashrrev_i32_e32 v15, 31, v14
	s_delay_alu instid0(VALU_DEP_1) | instskip(NEXT) | instid1(VALU_DEP_3)
	v_add_nc_u64_e32 v[10:11], v[56:57], v[14:15]
	v_cmpx_lt_i32_e32 0, v33
	s_cbranch_execz .LBB8_870
; %bb.735:                              ;   in Loop: Header=BB8_49 Depth=1
	s_trap 2
	ds_load_b64 v[16:17], v0
	v_add_nc_u64_e32 v[12:13], v[14:15], v[46:47]
	s_mov_b32 s13, 0
	s_mov_b32 s12, 0
                                        ; implicit-def: $sgpr11
                                        ; implicit-def: $vgpr92
                                        ; implicit-def: $vgpr90
                                        ; implicit-def: $vgpr88
                                        ; implicit-def: $vgpr62
                                        ; implicit-def: $vgpr59
                                        ; implicit-def: $vgpr51
                                        ; implicit-def: $vgpr49
                                        ; implicit-def: $vgpr48
                                        ; implicit-def: $vgpr23
                                        ; implicit-def: $vgpr24
                                        ; implicit-def: $vgpr25
                                        ; implicit-def: $vgpr26
                                        ; implicit-def: $vgpr27
                                        ; implicit-def: $vgpr28
                                        ; implicit-def: $vgpr29
                                        ; implicit-def: $vgpr32
	s_wait_dscnt 0x0
	v_add_nc_u64_e32 v[14:15], v[16:17], v[14:15]
	s_branch .LBB8_737
.LBB8_736:                              ;   in Loop: Header=BB8_737 Depth=2
	s_or_b32 exec_lo, exec_lo, s15
	v_dual_cndmask_b32 v36, 0, v96, s13 :: v_dual_cndmask_b32 v95, 0, v117, s13
	v_add_nc_u64_e32 v[34:35], v[12:13], v[100:101]
	v_add_nc_u64_e32 v[60:61], v[14:15], v[100:101]
	v_cndmask_b32_e64 v94, 0x200, v116, s13
	s_delay_alu instid0(VALU_DEP_4)
	v_sub_nc_u32_e32 v33, v33, v36
	s_clause 0x7
	flat_store_d16_hi_b16 v[10:11], v16 th:TH_STORE_NT
	flat_store_d16_hi_b16 v[10:11], v50 offset:64 th:TH_STORE_NT
	flat_store_d16_hi_b16 v[10:11], v39 offset:128 th:TH_STORE_NT
	;; [unrolled: 1-line block ×7, first 2 shown]
	v_cndmask_b32_e64 v12, v12, v34, s13
	v_cmp_gt_i32_e32 vcc_lo, 1, v33
	s_wait_xcnt 0x0
	v_add_nc_u64_e32 v[10:11], v[10:11], v[94:95]
	v_dual_cndmask_b32 v13, v13, v35, s13 :: v_dual_cndmask_b32 v15, v15, v61, s13
	v_cndmask_b32_e64 v14, v14, v60, s13
	s_or_b32 s12, vcc_lo, s12
	s_and_not1_b32 s11, s11, exec_lo
	s_and_b32 s15, s13, exec_lo
	s_delay_alu instid0(SALU_CYCLE_1)
	s_or_b32 s11, s11, s15
	s_and_not1_b32 exec_lo, exec_lo, s12
	s_cbranch_execz .LBB8_869
.LBB8_737:                              ;   Parent Loop BB8_49 Depth=1
                                        ; =>  This Inner Loop Header: Depth=2
	s_clause 0x7
	flat_load_u16 v95, v[12:13] th:TH_LOAD_NT
	flat_load_u16 v94, v[12:13] offset:64 th:TH_LOAD_NT
	flat_load_u16 v93, v[12:13] offset:128 th:TH_LOAD_NT
	;; [unrolled: 1-line block ×7, first 2 shown]
	s_clause 0x7
	flat_load_u16 v58, v[14:15] th:TH_LOAD_NT
	flat_load_u16 v50, v[14:15] offset:64 th:TH_LOAD_NT
	flat_load_u16 v39, v[14:15] offset:128 th:TH_LOAD_NT
	;; [unrolled: 1-line block ×7, first 2 shown]
	s_wait_xcnt 0x0
	s_and_saveexec_b32 s15, s13
	s_cbranch_execz .LBB8_803
; %bb.738:                              ;   in Loop: Header=BB8_737 Depth=2
	s_trap 2
	ds_load_b32 v16, v0
	s_wait_dscnt 0x0
	v_lshlrev_b32_e32 v17, 16, v16
	s_delay_alu instid0(VALU_DEP_1) | instskip(NEXT) | instid1(VALU_DEP_1)
	v_dual_lshlrev_b32 v16, 16, v92 :: v_dual_mov_b32 v18, v17
	v_pk_mul_f32 v[18:19], v[18:19], v[16:17]
	s_delay_alu instid0(VALU_DEP_1) | instskip(NEXT) | instid1(VALU_DEP_1)
	v_and_b32_e32 v16, 0x7f800000, v18
	v_cmp_ne_u32_e32 vcc_lo, 0x7f800000, v16
                                        ; implicit-def: $vgpr16
	s_and_saveexec_b32 s13, vcc_lo
	s_delay_alu instid0(SALU_CYCLE_1)
	s_xor_b32 s13, exec_lo, s13
; %bb.739:                              ;   in Loop: Header=BB8_737 Depth=2
	v_bfe_u32 v16, v18, 16, 1
	s_delay_alu instid0(VALU_DEP_1)
	v_add3_u32 v16, v18, v16, 0x7fff
                                        ; implicit-def: $vgpr18_vgpr19
; %bb.740:                              ;   in Loop: Header=BB8_737 Depth=2
	s_and_not1_saveexec_b32 s13, s13
; %bb.741:                              ;   in Loop: Header=BB8_737 Depth=2
	v_and_b32_e32 v16, 0xffff, v18
	v_or_b32_e32 v19, 0x10000, v18
	s_delay_alu instid0(VALU_DEP_2) | instskip(NEXT) | instid1(VALU_DEP_2)
	v_cmp_eq_u32_e32 vcc_lo, 0, v16
	v_cndmask_b32_e32 v16, v19, v18, vcc_lo
; %bb.742:                              ;   in Loop: Header=BB8_737 Depth=2
	s_or_b32 exec_lo, exec_lo, s13
	v_lshlrev_b32_e32 v18, 16, v90
	s_mov_b32 s13, exec_lo
                                        ; implicit-def: $vgpr90
	s_delay_alu instid0(VALU_DEP_1) | instskip(NEXT) | instid1(VALU_DEP_1)
	v_mul_f32_e32 v18, v17, v18
	v_and_b32_e32 v19, 0x7f800000, v18
	s_delay_alu instid0(VALU_DEP_1)
	v_cmpx_ne_u32_e32 0x7f800000, v19
	s_xor_b32 s13, exec_lo, s13
; %bb.743:                              ;   in Loop: Header=BB8_737 Depth=2
	v_bfe_u32 v19, v18, 16, 1
	s_delay_alu instid0(VALU_DEP_1)
	v_add3_u32 v90, v18, v19, 0x7fff
                                        ; implicit-def: $vgpr18
; %bb.744:                              ;   in Loop: Header=BB8_737 Depth=2
	s_and_not1_saveexec_b32 s13, s13
; %bb.745:                              ;   in Loop: Header=BB8_737 Depth=2
	v_and_b32_e32 v19, 0xffff, v18
	v_or_b32_e32 v90, 0x10000, v18
	s_delay_alu instid0(VALU_DEP_2) | instskip(NEXT) | instid1(VALU_DEP_2)
	v_cmp_eq_u32_e32 vcc_lo, 0, v19
	v_cndmask_b32_e32 v90, v90, v18, vcc_lo
; %bb.746:                              ;   in Loop: Header=BB8_737 Depth=2
	s_or_b32 exec_lo, exec_lo, s13
	v_lshlrev_b32_e32 v18, 16, v88
	s_mov_b32 s13, exec_lo
                                        ; implicit-def: $vgpr88
	s_delay_alu instid0(VALU_DEP_1) | instskip(NEXT) | instid1(VALU_DEP_1)
	v_mul_f32_e32 v18, v17, v18
	v_and_b32_e32 v19, 0x7f800000, v18
	s_delay_alu instid0(VALU_DEP_1)
	v_cmpx_ne_u32_e32 0x7f800000, v19
	s_xor_b32 s13, exec_lo, s13
; %bb.747:                              ;   in Loop: Header=BB8_737 Depth=2
	v_bfe_u32 v19, v18, 16, 1
	s_delay_alu instid0(VALU_DEP_1)
	v_add3_u32 v88, v18, v19, 0x7fff
                                        ; implicit-def: $vgpr18
; %bb.748:                              ;   in Loop: Header=BB8_737 Depth=2
	s_and_not1_saveexec_b32 s13, s13
; %bb.749:                              ;   in Loop: Header=BB8_737 Depth=2
	v_and_b32_e32 v19, 0xffff, v18
	v_or_b32_e32 v88, 0x10000, v18
	s_delay_alu instid0(VALU_DEP_2) | instskip(NEXT) | instid1(VALU_DEP_2)
	v_cmp_eq_u32_e32 vcc_lo, 0, v19
	v_cndmask_b32_e32 v88, v88, v18, vcc_lo
; %bb.750:                              ;   in Loop: Header=BB8_737 Depth=2
	s_or_b32 exec_lo, exec_lo, s13
	v_lshlrev_b32_e32 v18, 16, v62
	s_mov_b32 s13, exec_lo
                                        ; implicit-def: $vgpr62
	s_delay_alu instid0(VALU_DEP_1) | instskip(NEXT) | instid1(VALU_DEP_1)
	v_mul_f32_e32 v18, v17, v18
	v_and_b32_e32 v19, 0x7f800000, v18
	s_delay_alu instid0(VALU_DEP_1)
	v_cmpx_ne_u32_e32 0x7f800000, v19
	s_xor_b32 s13, exec_lo, s13
; %bb.751:                              ;   in Loop: Header=BB8_737 Depth=2
	v_bfe_u32 v19, v18, 16, 1
	s_delay_alu instid0(VALU_DEP_1)
	v_add3_u32 v62, v18, v19, 0x7fff
                                        ; implicit-def: $vgpr18
; %bb.752:                              ;   in Loop: Header=BB8_737 Depth=2
	s_and_not1_saveexec_b32 s13, s13
; %bb.753:                              ;   in Loop: Header=BB8_737 Depth=2
	v_and_b32_e32 v19, 0xffff, v18
	v_or_b32_e32 v62, 0x10000, v18
	s_delay_alu instid0(VALU_DEP_2) | instskip(NEXT) | instid1(VALU_DEP_2)
	v_cmp_eq_u32_e32 vcc_lo, 0, v19
	v_cndmask_b32_e32 v62, v62, v18, vcc_lo
; %bb.754:                              ;   in Loop: Header=BB8_737 Depth=2
	s_or_b32 exec_lo, exec_lo, s13
	v_lshlrev_b32_e32 v18, 16, v59
	s_mov_b32 s13, exec_lo
                                        ; implicit-def: $vgpr59
	s_delay_alu instid0(VALU_DEP_1) | instskip(NEXT) | instid1(VALU_DEP_1)
	v_mul_f32_e32 v18, v17, v18
	v_and_b32_e32 v19, 0x7f800000, v18
	s_delay_alu instid0(VALU_DEP_1)
	v_cmpx_ne_u32_e32 0x7f800000, v19
	s_xor_b32 s13, exec_lo, s13
; %bb.755:                              ;   in Loop: Header=BB8_737 Depth=2
	v_bfe_u32 v19, v18, 16, 1
	s_delay_alu instid0(VALU_DEP_1)
	v_add3_u32 v59, v18, v19, 0x7fff
                                        ; implicit-def: $vgpr18
; %bb.756:                              ;   in Loop: Header=BB8_737 Depth=2
	s_and_not1_saveexec_b32 s13, s13
; %bb.757:                              ;   in Loop: Header=BB8_737 Depth=2
	v_and_b32_e32 v19, 0xffff, v18
	v_or_b32_e32 v59, 0x10000, v18
	s_delay_alu instid0(VALU_DEP_2) | instskip(NEXT) | instid1(VALU_DEP_2)
	v_cmp_eq_u32_e32 vcc_lo, 0, v19
	v_cndmask_b32_e32 v59, v59, v18, vcc_lo
; %bb.758:                              ;   in Loop: Header=BB8_737 Depth=2
	s_or_b32 exec_lo, exec_lo, s13
	v_lshlrev_b32_e32 v18, 16, v51
	s_delay_alu instid0(VALU_DEP_1) | instskip(NEXT) | instid1(VALU_DEP_1)
	v_mul_f32_e32 v18, v17, v18
	v_and_b32_e32 v19, 0x7f800000, v18
	s_delay_alu instid0(VALU_DEP_1) | instskip(SKIP_1) | instid1(SALU_CYCLE_1)
	v_cmp_ne_u32_e32 vcc_lo, 0x7f800000, v19
                                        ; implicit-def: $vgpr19
	s_and_saveexec_b32 s13, vcc_lo
	s_xor_b32 s13, exec_lo, s13
; %bb.759:                              ;   in Loop: Header=BB8_737 Depth=2
	v_bfe_u32 v19, v18, 16, 1
	s_delay_alu instid0(VALU_DEP_1)
	v_add3_u32 v19, v18, v19, 0x7fff
                                        ; implicit-def: $vgpr18
; %bb.760:                              ;   in Loop: Header=BB8_737 Depth=2
	s_and_not1_saveexec_b32 s13, s13
; %bb.761:                              ;   in Loop: Header=BB8_737 Depth=2
	v_and_b32_e32 v19, 0xffff, v18
	v_or_b32_e32 v51, 0x10000, v18
	s_delay_alu instid0(VALU_DEP_2) | instskip(NEXT) | instid1(VALU_DEP_2)
	v_cmp_eq_u32_e32 vcc_lo, 0, v19
	v_cndmask_b32_e32 v19, v51, v18, vcc_lo
; %bb.762:                              ;   in Loop: Header=BB8_737 Depth=2
	s_or_b32 exec_lo, exec_lo, s13
	v_lshlrev_b32_e32 v18, 16, v49
	s_delay_alu instid0(VALU_DEP_1) | instskip(NEXT) | instid1(VALU_DEP_1)
	v_mul_f32_e32 v49, v17, v18
	v_and_b32_e32 v18, 0x7f800000, v49
	s_delay_alu instid0(VALU_DEP_1) | instskip(SKIP_1) | instid1(SALU_CYCLE_1)
	v_cmp_ne_u32_e32 vcc_lo, 0x7f800000, v18
                                        ; implicit-def: $vgpr18
	s_and_saveexec_b32 s13, vcc_lo
	s_xor_b32 s13, exec_lo, s13
; %bb.763:                              ;   in Loop: Header=BB8_737 Depth=2
	v_bfe_u32 v18, v49, 16, 1
	s_delay_alu instid0(VALU_DEP_1)
	v_add3_u32 v18, v49, v18, 0x7fff
                                        ; implicit-def: $vgpr49
; %bb.764:                              ;   in Loop: Header=BB8_737 Depth=2
	s_and_not1_saveexec_b32 s13, s13
; %bb.765:                              ;   in Loop: Header=BB8_737 Depth=2
	v_and_b32_e32 v18, 0xffff, v49
	v_or_b32_e32 v51, 0x10000, v49
	s_delay_alu instid0(VALU_DEP_2) | instskip(NEXT) | instid1(VALU_DEP_2)
	v_cmp_eq_u32_e32 vcc_lo, 0, v18
	v_cndmask_b32_e32 v18, v51, v49, vcc_lo
; %bb.766:                              ;   in Loop: Header=BB8_737 Depth=2
	s_or_b32 exec_lo, exec_lo, s13
	v_lshlrev_b32_e32 v48, 16, v48
	s_delay_alu instid0(VALU_DEP_1) | instskip(NEXT) | instid1(VALU_DEP_1)
	v_mul_f32_e32 v48, v17, v48
	v_and_b32_e32 v17, 0x7f800000, v48
	s_delay_alu instid0(VALU_DEP_1) | instskip(SKIP_1) | instid1(SALU_CYCLE_1)
	v_cmp_ne_u32_e32 vcc_lo, 0x7f800000, v17
                                        ; implicit-def: $vgpr17
	s_and_saveexec_b32 s13, vcc_lo
	s_xor_b32 s13, exec_lo, s13
; %bb.767:                              ;   in Loop: Header=BB8_737 Depth=2
	v_bfe_u32 v17, v48, 16, 1
	s_delay_alu instid0(VALU_DEP_1)
	v_add3_u32 v17, v48, v17, 0x7fff
                                        ; implicit-def: $vgpr48
; %bb.768:                              ;   in Loop: Header=BB8_737 Depth=2
	s_and_not1_saveexec_b32 s13, s13
; %bb.769:                              ;   in Loop: Header=BB8_737 Depth=2
	v_and_b32_e32 v17, 0xffff, v48
	v_or_b32_e32 v49, 0x10000, v48
	s_delay_alu instid0(VALU_DEP_2) | instskip(NEXT) | instid1(VALU_DEP_2)
	v_cmp_eq_u32_e32 vcc_lo, 0, v17
	v_cndmask_b32_e32 v17, v49, v48, vcc_lo
; %bb.770:                              ;   in Loop: Header=BB8_737 Depth=2
	s_or_b32 exec_lo, exec_lo, s13
	v_and_b32_e32 v16, 0xffff0000, v16
	v_lshlrev_b32_e32 v48, 16, v23
	s_delay_alu instid0(VALU_DEP_1) | instskip(NEXT) | instid1(VALU_DEP_1)
	v_add_f32_e32 v48, v48, v16
	v_and_b32_e32 v16, 0x7f800000, v48
	s_delay_alu instid0(VALU_DEP_1) | instskip(SKIP_1) | instid1(SALU_CYCLE_1)
	v_cmp_ne_u32_e32 vcc_lo, 0x7f800000, v16
                                        ; implicit-def: $vgpr16
	s_and_saveexec_b32 s13, vcc_lo
	s_xor_b32 s13, exec_lo, s13
; %bb.771:                              ;   in Loop: Header=BB8_737 Depth=2
	v_bfe_u32 v16, v48, 16, 1
	s_delay_alu instid0(VALU_DEP_1)
	v_add3_u32 v16, v48, v16, 0x7fff
                                        ; implicit-def: $vgpr48
; %bb.772:                              ;   in Loop: Header=BB8_737 Depth=2
	s_and_not1_saveexec_b32 s13, s13
; %bb.773:                              ;   in Loop: Header=BB8_737 Depth=2
	v_and_b32_e32 v16, 0xffff, v48
	v_or_b32_e32 v49, 0x10000, v48
	s_delay_alu instid0(VALU_DEP_2) | instskip(NEXT) | instid1(VALU_DEP_2)
	v_cmp_eq_u32_e32 vcc_lo, 0, v16
	v_cndmask_b32_e32 v16, v49, v48, vcc_lo
; %bb.774:                              ;   in Loop: Header=BB8_737 Depth=2
	s_or_b32 exec_lo, exec_lo, s13
	v_and_b32_e32 v48, 0xffff0000, v90
	v_lshlrev_b32_e32 v49, 16, v24
	s_delay_alu instid0(VALU_DEP_1) | instskip(NEXT) | instid1(VALU_DEP_1)
	v_add_f32_e32 v49, v49, v48
	v_and_b32_e32 v48, 0x7f800000, v49
	s_delay_alu instid0(VALU_DEP_1) | instskip(SKIP_1) | instid1(SALU_CYCLE_1)
	v_cmp_ne_u32_e32 vcc_lo, 0x7f800000, v48
                                        ; implicit-def: $vgpr48
	s_and_saveexec_b32 s13, vcc_lo
	s_xor_b32 s13, exec_lo, s13
; %bb.775:                              ;   in Loop: Header=BB8_737 Depth=2
	v_bfe_u32 v48, v49, 16, 1
	s_delay_alu instid0(VALU_DEP_1)
	v_add3_u32 v48, v49, v48, 0x7fff
                                        ; implicit-def: $vgpr49
; %bb.776:                              ;   in Loop: Header=BB8_737 Depth=2
	s_and_not1_saveexec_b32 s13, s13
; %bb.777:                              ;   in Loop: Header=BB8_737 Depth=2
	v_and_b32_e32 v48, 0xffff, v49
	v_or_b32_e32 v51, 0x10000, v49
	s_delay_alu instid0(VALU_DEP_2) | instskip(NEXT) | instid1(VALU_DEP_2)
	v_cmp_eq_u32_e32 vcc_lo, 0, v48
	v_cndmask_b32_e32 v48, v51, v49, vcc_lo
; %bb.778:                              ;   in Loop: Header=BB8_737 Depth=2
	s_or_b32 exec_lo, exec_lo, s13
	v_and_b32_e32 v49, 0xffff0000, v88
	v_lshlrev_b32_e32 v51, 16, v25
	s_mov_b32 s13, exec_lo
                                        ; implicit-def: $vgpr88
	s_delay_alu instid0(VALU_DEP_1) | instskip(NEXT) | instid1(VALU_DEP_1)
	v_add_f32_e32 v49, v51, v49
	v_and_b32_e32 v51, 0x7f800000, v49
	s_delay_alu instid0(VALU_DEP_1)
	v_cmpx_ne_u32_e32 0x7f800000, v51
	s_xor_b32 s13, exec_lo, s13
; %bb.779:                              ;   in Loop: Header=BB8_737 Depth=2
	v_bfe_u32 v51, v49, 16, 1
	s_delay_alu instid0(VALU_DEP_1)
	v_add3_u32 v88, v49, v51, 0x7fff
                                        ; implicit-def: $vgpr49
; %bb.780:                              ;   in Loop: Header=BB8_737 Depth=2
	s_and_not1_saveexec_b32 s13, s13
; %bb.781:                              ;   in Loop: Header=BB8_737 Depth=2
	v_and_b32_e32 v51, 0xffff, v49
	v_or_b32_e32 v88, 0x10000, v49
	s_delay_alu instid0(VALU_DEP_2) | instskip(NEXT) | instid1(VALU_DEP_2)
	v_cmp_eq_u32_e32 vcc_lo, 0, v51
	v_cndmask_b32_e32 v88, v88, v49, vcc_lo
; %bb.782:                              ;   in Loop: Header=BB8_737 Depth=2
	s_or_b32 exec_lo, exec_lo, s13
	v_and_b32_e32 v49, 0xffff0000, v62
	v_lshlrev_b32_e32 v51, 16, v26
	s_mov_b32 s13, exec_lo
                                        ; implicit-def: $vgpr62
	s_delay_alu instid0(VALU_DEP_1) | instskip(NEXT) | instid1(VALU_DEP_1)
	v_add_f32_e32 v49, v51, v49
	v_and_b32_e32 v51, 0x7f800000, v49
	s_delay_alu instid0(VALU_DEP_1)
	v_cmpx_ne_u32_e32 0x7f800000, v51
	s_xor_b32 s13, exec_lo, s13
; %bb.783:                              ;   in Loop: Header=BB8_737 Depth=2
	v_bfe_u32 v51, v49, 16, 1
	s_delay_alu instid0(VALU_DEP_1)
	v_add3_u32 v62, v49, v51, 0x7fff
                                        ; implicit-def: $vgpr49
; %bb.784:                              ;   in Loop: Header=BB8_737 Depth=2
	s_and_not1_saveexec_b32 s13, s13
; %bb.785:                              ;   in Loop: Header=BB8_737 Depth=2
	v_and_b32_e32 v51, 0xffff, v49
	v_or_b32_e32 v62, 0x10000, v49
	s_delay_alu instid0(VALU_DEP_2) | instskip(NEXT) | instid1(VALU_DEP_2)
	v_cmp_eq_u32_e32 vcc_lo, 0, v51
	v_cndmask_b32_e32 v62, v62, v49, vcc_lo
; %bb.786:                              ;   in Loop: Header=BB8_737 Depth=2
	s_or_b32 exec_lo, exec_lo, s13
	v_and_b32_e32 v49, 0xffff0000, v59
	v_lshlrev_b32_e32 v51, 16, v27
	s_mov_b32 s13, exec_lo
                                        ; implicit-def: $vgpr59
	s_delay_alu instid0(VALU_DEP_1) | instskip(NEXT) | instid1(VALU_DEP_1)
	v_add_f32_e32 v49, v51, v49
	v_and_b32_e32 v51, 0x7f800000, v49
	s_delay_alu instid0(VALU_DEP_1)
	v_cmpx_ne_u32_e32 0x7f800000, v51
	s_xor_b32 s13, exec_lo, s13
; %bb.787:                              ;   in Loop: Header=BB8_737 Depth=2
	v_bfe_u32 v51, v49, 16, 1
	s_delay_alu instid0(VALU_DEP_1)
	v_add3_u32 v59, v49, v51, 0x7fff
                                        ; implicit-def: $vgpr49
; %bb.788:                              ;   in Loop: Header=BB8_737 Depth=2
	s_and_not1_saveexec_b32 s13, s13
; %bb.789:                              ;   in Loop: Header=BB8_737 Depth=2
	v_and_b32_e32 v51, 0xffff, v49
	v_or_b32_e32 v59, 0x10000, v49
	s_delay_alu instid0(VALU_DEP_2) | instskip(NEXT) | instid1(VALU_DEP_2)
	v_cmp_eq_u32_e32 vcc_lo, 0, v51
	v_cndmask_b32_e32 v59, v59, v49, vcc_lo
; %bb.790:                              ;   in Loop: Header=BB8_737 Depth=2
	s_or_b32 exec_lo, exec_lo, s13
	v_and_b32_e32 v19, 0xffff0000, v19
	v_lshlrev_b32_e32 v49, 16, v28
	s_delay_alu instid0(VALU_DEP_1) | instskip(NEXT) | instid1(VALU_DEP_1)
	v_add_f32_e32 v49, v49, v19
	v_and_b32_e32 v19, 0x7f800000, v49
	s_delay_alu instid0(VALU_DEP_1) | instskip(SKIP_1) | instid1(SALU_CYCLE_1)
	v_cmp_ne_u32_e32 vcc_lo, 0x7f800000, v19
                                        ; implicit-def: $vgpr19
	s_and_saveexec_b32 s13, vcc_lo
	s_xor_b32 s13, exec_lo, s13
; %bb.791:                              ;   in Loop: Header=BB8_737 Depth=2
	v_bfe_u32 v19, v49, 16, 1
	s_delay_alu instid0(VALU_DEP_1)
	v_add3_u32 v19, v49, v19, 0x7fff
                                        ; implicit-def: $vgpr49
; %bb.792:                              ;   in Loop: Header=BB8_737 Depth=2
	s_and_not1_saveexec_b32 s13, s13
; %bb.793:                              ;   in Loop: Header=BB8_737 Depth=2
	v_and_b32_e32 v19, 0xffff, v49
	v_or_b32_e32 v51, 0x10000, v49
	s_delay_alu instid0(VALU_DEP_2) | instskip(NEXT) | instid1(VALU_DEP_2)
	v_cmp_eq_u32_e32 vcc_lo, 0, v19
	v_cndmask_b32_e32 v19, v51, v49, vcc_lo
; %bb.794:                              ;   in Loop: Header=BB8_737 Depth=2
	s_or_b32 exec_lo, exec_lo, s13
	v_and_b32_e32 v18, 0xffff0000, v18
	v_lshlrev_b32_e32 v49, 16, v29
	s_delay_alu instid0(VALU_DEP_1) | instskip(NEXT) | instid1(VALU_DEP_1)
	v_add_f32_e32 v49, v49, v18
	v_and_b32_e32 v18, 0x7f800000, v49
	s_delay_alu instid0(VALU_DEP_1) | instskip(SKIP_1) | instid1(SALU_CYCLE_1)
	v_cmp_ne_u32_e32 vcc_lo, 0x7f800000, v18
                                        ; implicit-def: $vgpr18
	s_and_saveexec_b32 s13, vcc_lo
	s_xor_b32 s13, exec_lo, s13
; %bb.795:                              ;   in Loop: Header=BB8_737 Depth=2
	v_bfe_u32 v18, v49, 16, 1
	s_delay_alu instid0(VALU_DEP_1)
	v_add3_u32 v18, v49, v18, 0x7fff
                                        ; implicit-def: $vgpr49
; %bb.796:                              ;   in Loop: Header=BB8_737 Depth=2
	s_and_not1_saveexec_b32 s13, s13
; %bb.797:                              ;   in Loop: Header=BB8_737 Depth=2
	v_and_b32_e32 v18, 0xffff, v49
	v_or_b32_e32 v51, 0x10000, v49
	s_delay_alu instid0(VALU_DEP_2) | instskip(NEXT) | instid1(VALU_DEP_2)
	v_cmp_eq_u32_e32 vcc_lo, 0, v18
	v_cndmask_b32_e32 v18, v51, v49, vcc_lo
; %bb.798:                              ;   in Loop: Header=BB8_737 Depth=2
	s_or_b32 exec_lo, exec_lo, s13
	v_and_b32_e32 v17, 0xffff0000, v17
	v_lshlrev_b32_e32 v49, 16, v32
	s_delay_alu instid0(VALU_DEP_1) | instskip(NEXT) | instid1(VALU_DEP_1)
	v_add_f32_e32 v49, v49, v17
	v_and_b32_e32 v17, 0x7f800000, v49
	s_delay_alu instid0(VALU_DEP_1) | instskip(SKIP_1) | instid1(SALU_CYCLE_1)
	v_cmp_ne_u32_e32 vcc_lo, 0x7f800000, v17
                                        ; implicit-def: $vgpr17
	s_and_saveexec_b32 s13, vcc_lo
	s_xor_b32 s13, exec_lo, s13
; %bb.799:                              ;   in Loop: Header=BB8_737 Depth=2
	v_bfe_u32 v17, v49, 16, 1
	s_delay_alu instid0(VALU_DEP_1)
	v_add3_u32 v17, v49, v17, 0x7fff
                                        ; implicit-def: $vgpr49
; %bb.800:                              ;   in Loop: Header=BB8_737 Depth=2
	s_and_not1_saveexec_b32 s13, s13
; %bb.801:                              ;   in Loop: Header=BB8_737 Depth=2
	v_and_b32_e32 v17, 0xffff, v49
	v_or_b32_e32 v51, 0x10000, v49
	s_delay_alu instid0(VALU_DEP_2) | instskip(NEXT) | instid1(VALU_DEP_2)
	v_cmp_eq_u32_e32 vcc_lo, 0, v17
	v_cndmask_b32_e32 v17, v51, v49, vcc_lo
; %bb.802:                              ;   in Loop: Header=BB8_737 Depth=2
	s_or_b32 exec_lo, exec_lo, s13
	v_dual_lshrrev_b32 v59, 16, v59 :: v_dual_lshrrev_b32 v92, 16, v16
	v_dual_lshrrev_b32 v90, 16, v48 :: v_dual_lshrrev_b32 v62, 16, v62
	s_delay_alu instid0(VALU_DEP_3)
	v_dual_lshrrev_b32 v88, 16, v88 :: v_dual_lshrrev_b32 v48, 16, v17
	v_dual_lshrrev_b32 v49, 16, v18 :: v_dual_lshrrev_b32 v51, 16, v19
	s_clause 0x7
	flat_store_b16 v[10:11], v92 th:TH_STORE_NT
	flat_store_b16 v[10:11], v90 offset:64 th:TH_STORE_NT
	flat_store_b16 v[10:11], v88 offset:128 th:TH_STORE_NT
	flat_store_b16 v[10:11], v62 offset:192 th:TH_STORE_NT
	flat_store_b16 v[10:11], v59 offset:256 th:TH_STORE_NT
	flat_store_b16 v[10:11], v51 offset:320 th:TH_STORE_NT
	flat_store_b16 v[10:11], v49 offset:384 th:TH_STORE_NT
	flat_store_b16 v[10:11], v48 offset:448 th:TH_STORE_NT
	s_wait_xcnt 0x0
	v_add_nc_u64_e32 v[10:11], v[10:11], v[116:117]
.LBB8_803:                              ;   in Loop: Header=BB8_737 Depth=2
	s_or_b32 exec_lo, exec_lo, s15
	v_sub_nc_u32_e32 v33, v33, v96
	v_add_nc_u64_e32 v[12:13], v[12:13], v[116:117]
	v_add_nc_u64_e32 v[14:15], v[14:15], v[116:117]
	s_delay_alu instid0(VALU_DEP_3)
	v_cmp_lt_i32_e64 s13, 0, v33
	s_and_saveexec_b32 s15, s13
	s_cbranch_execz .LBB8_805
; %bb.804:                              ;   in Loop: Header=BB8_737 Depth=2
	s_clause 0x7
	flat_load_u16 v92, v[12:13] th:TH_LOAD_NT
	flat_load_u16 v90, v[12:13] offset:64 th:TH_LOAD_NT
	flat_load_u16 v88, v[12:13] offset:128 th:TH_LOAD_NT
	;; [unrolled: 1-line block ×7, first 2 shown]
	s_clause 0x7
	flat_load_u16 v23, v[14:15] th:TH_LOAD_NT
	flat_load_u16 v24, v[14:15] offset:64 th:TH_LOAD_NT
	flat_load_u16 v25, v[14:15] offset:128 th:TH_LOAD_NT
	;; [unrolled: 1-line block ×7, first 2 shown]
	s_wait_xcnt 0x8
	v_add_nc_u64_e32 v[12:13], 0x200, v[12:13]
	s_wait_xcnt 0x0
	v_add_nc_u64_e32 v[14:15], 0x200, v[14:15]
.LBB8_805:                              ;   in Loop: Header=BB8_737 Depth=2
	s_or_b32 exec_lo, exec_lo, s15
	s_trap 2
	ds_load_b32 v16, v0
	s_wait_loadcnt_dscnt 0xf00
	v_dual_lshlrev_b32 v17, 16, v16 :: v_dual_lshlrev_b32 v16, 16, v95
	s_delay_alu instid0(VALU_DEP_1) | instskip(NEXT) | instid1(VALU_DEP_1)
	v_mov_b32_e32 v18, v17
	v_pk_mul_f32 v[18:19], v[18:19], v[16:17]
	s_delay_alu instid0(VALU_DEP_1) | instskip(NEXT) | instid1(VALU_DEP_1)
	v_and_b32_e32 v16, 0x7f800000, v18
	v_cmp_ne_u32_e32 vcc_lo, 0x7f800000, v16
                                        ; implicit-def: $vgpr16
	s_and_saveexec_b32 s15, vcc_lo
	s_delay_alu instid0(SALU_CYCLE_1)
	s_xor_b32 s15, exec_lo, s15
; %bb.806:                              ;   in Loop: Header=BB8_737 Depth=2
	v_bfe_u32 v16, v18, 16, 1
	s_delay_alu instid0(VALU_DEP_1)
	v_add3_u32 v16, v18, v16, 0x7fff
                                        ; implicit-def: $vgpr18_vgpr19
; %bb.807:                              ;   in Loop: Header=BB8_737 Depth=2
	s_and_not1_saveexec_b32 s15, s15
; %bb.808:                              ;   in Loop: Header=BB8_737 Depth=2
	v_and_b32_e32 v16, 0xffff, v18
	v_or_b32_e32 v19, 0x10000, v18
	s_delay_alu instid0(VALU_DEP_2) | instskip(NEXT) | instid1(VALU_DEP_2)
	v_cmp_eq_u32_e32 vcc_lo, 0, v16
	v_cndmask_b32_e32 v16, v19, v18, vcc_lo
; %bb.809:                              ;   in Loop: Header=BB8_737 Depth=2
	s_or_b32 exec_lo, exec_lo, s15
	s_wait_loadcnt 0xe
	v_lshlrev_b32_e32 v18, 16, v94
	s_mov_b32 s15, exec_lo
                                        ; implicit-def: $vgpr94
	s_delay_alu instid0(VALU_DEP_1) | instskip(NEXT) | instid1(VALU_DEP_1)
	v_mul_f32_e32 v18, v17, v18
	v_and_b32_e32 v19, 0x7f800000, v18
	s_delay_alu instid0(VALU_DEP_1)
	v_cmpx_ne_u32_e32 0x7f800000, v19
	s_xor_b32 s15, exec_lo, s15
; %bb.810:                              ;   in Loop: Header=BB8_737 Depth=2
	v_bfe_u32 v19, v18, 16, 1
	s_delay_alu instid0(VALU_DEP_1)
	v_add3_u32 v94, v18, v19, 0x7fff
                                        ; implicit-def: $vgpr18
; %bb.811:                              ;   in Loop: Header=BB8_737 Depth=2
	s_and_not1_saveexec_b32 s15, s15
; %bb.812:                              ;   in Loop: Header=BB8_737 Depth=2
	v_and_b32_e32 v19, 0xffff, v18
	v_or_b32_e32 v94, 0x10000, v18
	s_delay_alu instid0(VALU_DEP_2) | instskip(NEXT) | instid1(VALU_DEP_2)
	v_cmp_eq_u32_e32 vcc_lo, 0, v19
	v_cndmask_b32_e32 v94, v94, v18, vcc_lo
; %bb.813:                              ;   in Loop: Header=BB8_737 Depth=2
	s_or_b32 exec_lo, exec_lo, s15
	s_wait_loadcnt 0xd
	v_lshlrev_b32_e32 v18, 16, v93
	s_mov_b32 s15, exec_lo
                                        ; implicit-def: $vgpr93
	s_delay_alu instid0(VALU_DEP_1) | instskip(NEXT) | instid1(VALU_DEP_1)
	v_mul_f32_e32 v18, v17, v18
	v_and_b32_e32 v19, 0x7f800000, v18
	s_delay_alu instid0(VALU_DEP_1)
	v_cmpx_ne_u32_e32 0x7f800000, v19
	s_xor_b32 s15, exec_lo, s15
; %bb.814:                              ;   in Loop: Header=BB8_737 Depth=2
	v_bfe_u32 v19, v18, 16, 1
	s_delay_alu instid0(VALU_DEP_1)
	v_add3_u32 v93, v18, v19, 0x7fff
                                        ; implicit-def: $vgpr18
; %bb.815:                              ;   in Loop: Header=BB8_737 Depth=2
	s_and_not1_saveexec_b32 s15, s15
; %bb.816:                              ;   in Loop: Header=BB8_737 Depth=2
	v_and_b32_e32 v19, 0xffff, v18
	v_or_b32_e32 v93, 0x10000, v18
	s_delay_alu instid0(VALU_DEP_2) | instskip(NEXT) | instid1(VALU_DEP_2)
	v_cmp_eq_u32_e32 vcc_lo, 0, v19
	v_cndmask_b32_e32 v93, v93, v18, vcc_lo
; %bb.817:                              ;   in Loop: Header=BB8_737 Depth=2
	s_or_b32 exec_lo, exec_lo, s15
	s_wait_loadcnt 0xc
	v_lshlrev_b32_e32 v18, 16, v91
	s_mov_b32 s15, exec_lo
                                        ; implicit-def: $vgpr91
	s_delay_alu instid0(VALU_DEP_1) | instskip(NEXT) | instid1(VALU_DEP_1)
	v_mul_f32_e32 v18, v17, v18
	v_and_b32_e32 v19, 0x7f800000, v18
	s_delay_alu instid0(VALU_DEP_1)
	v_cmpx_ne_u32_e32 0x7f800000, v19
	s_xor_b32 s15, exec_lo, s15
; %bb.818:                              ;   in Loop: Header=BB8_737 Depth=2
	v_bfe_u32 v19, v18, 16, 1
	s_delay_alu instid0(VALU_DEP_1)
	v_add3_u32 v91, v18, v19, 0x7fff
                                        ; implicit-def: $vgpr18
; %bb.819:                              ;   in Loop: Header=BB8_737 Depth=2
	s_and_not1_saveexec_b32 s15, s15
; %bb.820:                              ;   in Loop: Header=BB8_737 Depth=2
	v_and_b32_e32 v19, 0xffff, v18
	v_or_b32_e32 v91, 0x10000, v18
	s_delay_alu instid0(VALU_DEP_2) | instskip(NEXT) | instid1(VALU_DEP_2)
	v_cmp_eq_u32_e32 vcc_lo, 0, v19
	v_cndmask_b32_e32 v91, v91, v18, vcc_lo
; %bb.821:                              ;   in Loop: Header=BB8_737 Depth=2
	s_or_b32 exec_lo, exec_lo, s15
	s_wait_loadcnt 0xb
	v_lshlrev_b32_e32 v18, 16, v89
	s_mov_b32 s15, exec_lo
                                        ; implicit-def: $vgpr89
	s_delay_alu instid0(VALU_DEP_1) | instskip(NEXT) | instid1(VALU_DEP_1)
	v_mul_f32_e32 v18, v17, v18
	v_and_b32_e32 v19, 0x7f800000, v18
	s_delay_alu instid0(VALU_DEP_1)
	v_cmpx_ne_u32_e32 0x7f800000, v19
	s_xor_b32 s15, exec_lo, s15
; %bb.822:                              ;   in Loop: Header=BB8_737 Depth=2
	v_bfe_u32 v19, v18, 16, 1
	s_delay_alu instid0(VALU_DEP_1)
	v_add3_u32 v89, v18, v19, 0x7fff
                                        ; implicit-def: $vgpr18
; %bb.823:                              ;   in Loop: Header=BB8_737 Depth=2
	s_and_not1_saveexec_b32 s15, s15
; %bb.824:                              ;   in Loop: Header=BB8_737 Depth=2
	v_and_b32_e32 v19, 0xffff, v18
	v_or_b32_e32 v89, 0x10000, v18
	s_delay_alu instid0(VALU_DEP_2) | instskip(NEXT) | instid1(VALU_DEP_2)
	v_cmp_eq_u32_e32 vcc_lo, 0, v19
	v_cndmask_b32_e32 v89, v89, v18, vcc_lo
; %bb.825:                              ;   in Loop: Header=BB8_737 Depth=2
	s_or_b32 exec_lo, exec_lo, s15
	s_wait_loadcnt 0xa
	v_lshlrev_b32_e32 v18, 16, v63
	s_delay_alu instid0(VALU_DEP_1) | instskip(NEXT) | instid1(VALU_DEP_1)
	v_mul_f32_e32 v18, v17, v18
	v_and_b32_e32 v19, 0x7f800000, v18
	s_delay_alu instid0(VALU_DEP_1) | instskip(SKIP_1) | instid1(SALU_CYCLE_1)
	v_cmp_ne_u32_e32 vcc_lo, 0x7f800000, v19
                                        ; implicit-def: $vgpr19
	s_and_saveexec_b32 s15, vcc_lo
	s_xor_b32 s15, exec_lo, s15
; %bb.826:                              ;   in Loop: Header=BB8_737 Depth=2
	v_bfe_u32 v19, v18, 16, 1
	s_delay_alu instid0(VALU_DEP_1)
	v_add3_u32 v19, v18, v19, 0x7fff
                                        ; implicit-def: $vgpr18
; %bb.827:                              ;   in Loop: Header=BB8_737 Depth=2
	s_and_not1_saveexec_b32 s15, s15
; %bb.828:                              ;   in Loop: Header=BB8_737 Depth=2
	v_and_b32_e32 v19, 0xffff, v18
	v_or_b32_e32 v63, 0x10000, v18
	s_delay_alu instid0(VALU_DEP_2) | instskip(NEXT) | instid1(VALU_DEP_2)
	v_cmp_eq_u32_e32 vcc_lo, 0, v19
	v_cndmask_b32_e32 v19, v63, v18, vcc_lo
; %bb.829:                              ;   in Loop: Header=BB8_737 Depth=2
	s_or_b32 exec_lo, exec_lo, s15
	s_wait_loadcnt 0x9
	v_lshlrev_b32_e32 v18, 16, v61
	s_delay_alu instid0(VALU_DEP_1) | instskip(NEXT) | instid1(VALU_DEP_1)
	v_mul_f32_e32 v61, v17, v18
	v_and_b32_e32 v18, 0x7f800000, v61
	s_delay_alu instid0(VALU_DEP_1) | instskip(SKIP_1) | instid1(SALU_CYCLE_1)
	v_cmp_ne_u32_e32 vcc_lo, 0x7f800000, v18
                                        ; implicit-def: $vgpr18
	s_and_saveexec_b32 s15, vcc_lo
	s_xor_b32 s15, exec_lo, s15
; %bb.830:                              ;   in Loop: Header=BB8_737 Depth=2
	v_bfe_u32 v18, v61, 16, 1
	s_delay_alu instid0(VALU_DEP_1)
	v_add3_u32 v18, v61, v18, 0x7fff
                                        ; implicit-def: $vgpr61
; %bb.831:                              ;   in Loop: Header=BB8_737 Depth=2
	s_and_not1_saveexec_b32 s15, s15
; %bb.832:                              ;   in Loop: Header=BB8_737 Depth=2
	v_and_b32_e32 v18, 0xffff, v61
	v_or_b32_e32 v63, 0x10000, v61
	s_delay_alu instid0(VALU_DEP_2) | instskip(NEXT) | instid1(VALU_DEP_2)
	v_cmp_eq_u32_e32 vcc_lo, 0, v18
	v_cndmask_b32_e32 v18, v63, v61, vcc_lo
; %bb.833:                              ;   in Loop: Header=BB8_737 Depth=2
	s_or_b32 exec_lo, exec_lo, s15
	s_wait_loadcnt 0x8
	v_lshlrev_b32_e32 v60, 16, v60
	s_delay_alu instid0(VALU_DEP_1) | instskip(NEXT) | instid1(VALU_DEP_1)
	v_mul_f32_e32 v60, v17, v60
	v_and_b32_e32 v17, 0x7f800000, v60
	s_delay_alu instid0(VALU_DEP_1) | instskip(SKIP_1) | instid1(SALU_CYCLE_1)
	v_cmp_ne_u32_e32 vcc_lo, 0x7f800000, v17
                                        ; implicit-def: $vgpr17
	s_and_saveexec_b32 s15, vcc_lo
	s_xor_b32 s15, exec_lo, s15
; %bb.834:                              ;   in Loop: Header=BB8_737 Depth=2
	v_bfe_u32 v17, v60, 16, 1
	s_delay_alu instid0(VALU_DEP_1)
	v_add3_u32 v17, v60, v17, 0x7fff
                                        ; implicit-def: $vgpr60
; %bb.835:                              ;   in Loop: Header=BB8_737 Depth=2
	s_and_not1_saveexec_b32 s15, s15
; %bb.836:                              ;   in Loop: Header=BB8_737 Depth=2
	v_and_b32_e32 v17, 0xffff, v60
	v_or_b32_e32 v61, 0x10000, v60
	s_delay_alu instid0(VALU_DEP_2) | instskip(NEXT) | instid1(VALU_DEP_2)
	v_cmp_eq_u32_e32 vcc_lo, 0, v17
	v_cndmask_b32_e32 v17, v61, v60, vcc_lo
; %bb.837:                              ;   in Loop: Header=BB8_737 Depth=2
	s_or_b32 exec_lo, exec_lo, s15
	v_and_b32_e32 v16, 0xffff0000, v16
	s_wait_loadcnt 0x7
	v_lshlrev_b32_e32 v58, 16, v58
	s_delay_alu instid0(VALU_DEP_1) | instskip(NEXT) | instid1(VALU_DEP_1)
	v_add_f32_e32 v58, v58, v16
	v_and_b32_e32 v16, 0x7f800000, v58
	s_delay_alu instid0(VALU_DEP_1) | instskip(SKIP_1) | instid1(SALU_CYCLE_1)
	v_cmp_ne_u32_e32 vcc_lo, 0x7f800000, v16
                                        ; implicit-def: $vgpr16
	s_and_saveexec_b32 s15, vcc_lo
	s_xor_b32 s15, exec_lo, s15
; %bb.838:                              ;   in Loop: Header=BB8_737 Depth=2
	v_bfe_u32 v16, v58, 16, 1
	s_delay_alu instid0(VALU_DEP_1)
	v_add3_u32 v16, v58, v16, 0x7fff
                                        ; implicit-def: $vgpr58
; %bb.839:                              ;   in Loop: Header=BB8_737 Depth=2
	s_and_not1_saveexec_b32 s15, s15
; %bb.840:                              ;   in Loop: Header=BB8_737 Depth=2
	v_and_b32_e32 v16, 0xffff, v58
	v_or_b32_e32 v60, 0x10000, v58
	s_delay_alu instid0(VALU_DEP_2) | instskip(NEXT) | instid1(VALU_DEP_2)
	v_cmp_eq_u32_e32 vcc_lo, 0, v16
	v_cndmask_b32_e32 v16, v60, v58, vcc_lo
; %bb.841:                              ;   in Loop: Header=BB8_737 Depth=2
	s_or_b32 exec_lo, exec_lo, s15
	v_and_b32_e32 v58, 0xffff0000, v94
	s_wait_loadcnt 0x6
	v_lshlrev_b32_e32 v50, 16, v50
	s_delay_alu instid0(VALU_DEP_1) | instskip(NEXT) | instid1(VALU_DEP_1)
	v_add_f32_e32 v58, v50, v58
	v_and_b32_e32 v50, 0x7f800000, v58
	s_delay_alu instid0(VALU_DEP_1) | instskip(SKIP_1) | instid1(SALU_CYCLE_1)
	v_cmp_ne_u32_e32 vcc_lo, 0x7f800000, v50
                                        ; implicit-def: $vgpr50
	s_and_saveexec_b32 s15, vcc_lo
	s_xor_b32 s15, exec_lo, s15
; %bb.842:                              ;   in Loop: Header=BB8_737 Depth=2
	v_bfe_u32 v50, v58, 16, 1
	s_delay_alu instid0(VALU_DEP_1)
	v_add3_u32 v50, v58, v50, 0x7fff
                                        ; implicit-def: $vgpr58
; %bb.843:                              ;   in Loop: Header=BB8_737 Depth=2
	s_and_not1_saveexec_b32 s15, s15
; %bb.844:                              ;   in Loop: Header=BB8_737 Depth=2
	v_and_b32_e32 v50, 0xffff, v58
	v_or_b32_e32 v60, 0x10000, v58
	s_delay_alu instid0(VALU_DEP_2) | instskip(NEXT) | instid1(VALU_DEP_2)
	v_cmp_eq_u32_e32 vcc_lo, 0, v50
	v_cndmask_b32_e32 v50, v60, v58, vcc_lo
; %bb.845:                              ;   in Loop: Header=BB8_737 Depth=2
	s_or_b32 exec_lo, exec_lo, s15
	v_and_b32_e32 v58, 0xffff0000, v93
	s_wait_loadcnt 0x5
	v_lshlrev_b32_e32 v39, 16, v39
	s_delay_alu instid0(VALU_DEP_1) | instskip(NEXT) | instid1(VALU_DEP_1)
	v_add_f32_e32 v58, v39, v58
	v_and_b32_e32 v39, 0x7f800000, v58
	s_delay_alu instid0(VALU_DEP_1) | instskip(SKIP_1) | instid1(SALU_CYCLE_1)
	v_cmp_ne_u32_e32 vcc_lo, 0x7f800000, v39
                                        ; implicit-def: $vgpr39
	s_and_saveexec_b32 s15, vcc_lo
	s_xor_b32 s15, exec_lo, s15
; %bb.846:                              ;   in Loop: Header=BB8_737 Depth=2
	v_bfe_u32 v39, v58, 16, 1
	s_delay_alu instid0(VALU_DEP_1)
	v_add3_u32 v39, v58, v39, 0x7fff
                                        ; implicit-def: $vgpr58
; %bb.847:                              ;   in Loop: Header=BB8_737 Depth=2
	s_and_not1_saveexec_b32 s15, s15
; %bb.848:                              ;   in Loop: Header=BB8_737 Depth=2
	v_and_b32_e32 v39, 0xffff, v58
	v_or_b32_e32 v60, 0x10000, v58
	s_delay_alu instid0(VALU_DEP_2) | instskip(NEXT) | instid1(VALU_DEP_2)
	v_cmp_eq_u32_e32 vcc_lo, 0, v39
	v_cndmask_b32_e32 v39, v60, v58, vcc_lo
; %bb.849:                              ;   in Loop: Header=BB8_737 Depth=2
	s_or_b32 exec_lo, exec_lo, s15
	v_and_b32_e32 v58, 0xffff0000, v91
	s_wait_loadcnt 0x4
	v_lshlrev_b32_e32 v38, 16, v38
	s_delay_alu instid0(VALU_DEP_1) | instskip(NEXT) | instid1(VALU_DEP_1)
	v_add_f32_e32 v58, v38, v58
	v_and_b32_e32 v38, 0x7f800000, v58
	s_delay_alu instid0(VALU_DEP_1) | instskip(SKIP_1) | instid1(SALU_CYCLE_1)
	v_cmp_ne_u32_e32 vcc_lo, 0x7f800000, v38
                                        ; implicit-def: $vgpr38
	s_and_saveexec_b32 s15, vcc_lo
	s_xor_b32 s15, exec_lo, s15
; %bb.850:                              ;   in Loop: Header=BB8_737 Depth=2
	v_bfe_u32 v38, v58, 16, 1
	s_delay_alu instid0(VALU_DEP_1)
	v_add3_u32 v38, v58, v38, 0x7fff
                                        ; implicit-def: $vgpr58
; %bb.851:                              ;   in Loop: Header=BB8_737 Depth=2
	s_and_not1_saveexec_b32 s15, s15
; %bb.852:                              ;   in Loop: Header=BB8_737 Depth=2
	v_and_b32_e32 v38, 0xffff, v58
	v_or_b32_e32 v60, 0x10000, v58
	s_delay_alu instid0(VALU_DEP_2) | instskip(NEXT) | instid1(VALU_DEP_2)
	v_cmp_eq_u32_e32 vcc_lo, 0, v38
	v_cndmask_b32_e32 v38, v60, v58, vcc_lo
; %bb.853:                              ;   in Loop: Header=BB8_737 Depth=2
	s_or_b32 exec_lo, exec_lo, s15
	v_and_b32_e32 v58, 0xffff0000, v89
	s_wait_loadcnt 0x3
	v_lshlrev_b32_e32 v37, 16, v37
	s_delay_alu instid0(VALU_DEP_1) | instskip(NEXT) | instid1(VALU_DEP_1)
	v_add_f32_e32 v58, v37, v58
	v_and_b32_e32 v37, 0x7f800000, v58
	s_delay_alu instid0(VALU_DEP_1) | instskip(SKIP_1) | instid1(SALU_CYCLE_1)
	v_cmp_ne_u32_e32 vcc_lo, 0x7f800000, v37
                                        ; implicit-def: $vgpr37
	s_and_saveexec_b32 s15, vcc_lo
	s_xor_b32 s15, exec_lo, s15
; %bb.854:                              ;   in Loop: Header=BB8_737 Depth=2
	v_bfe_u32 v37, v58, 16, 1
	s_delay_alu instid0(VALU_DEP_1)
	v_add3_u32 v37, v58, v37, 0x7fff
                                        ; implicit-def: $vgpr58
; %bb.855:                              ;   in Loop: Header=BB8_737 Depth=2
	s_and_not1_saveexec_b32 s15, s15
; %bb.856:                              ;   in Loop: Header=BB8_737 Depth=2
	v_and_b32_e32 v37, 0xffff, v58
	v_or_b32_e32 v60, 0x10000, v58
	s_delay_alu instid0(VALU_DEP_2) | instskip(NEXT) | instid1(VALU_DEP_2)
	v_cmp_eq_u32_e32 vcc_lo, 0, v37
	v_cndmask_b32_e32 v37, v60, v58, vcc_lo
; %bb.857:                              ;   in Loop: Header=BB8_737 Depth=2
	s_or_b32 exec_lo, exec_lo, s15
	v_and_b32_e32 v19, 0xffff0000, v19
	s_wait_loadcnt 0x2
	v_lshlrev_b32_e32 v36, 16, v36
	s_delay_alu instid0(VALU_DEP_1) | instskip(NEXT) | instid1(VALU_DEP_1)
	v_add_f32_e32 v36, v36, v19
	v_and_b32_e32 v19, 0x7f800000, v36
	s_delay_alu instid0(VALU_DEP_1) | instskip(SKIP_1) | instid1(SALU_CYCLE_1)
	v_cmp_ne_u32_e32 vcc_lo, 0x7f800000, v19
                                        ; implicit-def: $vgpr19
	s_and_saveexec_b32 s15, vcc_lo
	s_xor_b32 s15, exec_lo, s15
; %bb.858:                              ;   in Loop: Header=BB8_737 Depth=2
	v_bfe_u32 v19, v36, 16, 1
	s_delay_alu instid0(VALU_DEP_1)
	v_add3_u32 v19, v36, v19, 0x7fff
                                        ; implicit-def: $vgpr36
; %bb.859:                              ;   in Loop: Header=BB8_737 Depth=2
	s_and_not1_saveexec_b32 s15, s15
; %bb.860:                              ;   in Loop: Header=BB8_737 Depth=2
	v_and_b32_e32 v19, 0xffff, v36
	v_or_b32_e32 v58, 0x10000, v36
	s_delay_alu instid0(VALU_DEP_2) | instskip(NEXT) | instid1(VALU_DEP_2)
	v_cmp_eq_u32_e32 vcc_lo, 0, v19
	v_cndmask_b32_e32 v19, v58, v36, vcc_lo
; %bb.861:                              ;   in Loop: Header=BB8_737 Depth=2
	s_or_b32 exec_lo, exec_lo, s15
	v_and_b32_e32 v18, 0xffff0000, v18
	s_wait_loadcnt 0x1
	v_lshlrev_b32_e32 v35, 16, v35
	s_delay_alu instid0(VALU_DEP_1) | instskip(NEXT) | instid1(VALU_DEP_1)
	v_add_f32_e32 v35, v35, v18
	v_and_b32_e32 v18, 0x7f800000, v35
	s_delay_alu instid0(VALU_DEP_1) | instskip(SKIP_1) | instid1(SALU_CYCLE_1)
	v_cmp_ne_u32_e32 vcc_lo, 0x7f800000, v18
                                        ; implicit-def: $vgpr18
	s_and_saveexec_b32 s15, vcc_lo
	s_xor_b32 s15, exec_lo, s15
; %bb.862:                              ;   in Loop: Header=BB8_737 Depth=2
	v_bfe_u32 v18, v35, 16, 1
	s_delay_alu instid0(VALU_DEP_1)
	v_add3_u32 v18, v35, v18, 0x7fff
                                        ; implicit-def: $vgpr35
; %bb.863:                              ;   in Loop: Header=BB8_737 Depth=2
	s_and_not1_saveexec_b32 s15, s15
; %bb.864:                              ;   in Loop: Header=BB8_737 Depth=2
	v_and_b32_e32 v18, 0xffff, v35
	v_or_b32_e32 v36, 0x10000, v35
	s_delay_alu instid0(VALU_DEP_2) | instskip(NEXT) | instid1(VALU_DEP_2)
	v_cmp_eq_u32_e32 vcc_lo, 0, v18
	v_cndmask_b32_e32 v18, v36, v35, vcc_lo
; %bb.865:                              ;   in Loop: Header=BB8_737 Depth=2
	s_or_b32 exec_lo, exec_lo, s15
	v_and_b32_e32 v17, 0xffff0000, v17
	s_wait_loadcnt 0x0
	v_lshlrev_b32_e32 v34, 16, v34
	s_delay_alu instid0(VALU_DEP_1) | instskip(NEXT) | instid1(VALU_DEP_1)
	v_add_f32_e32 v34, v34, v17
	v_and_b32_e32 v17, 0x7f800000, v34
	s_delay_alu instid0(VALU_DEP_1) | instskip(SKIP_1) | instid1(SALU_CYCLE_1)
	v_cmp_ne_u32_e32 vcc_lo, 0x7f800000, v17
                                        ; implicit-def: $vgpr17
	s_and_saveexec_b32 s15, vcc_lo
	s_xor_b32 s15, exec_lo, s15
; %bb.866:                              ;   in Loop: Header=BB8_737 Depth=2
	v_bfe_u32 v17, v34, 16, 1
	s_delay_alu instid0(VALU_DEP_1)
	v_add3_u32 v17, v34, v17, 0x7fff
                                        ; implicit-def: $vgpr34
; %bb.867:                              ;   in Loop: Header=BB8_737 Depth=2
	s_and_not1_saveexec_b32 s15, s15
	s_cbranch_execz .LBB8_736
; %bb.868:                              ;   in Loop: Header=BB8_737 Depth=2
	v_and_b32_e32 v17, 0xffff, v34
	v_or_b32_e32 v35, 0x10000, v34
	s_delay_alu instid0(VALU_DEP_2) | instskip(NEXT) | instid1(VALU_DEP_2)
	v_cmp_eq_u32_e32 vcc_lo, 0, v17
	v_cndmask_b32_e32 v17, v35, v34, vcc_lo
	s_branch .LBB8_736
.LBB8_869:                              ;   in Loop: Header=BB8_49 Depth=1
	s_or_b32 exec_lo, exec_lo, s12
	v_dual_lshlrev_b32 v60, 16, v92 :: v_dual_lshlrev_b32 v58, 16, v90
	v_dual_lshlrev_b32 v50, 16, v88 :: v_dual_lshlrev_b32 v39, 16, v62
	;; [unrolled: 1-line block ×8, first 2 shown]
	s_and_b32 s11, s11, exec_lo
.LBB8_870:                              ;   in Loop: Header=BB8_49 Depth=1
	s_or_b32 exec_lo, exec_lo, s10
	s_and_saveexec_b32 s10, s11
	s_cbranch_execz .LBB8_936
; %bb.871:                              ;   in Loop: Header=BB8_49 Depth=1
	s_trap 2
	ds_load_b32 v14, v0
	s_wait_dscnt 0x0
	v_lshlrev_b32_e32 v14, 16, v14
	s_delay_alu instid0(VALU_DEP_1) | instskip(NEXT) | instid1(VALU_DEP_1)
	v_mul_f32_e32 v24, v60, v14
	v_and_b32_e32 v15, 0x7f800000, v24
	s_delay_alu instid0(VALU_DEP_1) | instskip(SKIP_1) | instid1(SALU_CYCLE_1)
	v_cmp_ne_u32_e32 vcc_lo, 0x7f800000, v15
                                        ; implicit-def: $vgpr15
	s_and_saveexec_b32 s11, vcc_lo
	s_xor_b32 s11, exec_lo, s11
; %bb.872:                              ;   in Loop: Header=BB8_49 Depth=1
	v_bfe_u32 v15, v24, 16, 1
	s_delay_alu instid0(VALU_DEP_1)
	v_add3_u32 v15, v24, v15, 0x7fff
                                        ; implicit-def: $vgpr24
; %bb.873:                              ;   in Loop: Header=BB8_49 Depth=1
	s_and_not1_saveexec_b32 s11, s11
; %bb.874:                              ;   in Loop: Header=BB8_49 Depth=1
	v_and_b32_e32 v15, 0xffff, v24
	v_or_b32_e32 v25, 0x10000, v24
	s_delay_alu instid0(VALU_DEP_2) | instskip(NEXT) | instid1(VALU_DEP_2)
	v_cmp_eq_u32_e32 vcc_lo, 0, v15
	v_cndmask_b32_e32 v15, v25, v24, vcc_lo
; %bb.875:                              ;   in Loop: Header=BB8_49 Depth=1
	s_or_b32 exec_lo, exec_lo, s11
	v_mul_f32_e32 v24, v58, v14
	s_mov_b32 s11, exec_lo
                                        ; implicit-def: $vgpr29
	s_delay_alu instid0(VALU_DEP_1) | instskip(NEXT) | instid1(VALU_DEP_1)
	v_and_b32_e32 v25, 0x7f800000, v24
	v_cmpx_ne_u32_e32 0x7f800000, v25
	s_xor_b32 s11, exec_lo, s11
; %bb.876:                              ;   in Loop: Header=BB8_49 Depth=1
	v_bfe_u32 v25, v24, 16, 1
	s_delay_alu instid0(VALU_DEP_1)
	v_add3_u32 v29, v24, v25, 0x7fff
                                        ; implicit-def: $vgpr24
; %bb.877:                              ;   in Loop: Header=BB8_49 Depth=1
	s_and_not1_saveexec_b32 s11, s11
; %bb.878:                              ;   in Loop: Header=BB8_49 Depth=1
	v_and_b32_e32 v25, 0xffff, v24
	v_or_b32_e32 v26, 0x10000, v24
	s_delay_alu instid0(VALU_DEP_2) | instskip(NEXT) | instid1(VALU_DEP_2)
	v_cmp_eq_u32_e32 vcc_lo, 0, v25
	v_cndmask_b32_e32 v29, v26, v24, vcc_lo
; %bb.879:                              ;   in Loop: Header=BB8_49 Depth=1
	s_or_b32 exec_lo, exec_lo, s11
	v_mul_f32_e32 v24, v50, v14
	s_mov_b32 s11, exec_lo
                                        ; implicit-def: $vgpr28
	s_delay_alu instid0(VALU_DEP_1) | instskip(NEXT) | instid1(VALU_DEP_1)
	v_and_b32_e32 v25, 0x7f800000, v24
	v_cmpx_ne_u32_e32 0x7f800000, v25
	s_xor_b32 s11, exec_lo, s11
; %bb.880:                              ;   in Loop: Header=BB8_49 Depth=1
	v_bfe_u32 v25, v24, 16, 1
	s_delay_alu instid0(VALU_DEP_1)
	v_add3_u32 v28, v24, v25, 0x7fff
                                        ; implicit-def: $vgpr24
; %bb.881:                              ;   in Loop: Header=BB8_49 Depth=1
	s_and_not1_saveexec_b32 s11, s11
; %bb.882:                              ;   in Loop: Header=BB8_49 Depth=1
	v_and_b32_e32 v25, 0xffff, v24
	v_or_b32_e32 v26, 0x10000, v24
	s_delay_alu instid0(VALU_DEP_2) | instskip(NEXT) | instid1(VALU_DEP_2)
	v_cmp_eq_u32_e32 vcc_lo, 0, v25
	v_cndmask_b32_e32 v28, v26, v24, vcc_lo
; %bb.883:                              ;   in Loop: Header=BB8_49 Depth=1
	s_or_b32 exec_lo, exec_lo, s11
	v_mul_f32_e32 v24, v39, v14
	s_mov_b32 s11, exec_lo
                                        ; implicit-def: $vgpr27
	s_delay_alu instid0(VALU_DEP_1) | instskip(NEXT) | instid1(VALU_DEP_1)
	v_and_b32_e32 v25, 0x7f800000, v24
	v_cmpx_ne_u32_e32 0x7f800000, v25
	s_xor_b32 s11, exec_lo, s11
; %bb.884:                              ;   in Loop: Header=BB8_49 Depth=1
	v_bfe_u32 v25, v24, 16, 1
	s_delay_alu instid0(VALU_DEP_1)
	v_add3_u32 v27, v24, v25, 0x7fff
                                        ; implicit-def: $vgpr24
; %bb.885:                              ;   in Loop: Header=BB8_49 Depth=1
	s_and_not1_saveexec_b32 s11, s11
; %bb.886:                              ;   in Loop: Header=BB8_49 Depth=1
	v_and_b32_e32 v25, 0xffff, v24
	v_or_b32_e32 v26, 0x10000, v24
	s_delay_alu instid0(VALU_DEP_2) | instskip(NEXT) | instid1(VALU_DEP_2)
	v_cmp_eq_u32_e32 vcc_lo, 0, v25
	v_cndmask_b32_e32 v27, v26, v24, vcc_lo
; %bb.887:                              ;   in Loop: Header=BB8_49 Depth=1
	s_or_b32 exec_lo, exec_lo, s11
	v_mul_f32_e32 v24, v38, v14
	s_mov_b32 s11, exec_lo
                                        ; implicit-def: $vgpr26
	s_delay_alu instid0(VALU_DEP_1) | instskip(NEXT) | instid1(VALU_DEP_1)
	v_and_b32_e32 v25, 0x7f800000, v24
	v_cmpx_ne_u32_e32 0x7f800000, v25
	s_xor_b32 s11, exec_lo, s11
; %bb.888:                              ;   in Loop: Header=BB8_49 Depth=1
	v_bfe_u32 v25, v24, 16, 1
	s_delay_alu instid0(VALU_DEP_1)
	v_add3_u32 v26, v24, v25, 0x7fff
                                        ; implicit-def: $vgpr24
; %bb.889:                              ;   in Loop: Header=BB8_49 Depth=1
	s_and_not1_saveexec_b32 s11, s11
; %bb.890:                              ;   in Loop: Header=BB8_49 Depth=1
	v_and_b32_e32 v25, 0xffff, v24
	v_or_b32_e32 v26, 0x10000, v24
	s_delay_alu instid0(VALU_DEP_2) | instskip(NEXT) | instid1(VALU_DEP_2)
	v_cmp_eq_u32_e32 vcc_lo, 0, v25
	v_cndmask_b32_e32 v26, v26, v24, vcc_lo
; %bb.891:                              ;   in Loop: Header=BB8_49 Depth=1
	s_or_b32 exec_lo, exec_lo, s11
	v_mul_f32_e32 v24, v37, v14
	s_delay_alu instid0(VALU_DEP_1) | instskip(NEXT) | instid1(VALU_DEP_1)
	v_and_b32_e32 v25, 0x7f800000, v24
	v_cmp_ne_u32_e32 vcc_lo, 0x7f800000, v25
                                        ; implicit-def: $vgpr25
	s_and_saveexec_b32 s11, vcc_lo
	s_delay_alu instid0(SALU_CYCLE_1)
	s_xor_b32 s11, exec_lo, s11
; %bb.892:                              ;   in Loop: Header=BB8_49 Depth=1
	v_bfe_u32 v25, v24, 16, 1
	s_delay_alu instid0(VALU_DEP_1)
	v_add3_u32 v25, v24, v25, 0x7fff
                                        ; implicit-def: $vgpr24
; %bb.893:                              ;   in Loop: Header=BB8_49 Depth=1
	s_and_not1_saveexec_b32 s11, s11
; %bb.894:                              ;   in Loop: Header=BB8_49 Depth=1
	v_and_b32_e32 v25, 0xffff, v24
	v_or_b32_e32 v32, 0x10000, v24
	s_delay_alu instid0(VALU_DEP_2) | instskip(NEXT) | instid1(VALU_DEP_2)
	v_cmp_eq_u32_e32 vcc_lo, 0, v25
	v_cndmask_b32_e32 v25, v32, v24, vcc_lo
; %bb.895:                              ;   in Loop: Header=BB8_49 Depth=1
	s_or_b32 exec_lo, exec_lo, s11
	v_mul_f32_e32 v32, v36, v14
	s_delay_alu instid0(VALU_DEP_1) | instskip(NEXT) | instid1(VALU_DEP_1)
	v_and_b32_e32 v24, 0x7f800000, v32
	v_cmp_ne_u32_e32 vcc_lo, 0x7f800000, v24
                                        ; implicit-def: $vgpr24
	s_and_saveexec_b32 s11, vcc_lo
	s_delay_alu instid0(SALU_CYCLE_1)
	s_xor_b32 s11, exec_lo, s11
; %bb.896:                              ;   in Loop: Header=BB8_49 Depth=1
	v_bfe_u32 v24, v32, 16, 1
	s_delay_alu instid0(VALU_DEP_1)
	v_add3_u32 v24, v32, v24, 0x7fff
                                        ; implicit-def: $vgpr32
; %bb.897:                              ;   in Loop: Header=BB8_49 Depth=1
	s_and_not1_saveexec_b32 s11, s11
; %bb.898:                              ;   in Loop: Header=BB8_49 Depth=1
	v_and_b32_e32 v24, 0xffff, v32
	v_or_b32_e32 v36, 0x10000, v32
	s_delay_alu instid0(VALU_DEP_2) | instskip(NEXT) | instid1(VALU_DEP_2)
	v_cmp_eq_u32_e32 vcc_lo, 0, v24
	v_cndmask_b32_e32 v24, v36, v32, vcc_lo
; %bb.899:                              ;   in Loop: Header=BB8_49 Depth=1
	s_or_b32 exec_lo, exec_lo, s11
	v_mul_f32_e32 v32, v35, v14
	s_delay_alu instid0(VALU_DEP_1) | instskip(NEXT) | instid1(VALU_DEP_1)
	v_and_b32_e32 v14, 0x7f800000, v32
	v_cmp_ne_u32_e32 vcc_lo, 0x7f800000, v14
                                        ; implicit-def: $vgpr14
	s_and_saveexec_b32 s11, vcc_lo
	s_delay_alu instid0(SALU_CYCLE_1)
	s_xor_b32 s11, exec_lo, s11
; %bb.900:                              ;   in Loop: Header=BB8_49 Depth=1
	v_bfe_u32 v14, v32, 16, 1
	s_delay_alu instid0(VALU_DEP_1)
	v_add3_u32 v14, v32, v14, 0x7fff
                                        ; implicit-def: $vgpr32
; %bb.901:                              ;   in Loop: Header=BB8_49 Depth=1
	s_and_not1_saveexec_b32 s11, s11
; %bb.902:                              ;   in Loop: Header=BB8_49 Depth=1
	v_and_b32_e32 v14, 0xffff, v32
	v_or_b32_e32 v35, 0x10000, v32
	s_delay_alu instid0(VALU_DEP_2) | instskip(NEXT) | instid1(VALU_DEP_2)
	v_cmp_eq_u32_e32 vcc_lo, 0, v14
	v_cndmask_b32_e32 v14, v35, v32, vcc_lo
; %bb.903:                              ;   in Loop: Header=BB8_49 Depth=1
	s_or_b32 exec_lo, exec_lo, s11
	v_and_b32_e32 v15, 0xffff0000, v15
	s_delay_alu instid0(VALU_DEP_1) | instskip(NEXT) | instid1(VALU_DEP_1)
	v_add_f32_e32 v32, v34, v15
	v_and_b32_e32 v15, 0x7f800000, v32
	s_delay_alu instid0(VALU_DEP_1) | instskip(SKIP_1) | instid1(SALU_CYCLE_1)
	v_cmp_ne_u32_e32 vcc_lo, 0x7f800000, v15
                                        ; implicit-def: $vgpr15
	s_and_saveexec_b32 s11, vcc_lo
	s_xor_b32 s11, exec_lo, s11
; %bb.904:                              ;   in Loop: Header=BB8_49 Depth=1
	v_bfe_u32 v15, v32, 16, 1
	s_delay_alu instid0(VALU_DEP_1)
	v_add3_u32 v15, v32, v15, 0x7fff
                                        ; implicit-def: $vgpr32
; %bb.905:                              ;   in Loop: Header=BB8_49 Depth=1
	s_and_not1_saveexec_b32 s11, s11
; %bb.906:                              ;   in Loop: Header=BB8_49 Depth=1
	v_and_b32_e32 v15, 0xffff, v32
	v_or_b32_e32 v34, 0x10000, v32
	s_delay_alu instid0(VALU_DEP_2) | instskip(NEXT) | instid1(VALU_DEP_2)
	v_cmp_eq_u32_e32 vcc_lo, 0, v15
	v_cndmask_b32_e32 v15, v34, v32, vcc_lo
; %bb.907:                              ;   in Loop: Header=BB8_49 Depth=1
	s_or_b32 exec_lo, exec_lo, s11
	v_and_b32_e32 v29, 0xffff0000, v29
	s_delay_alu instid0(VALU_DEP_1) | instskip(NEXT) | instid1(VALU_DEP_1)
	v_add_f32_e32 v29, v23, v29
	v_and_b32_e32 v23, 0x7f800000, v29
	s_delay_alu instid0(VALU_DEP_1) | instskip(SKIP_1) | instid1(SALU_CYCLE_1)
	v_cmp_ne_u32_e32 vcc_lo, 0x7f800000, v23
                                        ; implicit-def: $vgpr23
	s_and_saveexec_b32 s11, vcc_lo
	s_xor_b32 s11, exec_lo, s11
; %bb.908:                              ;   in Loop: Header=BB8_49 Depth=1
	v_bfe_u32 v23, v29, 16, 1
	s_delay_alu instid0(VALU_DEP_1)
	v_add3_u32 v23, v29, v23, 0x7fff
                                        ; implicit-def: $vgpr29
; %bb.909:                              ;   in Loop: Header=BB8_49 Depth=1
	s_and_not1_saveexec_b32 s11, s11
; %bb.910:                              ;   in Loop: Header=BB8_49 Depth=1
	v_and_b32_e32 v23, 0xffff, v29
	v_or_b32_e32 v32, 0x10000, v29
	s_delay_alu instid0(VALU_DEP_2) | instskip(NEXT) | instid1(VALU_DEP_2)
	v_cmp_eq_u32_e32 vcc_lo, 0, v23
	v_cndmask_b32_e32 v23, v32, v29, vcc_lo
; %bb.911:                              ;   in Loop: Header=BB8_49 Depth=1
	s_or_b32 exec_lo, exec_lo, s11
	v_and_b32_e32 v28, 0xffff0000, v28
	s_delay_alu instid0(VALU_DEP_1) | instskip(NEXT) | instid1(VALU_DEP_1)
	v_add_f32_e32 v28, v19, v28
	v_and_b32_e32 v19, 0x7f800000, v28
	s_delay_alu instid0(VALU_DEP_1) | instskip(SKIP_1) | instid1(SALU_CYCLE_1)
	v_cmp_ne_u32_e32 vcc_lo, 0x7f800000, v19
                                        ; implicit-def: $vgpr19
	s_and_saveexec_b32 s11, vcc_lo
	s_xor_b32 s11, exec_lo, s11
; %bb.912:                              ;   in Loop: Header=BB8_49 Depth=1
	v_bfe_u32 v19, v28, 16, 1
	s_delay_alu instid0(VALU_DEP_1)
	v_add3_u32 v19, v28, v19, 0x7fff
                                        ; implicit-def: $vgpr28
; %bb.913:                              ;   in Loop: Header=BB8_49 Depth=1
	s_and_not1_saveexec_b32 s11, s11
; %bb.914:                              ;   in Loop: Header=BB8_49 Depth=1
	v_and_b32_e32 v19, 0xffff, v28
	v_or_b32_e32 v29, 0x10000, v28
	s_delay_alu instid0(VALU_DEP_2) | instskip(NEXT) | instid1(VALU_DEP_2)
	v_cmp_eq_u32_e32 vcc_lo, 0, v19
	v_cndmask_b32_e32 v19, v29, v28, vcc_lo
; %bb.915:                              ;   in Loop: Header=BB8_49 Depth=1
	s_or_b32 exec_lo, exec_lo, s11
	v_and_b32_e32 v27, 0xffff0000, v27
	s_delay_alu instid0(VALU_DEP_1) | instskip(NEXT) | instid1(VALU_DEP_1)
	v_add_f32_e32 v27, v18, v27
	v_and_b32_e32 v18, 0x7f800000, v27
	s_delay_alu instid0(VALU_DEP_1) | instskip(SKIP_1) | instid1(SALU_CYCLE_1)
	v_cmp_ne_u32_e32 vcc_lo, 0x7f800000, v18
                                        ; implicit-def: $vgpr18
	s_and_saveexec_b32 s11, vcc_lo
	s_xor_b32 s11, exec_lo, s11
; %bb.916:                              ;   in Loop: Header=BB8_49 Depth=1
	v_bfe_u32 v18, v27, 16, 1
	s_delay_alu instid0(VALU_DEP_1)
	v_add3_u32 v18, v27, v18, 0x7fff
                                        ; implicit-def: $vgpr27
; %bb.917:                              ;   in Loop: Header=BB8_49 Depth=1
	s_and_not1_saveexec_b32 s11, s11
; %bb.918:                              ;   in Loop: Header=BB8_49 Depth=1
	v_and_b32_e32 v18, 0xffff, v27
	v_or_b32_e32 v28, 0x10000, v27
	s_delay_alu instid0(VALU_DEP_2) | instskip(NEXT) | instid1(VALU_DEP_2)
	v_cmp_eq_u32_e32 vcc_lo, 0, v18
	v_cndmask_b32_e32 v18, v28, v27, vcc_lo
; %bb.919:                              ;   in Loop: Header=BB8_49 Depth=1
	s_or_b32 exec_lo, exec_lo, s11
	v_and_b32_e32 v26, 0xffff0000, v26
	s_delay_alu instid0(VALU_DEP_1) | instskip(NEXT) | instid1(VALU_DEP_1)
	v_add_f32_e32 v26, v17, v26
	v_and_b32_e32 v17, 0x7f800000, v26
	s_delay_alu instid0(VALU_DEP_1) | instskip(SKIP_1) | instid1(SALU_CYCLE_1)
	v_cmp_ne_u32_e32 vcc_lo, 0x7f800000, v17
                                        ; implicit-def: $vgpr17
	s_and_saveexec_b32 s11, vcc_lo
	s_xor_b32 s11, exec_lo, s11
; %bb.920:                              ;   in Loop: Header=BB8_49 Depth=1
	v_bfe_u32 v17, v26, 16, 1
	s_delay_alu instid0(VALU_DEP_1)
	v_add3_u32 v17, v26, v17, 0x7fff
                                        ; implicit-def: $vgpr26
; %bb.921:                              ;   in Loop: Header=BB8_49 Depth=1
	s_and_not1_saveexec_b32 s11, s11
; %bb.922:                              ;   in Loop: Header=BB8_49 Depth=1
	v_and_b32_e32 v17, 0xffff, v26
	v_or_b32_e32 v27, 0x10000, v26
	s_delay_alu instid0(VALU_DEP_2) | instskip(NEXT) | instid1(VALU_DEP_2)
	v_cmp_eq_u32_e32 vcc_lo, 0, v17
	v_cndmask_b32_e32 v17, v27, v26, vcc_lo
; %bb.923:                              ;   in Loop: Header=BB8_49 Depth=1
	s_or_b32 exec_lo, exec_lo, s11
	v_and_b32_e32 v25, 0xffff0000, v25
	s_delay_alu instid0(VALU_DEP_1) | instskip(NEXT) | instid1(VALU_DEP_1)
	v_add_f32_e32 v25, v16, v25
	v_and_b32_e32 v16, 0x7f800000, v25
	s_delay_alu instid0(VALU_DEP_1) | instskip(SKIP_1) | instid1(SALU_CYCLE_1)
	v_cmp_ne_u32_e32 vcc_lo, 0x7f800000, v16
                                        ; implicit-def: $vgpr16
	s_and_saveexec_b32 s11, vcc_lo
	s_xor_b32 s11, exec_lo, s11
; %bb.924:                              ;   in Loop: Header=BB8_49 Depth=1
	v_bfe_u32 v16, v25, 16, 1
	s_delay_alu instid0(VALU_DEP_1)
	v_add3_u32 v16, v25, v16, 0x7fff
                                        ; implicit-def: $vgpr25
; %bb.925:                              ;   in Loop: Header=BB8_49 Depth=1
	s_and_not1_saveexec_b32 s11, s11
; %bb.926:                              ;   in Loop: Header=BB8_49 Depth=1
	v_and_b32_e32 v16, 0xffff, v25
	v_or_b32_e32 v26, 0x10000, v25
	s_delay_alu instid0(VALU_DEP_2) | instskip(NEXT) | instid1(VALU_DEP_2)
	v_cmp_eq_u32_e32 vcc_lo, 0, v16
	v_cndmask_b32_e32 v16, v26, v25, vcc_lo
; %bb.927:                              ;   in Loop: Header=BB8_49 Depth=1
	s_or_b32 exec_lo, exec_lo, s11
	v_and_b32_e32 v24, 0xffff0000, v24
	s_delay_alu instid0(VALU_DEP_1) | instskip(NEXT) | instid1(VALU_DEP_1)
	v_add_f32_e32 v24, v13, v24
	v_and_b32_e32 v13, 0x7f800000, v24
	s_delay_alu instid0(VALU_DEP_1) | instskip(SKIP_1) | instid1(SALU_CYCLE_1)
	v_cmp_ne_u32_e32 vcc_lo, 0x7f800000, v13
                                        ; implicit-def: $vgpr13
	s_and_saveexec_b32 s11, vcc_lo
	s_xor_b32 s11, exec_lo, s11
; %bb.928:                              ;   in Loop: Header=BB8_49 Depth=1
	v_bfe_u32 v13, v24, 16, 1
	s_delay_alu instid0(VALU_DEP_1)
	v_add3_u32 v13, v24, v13, 0x7fff
                                        ; implicit-def: $vgpr24
; %bb.929:                              ;   in Loop: Header=BB8_49 Depth=1
	s_and_not1_saveexec_b32 s11, s11
; %bb.930:                              ;   in Loop: Header=BB8_49 Depth=1
	v_and_b32_e32 v13, 0xffff, v24
	v_or_b32_e32 v25, 0x10000, v24
	s_delay_alu instid0(VALU_DEP_2) | instskip(NEXT) | instid1(VALU_DEP_2)
	v_cmp_eq_u32_e32 vcc_lo, 0, v13
	v_cndmask_b32_e32 v13, v25, v24, vcc_lo
; %bb.931:                              ;   in Loop: Header=BB8_49 Depth=1
	s_or_b32 exec_lo, exec_lo, s11
	v_and_b32_e32 v14, 0xffff0000, v14
	s_delay_alu instid0(VALU_DEP_1) | instskip(NEXT) | instid1(VALU_DEP_1)
	v_add_f32_e32 v14, v12, v14
	v_and_b32_e32 v12, 0x7f800000, v14
	s_delay_alu instid0(VALU_DEP_1) | instskip(SKIP_1) | instid1(SALU_CYCLE_1)
	v_cmp_ne_u32_e32 vcc_lo, 0x7f800000, v12
                                        ; implicit-def: $vgpr12
	s_and_saveexec_b32 s11, vcc_lo
	s_xor_b32 s11, exec_lo, s11
; %bb.932:                              ;   in Loop: Header=BB8_49 Depth=1
	v_bfe_u32 v12, v14, 16, 1
	s_delay_alu instid0(VALU_DEP_1)
	v_add3_u32 v12, v14, v12, 0x7fff
                                        ; implicit-def: $vgpr14
; %bb.933:                              ;   in Loop: Header=BB8_49 Depth=1
	s_and_not1_saveexec_b32 s11, s11
; %bb.934:                              ;   in Loop: Header=BB8_49 Depth=1
	v_and_b32_e32 v12, 0xffff, v14
	v_or_b32_e32 v24, 0x10000, v14
	s_delay_alu instid0(VALU_DEP_2) | instskip(NEXT) | instid1(VALU_DEP_2)
	v_cmp_eq_u32_e32 vcc_lo, 0, v12
	v_cndmask_b32_e32 v12, v24, v14, vcc_lo
; %bb.935:                              ;   in Loop: Header=BB8_49 Depth=1
	s_or_b32 exec_lo, exec_lo, s11
	s_clause 0x7
	flat_store_d16_hi_b16 v[10:11], v15 th:TH_STORE_NT
	flat_store_d16_hi_b16 v[10:11], v23 offset:64 th:TH_STORE_NT
	flat_store_d16_hi_b16 v[10:11], v19 offset:128 th:TH_STORE_NT
	;; [unrolled: 1-line block ×7, first 2 shown]
.LBB8_936:                              ;   in Loop: Header=BB8_49 Depth=1
	s_wait_xcnt 0x0
	s_or_b32 exec_lo, exec_lo, s10
	v_lshlrev_b32_e32 v10, 9, v22
	s_delay_alu instid0(VALU_DEP_1)
	v_cmp_ne_u32_e32 vcc_lo, v79, v10
	s_and_b32 exec_lo, exec_lo, vcc_lo
	s_cbranch_execz .LBB8_973
; %bb.937:                              ;   in Loop: Header=BB8_49 Depth=1
	v_lshlrev_b32_e32 v11, 5, v33
	s_delay_alu instid0(VALU_DEP_1) | instskip(NEXT) | instid1(VALU_DEP_1)
	v_sub_nc_u32_e32 v11, v21, v11
	v_ashrrev_i32_e32 v12, 31, v11
	s_delay_alu instid0(VALU_DEP_1) | instskip(NEXT) | instid1(VALU_DEP_1)
	v_lshrrev_b32_e32 v12, 27, v12
	v_add_nc_u32_e32 v12, v11, v12
	s_delay_alu instid0(VALU_DEP_1) | instskip(NEXT) | instid1(VALU_DEP_1)
	v_and_b32_e32 v13, 0x7fffffe0, v12
	v_dual_lshlrev_b32 v12, 1, v12 :: v_dual_sub_nc_u32 v11, v11, v13
	s_delay_alu instid0(VALU_DEP_1) | instskip(NEXT) | instid1(VALU_DEP_2)
	v_and_b32_e32 v12, 0xffffffc0, v12
	v_lshlrev_b32_e32 v11, 1, v11
	s_delay_alu instid0(VALU_DEP_1) | instskip(NEXT) | instid1(VALU_DEP_1)
	v_add3_u32 v10, v12, v11, v10
	v_sub_nc_u32_e32 v16, v79, v10
	s_delay_alu instid0(VALU_DEP_1)
	v_cmp_lt_i32_e32 vcc_lo, 1, v16
	s_and_b32 exec_lo, exec_lo, vcc_lo
	s_cbranch_execz .LBB8_973
; %bb.938:                              ;   in Loop: Header=BB8_49 Depth=1
	s_trap 2
	ds_load_b64 v[12:13], v0
	v_add_nc_u32_e32 v18, v10, v20
	s_mov_b32 s29, 0
	s_mov_b32 s15, 0
                                        ; implicit-def: $sgpr28
	s_delay_alu instid0(VALU_DEP_1) | instskip(NEXT) | instid1(VALU_DEP_1)
	v_ashrrev_i32_e32 v19, 31, v18
	v_add_nc_u64_e32 v[10:11], v[56:57], v[18:19]
	v_add_nc_u64_e32 v[14:15], v[18:19], v[46:47]
	s_wait_dscnt 0x0
	v_add_nc_u64_e32 v[12:13], v[12:13], v[18:19]
	s_branch .LBB8_940
.LBB8_939:                              ;   in Loop: Header=BB8_940 Depth=2
	s_or_b32 exec_lo, exec_lo, s10
	s_delay_alu instid0(VALU_DEP_1) | instskip(SKIP_2) | instid1(VALU_DEP_3)
	v_dual_cndmask_b32 v22, 0, v76, s29 :: v_dual_lshrrev_b32 v17, 16, v17
	v_add_nc_u64_e32 v[18:19], v[12:13], v[102:103]
	v_dual_cndmask_b32 v21, 0, v41, s29 :: v_dual_cndmask_b32 v20, 64, v40, s29
	v_sub_nc_u32_e32 v16, v16, v22
	v_add_nc_u64_e32 v[22:23], v[14:15], v[102:103]
	flat_store_b16 v[10:11], v17 th:TH_STORE_NT
	scratch_store_b16 off, v17, s33 offset:176
	v_cndmask_b32_e64 v13, v13, v19, s29
	v_cmp_gt_i32_e32 vcc_lo, 2, v16
	s_wait_xcnt 0x1
	v_add_nc_u64_e32 v[10:11], v[10:11], v[20:21]
	v_dual_cndmask_b32 v12, v12, v18, s29 :: v_dual_cndmask_b32 v15, v15, v23, s29
	v_cndmask_b32_e64 v14, v14, v22, s29
	s_or_b32 s15, vcc_lo, s15
	s_and_not1_b32 s10, s28, exec_lo
	s_and_b32 s11, s29, exec_lo
	s_delay_alu instid0(SALU_CYCLE_1)
	s_or_b32 s28, s10, s11
	s_wait_xcnt 0x0
	s_and_not1_b32 exec_lo, exec_lo, s15
	s_cbranch_execz .LBB8_963
.LBB8_940:                              ;   Parent Loop BB8_49 Depth=1
                                        ; =>  This Loop Header: Depth=2
                                        ;       Child Loop BB8_941 Depth 3
                                        ;       Child Loop BB8_954 Depth 3
	s_add_co_i32 s10, s33, 0xb0
	s_mov_b64 s[12:13], 0
	s_mov_b32 s40, s10
	s_mov_b32 s41, -1
.LBB8_941:                              ;   Parent Loop BB8_49 Depth=1
                                        ;     Parent Loop BB8_940 Depth=2
                                        ; =>    This Inner Loop Header: Depth=3
	s_cmp_eq_u32 s12, 1
	s_cselect_b32 vcc_lo, -1, 0
	s_cmp_eq_u32 s12, 0
	v_dual_cndmask_b32 v19, v15, v13 :: v_dual_cndmask_b32 v18, v14, v12
	s_cselect_b32 s10, -1, 0
	s_and_b32 s11, exec_lo, s41
	s_mov_b64 s[12:13], 1
	s_mov_b32 s41, 0
	flat_load_u16 v17, v[18:19] th:TH_LOAD_NT
	s_wait_xcnt 0x0
	v_add_nc_u64_e32 v[18:19], 64, v[18:19]
	s_delay_alu instid0(VALU_DEP_1)
	v_dual_cndmask_b32 v13, v13, v19 :: v_dual_cndmask_b32 v12, v12, v18
	v_dual_cndmask_b32 v15, v15, v19, s10 :: v_dual_cndmask_b32 v14, v14, v18, s10
	s_add_co_i32 s10, s33, 0xd0
	s_mov_b32 vcc_lo, s11
	s_wait_loadcnt_dscnt 0x0
	scratch_store_b16 off, v17, s40
	s_wait_xcnt 0x0
	s_mov_b32 s40, s10
	s_cbranch_vccnz .LBB8_941
; %bb.942:                              ;   in Loop: Header=BB8_940 Depth=2
	s_and_saveexec_b32 s10, s29
	s_cbranch_execz .LBB8_952
; %bb.943:                              ;   in Loop: Header=BB8_940 Depth=2
	s_trap 2
	scratch_load_u16 v17, off, s33 offset:168
	ds_load_b32 v18, v0
	s_wait_loadcnt_dscnt 0x0
	v_dual_lshlrev_b32 v18, 16, v18 :: v_dual_lshlrev_b32 v17, 16, v17
	s_delay_alu instid0(VALU_DEP_1) | instskip(NEXT) | instid1(VALU_DEP_1)
	v_mul_f32_e32 v17, v18, v17
	v_and_b32_e32 v18, 0x7f800000, v17
	s_delay_alu instid0(VALU_DEP_1) | instskip(SKIP_2) | instid1(SALU_CYCLE_1)
	v_cmp_ne_u32_e32 vcc_lo, 0x7f800000, v18
                                        ; implicit-def: $vgpr18
	s_wait_xcnt 0x0
	s_and_saveexec_b32 s11, vcc_lo
	s_xor_b32 s11, exec_lo, s11
; %bb.944:                              ;   in Loop: Header=BB8_940 Depth=2
	v_bfe_u32 v18, v17, 16, 1
	s_delay_alu instid0(VALU_DEP_1)
	v_add3_u32 v18, v17, v18, 0x7fff
                                        ; implicit-def: $vgpr17
; %bb.945:                              ;   in Loop: Header=BB8_940 Depth=2
	s_and_not1_saveexec_b32 s11, s11
; %bb.946:                              ;   in Loop: Header=BB8_940 Depth=2
	v_and_b32_e32 v18, 0xffff, v17
	v_or_b32_e32 v19, 0x10000, v17
	s_delay_alu instid0(VALU_DEP_2) | instskip(NEXT) | instid1(VALU_DEP_2)
	v_cmp_eq_u32_e32 vcc_lo, 0, v18
	v_cndmask_b32_e32 v18, v19, v17, vcc_lo
; %bb.947:                              ;   in Loop: Header=BB8_940 Depth=2
	s_or_b32 exec_lo, exec_lo, s11
	scratch_load_u16 v17, off, s33 offset:170
	v_and_b32_e32 v18, 0xffff0000, v18
	s_wait_loadcnt 0x0
	v_lshlrev_b32_e32 v17, 16, v17
	s_delay_alu instid0(VALU_DEP_1) | instskip(NEXT) | instid1(VALU_DEP_1)
	v_add_f32_e32 v17, v18, v17
	v_and_b32_e32 v18, 0x7f800000, v17
	s_delay_alu instid0(VALU_DEP_1) | instskip(SKIP_2) | instid1(SALU_CYCLE_1)
	v_cmp_ne_u32_e32 vcc_lo, 0x7f800000, v18
                                        ; implicit-def: $vgpr18
	s_wait_xcnt 0x0
	s_and_saveexec_b32 s11, vcc_lo
	s_xor_b32 s11, exec_lo, s11
; %bb.948:                              ;   in Loop: Header=BB8_940 Depth=2
	v_bfe_u32 v18, v17, 16, 1
	s_delay_alu instid0(VALU_DEP_1)
	v_add3_u32 v18, v17, v18, 0x7fff
                                        ; implicit-def: $vgpr17
; %bb.949:                              ;   in Loop: Header=BB8_940 Depth=2
	s_and_not1_saveexec_b32 s11, s11
; %bb.950:                              ;   in Loop: Header=BB8_940 Depth=2
	v_and_b32_e32 v18, 0xffff, v17
	v_or_b32_e32 v19, 0x10000, v17
	s_delay_alu instid0(VALU_DEP_2) | instskip(NEXT) | instid1(VALU_DEP_2)
	v_cmp_eq_u32_e32 vcc_lo, 0, v18
	v_cndmask_b32_e32 v18, v19, v17, vcc_lo
; %bb.951:                              ;   in Loop: Header=BB8_940 Depth=2
	s_or_b32 exec_lo, exec_lo, s11
	s_delay_alu instid0(VALU_DEP_1)
	v_lshrrev_b32_e32 v17, 16, v18
	flat_store_b16 v[10:11], v17 th:TH_STORE_NT
	s_wait_xcnt 0x0
	v_add_nc_u64_e32 v[10:11], v[10:11], v[40:41]
	scratch_store_b16 off, v17, s33 offset:168
.LBB8_952:                              ;   in Loop: Header=BB8_940 Depth=2
	s_wait_xcnt 0x0
	s_or_b32 exec_lo, exec_lo, s10
	v_sub_nc_u32_e32 v16, v16, v76
	v_add_nc_u64_e32 v[14:15], v[14:15], v[102:103]
	v_add_nc_u64_e32 v[12:13], v[12:13], v[102:103]
	s_delay_alu instid0(VALU_DEP_3)
	v_cmp_lt_i32_e64 s29, 1, v16
	s_and_saveexec_b32 s40, s29
	s_cbranch_execz .LBB8_955
; %bb.953:                              ;   in Loop: Header=BB8_940 Depth=2
	s_add_co_i32 s10, s33, 0xa8
	s_mov_b64 s[12:13], 0
	s_mov_b32 s41, s10
	s_mov_b32 s42, -1
.LBB8_954:                              ;   Parent Loop BB8_49 Depth=1
                                        ;     Parent Loop BB8_940 Depth=2
                                        ; =>    This Inner Loop Header: Depth=3
	s_cmp_eq_u32 s12, 1
	s_cselect_b32 vcc_lo, -1, 0
	s_cmp_eq_u32 s12, 0
	v_dual_cndmask_b32 v19, v15, v13 :: v_dual_cndmask_b32 v18, v14, v12
	s_cselect_b32 s10, -1, 0
	s_and_b32 s11, exec_lo, s42
	s_mov_b64 s[12:13], 1
	s_mov_b32 s42, 0
	flat_load_u16 v17, v[18:19] th:TH_LOAD_NT
	s_wait_xcnt 0x0
	v_add_nc_u64_e32 v[18:19], 64, v[18:19]
	s_delay_alu instid0(VALU_DEP_1)
	v_dual_cndmask_b32 v15, v15, v19, s10 :: v_dual_cndmask_b32 v14, v14, v18, s10
	v_dual_cndmask_b32 v13, v13, v19 :: v_dual_cndmask_b32 v12, v12, v18
	s_add_co_i32 s10, s33, 0xaa
	s_mov_b32 vcc_lo, s11
	s_wait_loadcnt_dscnt 0x0
	scratch_store_b16 off, v17, s41
	s_wait_xcnt 0x0
	s_mov_b32 s41, s10
	s_cbranch_vccnz .LBB8_954
.LBB8_955:                              ;   in Loop: Header=BB8_940 Depth=2
	s_or_b32 exec_lo, exec_lo, s40
	s_trap 2
	scratch_load_u16 v17, off, s33 offset:176
	ds_load_b32 v18, v0
	s_wait_loadcnt_dscnt 0x0
	v_dual_lshlrev_b32 v18, 16, v18 :: v_dual_lshlrev_b32 v17, 16, v17
	s_delay_alu instid0(VALU_DEP_1) | instskip(NEXT) | instid1(VALU_DEP_1)
	v_mul_f32_e32 v17, v18, v17
	v_and_b32_e32 v18, 0x7f800000, v17
	s_delay_alu instid0(VALU_DEP_1) | instskip(SKIP_2) | instid1(SALU_CYCLE_1)
	v_cmp_ne_u32_e32 vcc_lo, 0x7f800000, v18
                                        ; implicit-def: $vgpr18
	s_wait_xcnt 0x0
	s_and_saveexec_b32 s10, vcc_lo
	s_xor_b32 s10, exec_lo, s10
; %bb.956:                              ;   in Loop: Header=BB8_940 Depth=2
	v_bfe_u32 v18, v17, 16, 1
	s_delay_alu instid0(VALU_DEP_1)
	v_add3_u32 v18, v17, v18, 0x7fff
                                        ; implicit-def: $vgpr17
; %bb.957:                              ;   in Loop: Header=BB8_940 Depth=2
	s_and_not1_saveexec_b32 s10, s10
; %bb.958:                              ;   in Loop: Header=BB8_940 Depth=2
	v_and_b32_e32 v18, 0xffff, v17
	v_or_b32_e32 v19, 0x10000, v17
	s_delay_alu instid0(VALU_DEP_2) | instskip(NEXT) | instid1(VALU_DEP_2)
	v_cmp_eq_u32_e32 vcc_lo, 0, v18
	v_cndmask_b32_e32 v18, v19, v17, vcc_lo
; %bb.959:                              ;   in Loop: Header=BB8_940 Depth=2
	s_or_b32 exec_lo, exec_lo, s10
	scratch_load_u16 v17, off, s33 offset:208
	v_and_b32_e32 v18, 0xffff0000, v18
	s_wait_loadcnt 0x0
	v_lshlrev_b32_e32 v17, 16, v17
	s_delay_alu instid0(VALU_DEP_1) | instskip(NEXT) | instid1(VALU_DEP_1)
	v_add_f32_e32 v18, v18, v17
	v_and_b32_e32 v17, 0x7f800000, v18
	s_delay_alu instid0(VALU_DEP_1) | instskip(SKIP_2) | instid1(SALU_CYCLE_1)
	v_cmp_ne_u32_e32 vcc_lo, 0x7f800000, v17
                                        ; implicit-def: $vgpr17
	s_wait_xcnt 0x0
	s_and_saveexec_b32 s10, vcc_lo
	s_xor_b32 s10, exec_lo, s10
; %bb.960:                              ;   in Loop: Header=BB8_940 Depth=2
	v_bfe_u32 v17, v18, 16, 1
	s_delay_alu instid0(VALU_DEP_1)
	v_add3_u32 v17, v18, v17, 0x7fff
                                        ; implicit-def: $vgpr18
; %bb.961:                              ;   in Loop: Header=BB8_940 Depth=2
	s_and_not1_saveexec_b32 s10, s10
	s_cbranch_execz .LBB8_939
; %bb.962:                              ;   in Loop: Header=BB8_940 Depth=2
	v_and_b32_e32 v17, 0xffff, v18
	v_or_b32_e32 v19, 0x10000, v18
	s_delay_alu instid0(VALU_DEP_2) | instskip(NEXT) | instid1(VALU_DEP_2)
	v_cmp_eq_u32_e32 vcc_lo, 0, v17
	v_cndmask_b32_e32 v17, v19, v18, vcc_lo
	s_branch .LBB8_939
.LBB8_963:                              ;   in Loop: Header=BB8_49 Depth=1
	s_or_b32 exec_lo, exec_lo, s15
	s_delay_alu instid0(SALU_CYCLE_1)
	s_and_b32 exec_lo, exec_lo, s28
	s_cbranch_execz .LBB8_973
; %bb.964:                              ;   in Loop: Header=BB8_49 Depth=1
	s_trap 2
	scratch_load_u16 v12, off, s33 offset:168
	ds_load_b32 v13, v0
	s_wait_loadcnt_dscnt 0x0
	v_dual_lshlrev_b32 v13, 16, v13 :: v_dual_lshlrev_b32 v12, 16, v12
	s_delay_alu instid0(VALU_DEP_1) | instskip(NEXT) | instid1(VALU_DEP_1)
	v_mul_f32_e32 v12, v13, v12
	v_and_b32_e32 v13, 0x7f800000, v12
	s_delay_alu instid0(VALU_DEP_1) | instskip(SKIP_2) | instid1(SALU_CYCLE_1)
	v_cmp_ne_u32_e32 vcc_lo, 0x7f800000, v13
                                        ; implicit-def: $vgpr13
	s_wait_xcnt 0x0
	s_and_saveexec_b32 s10, vcc_lo
	s_xor_b32 s10, exec_lo, s10
; %bb.965:                              ;   in Loop: Header=BB8_49 Depth=1
	v_bfe_u32 v13, v12, 16, 1
	s_delay_alu instid0(VALU_DEP_1)
	v_add3_u32 v13, v12, v13, 0x7fff
                                        ; implicit-def: $vgpr12
; %bb.966:                              ;   in Loop: Header=BB8_49 Depth=1
	s_and_not1_saveexec_b32 s10, s10
; %bb.967:                              ;   in Loop: Header=BB8_49 Depth=1
	v_and_b32_e32 v13, 0xffff, v12
	v_or_b32_e32 v14, 0x10000, v12
	s_delay_alu instid0(VALU_DEP_2) | instskip(NEXT) | instid1(VALU_DEP_2)
	v_cmp_eq_u32_e32 vcc_lo, 0, v13
	v_cndmask_b32_e32 v13, v14, v12, vcc_lo
; %bb.968:                              ;   in Loop: Header=BB8_49 Depth=1
	s_or_b32 exec_lo, exec_lo, s10
	scratch_load_u16 v12, off, s33 offset:170
	v_and_b32_e32 v13, 0xffff0000, v13
	s_wait_loadcnt 0x0
	v_lshlrev_b32_e32 v12, 16, v12
	s_delay_alu instid0(VALU_DEP_1) | instskip(NEXT) | instid1(VALU_DEP_1)
	v_add_f32_e32 v12, v13, v12
	v_and_b32_e32 v13, 0x7f800000, v12
	s_delay_alu instid0(VALU_DEP_1) | instskip(SKIP_2) | instid1(SALU_CYCLE_1)
	v_cmp_ne_u32_e32 vcc_lo, 0x7f800000, v13
                                        ; implicit-def: $vgpr13
	s_wait_xcnt 0x0
	s_and_saveexec_b32 s10, vcc_lo
	s_xor_b32 s10, exec_lo, s10
; %bb.969:                              ;   in Loop: Header=BB8_49 Depth=1
	v_bfe_u32 v13, v12, 16, 1
	s_delay_alu instid0(VALU_DEP_1)
	v_add3_u32 v13, v12, v13, 0x7fff
                                        ; implicit-def: $vgpr12
; %bb.970:                              ;   in Loop: Header=BB8_49 Depth=1
	s_and_not1_saveexec_b32 s10, s10
; %bb.971:                              ;   in Loop: Header=BB8_49 Depth=1
	v_and_b32_e32 v13, 0xffff, v12
	v_or_b32_e32 v14, 0x10000, v12
	s_delay_alu instid0(VALU_DEP_2) | instskip(NEXT) | instid1(VALU_DEP_2)
	v_cmp_eq_u32_e32 vcc_lo, 0, v13
	v_cndmask_b32_e32 v13, v14, v12, vcc_lo
; %bb.972:                              ;   in Loop: Header=BB8_49 Depth=1
	s_or_b32 exec_lo, exec_lo, s10
	flat_store_d16_hi_b16 v[10:11], v13 th:TH_STORE_NT
.LBB8_973:                              ;   in Loop: Header=BB8_49 Depth=1
	s_wait_xcnt 0x0
	s_or_b32 exec_lo, exec_lo, s14
	v_cmp_ne_u32_e64 s10, 0, v86
	s_and_saveexec_b32 s11, s2
	s_cbranch_execz .LBB8_992
.LBB8_974:                              ;   in Loop: Header=BB8_49 Depth=1
	s_and_saveexec_b32 s12, s3
	s_delay_alu instid0(SALU_CYCLE_1)
	s_xor_b32 s12, exec_lo, s12
	s_cbranch_execz .LBB8_989
; %bb.975:                              ;   in Loop: Header=BB8_49 Depth=1
	s_and_saveexec_b32 s13, s4
	s_cbranch_execz .LBB8_988
; %bb.976:                              ;   in Loop: Header=BB8_49 Depth=1
	s_mov_b32 s15, exec_lo
	s_mov_b32 s14, exec_lo
	v_mbcnt_lo_u32_b32 v10, s15, 0
	global_wb scope:SCOPE_DEV
	s_wait_storecnt 0x0
	s_wait_loadcnt_dscnt 0x0
	global_inv scope:SCOPE_DEV
	v_cmpx_eq_u32_e32 0, v10
	s_cbranch_execz .LBB8_978
; %bb.977:                              ;   in Loop: Header=BB8_49 Depth=1
	s_bcnt1_i32_b32 s15, s15
	s_delay_alu instid0(SALU_CYCLE_1)
	v_mov_b32_e32 v86, s15
	s_wait_loadcnt 0x0
	ds_add_u64 v0, v[86:87]
	s_trap 2
.LBB8_978:                              ;   in Loop: Header=BB8_49 Depth=1
	s_or_b32 exec_lo, exec_lo, s14
	s_trap 2
	ds_load_b64 v[10:11], v0
	s_wait_dscnt 0x0
	v_add_nc_u64_e32 v[80:81], v[80:81], v[96:97]
	s_mov_b32 s14, exec_lo
	s_delay_alu instid0(VALU_DEP_1)
	v_cmpx_lt_u64_e64 v[10:11], v[80:81]
	s_cbranch_execz .LBB8_987
; %bb.979:                              ;   in Loop: Header=BB8_49 Depth=1
	s_mov_b32 s15, 0
	s_mov_b32 s40, 0
                                        ; implicit-def: $sgpr28
                                        ; implicit-def: $sgpr29
	s_branch .LBB8_981
.LBB8_980:                              ;   in Loop: Header=BB8_981 Depth=2
	s_or_b32 exec_lo, exec_lo, s42
	s_delay_alu instid0(SALU_CYCLE_1) | instskip(NEXT) | instid1(SALU_CYCLE_1)
	s_and_b32 s41, exec_lo, s43
	s_or_b32 s15, s41, s15
	s_and_not1_b32 s28, s28, exec_lo
	s_and_b32 s41, s29, exec_lo
	s_delay_alu instid0(SALU_CYCLE_1)
	s_or_b32 s28, s28, s41
	s_and_not1_b32 exec_lo, exec_lo, s15
	s_cbranch_execz .LBB8_985
.LBB8_981:                              ;   Parent Loop BB8_49 Depth=1
                                        ; =>  This Inner Loop Header: Depth=2
	s_add_co_i32 s40, s40, 1
	s_delay_alu instid0(SALU_CYCLE_1) | instskip(SKIP_1) | instid1(SALU_CYCLE_1)
	s_cmp_lg_u32 s40, 0x2710
	s_cselect_b32 s41, -1, 0
	s_and_b32 vcc_lo, exec_lo, s41
	s_cbranch_vccz .LBB8_983
; %bb.982:                              ;   in Loop: Header=BB8_981 Depth=2
	s_mov_b32 s43, -1
	s_or_b32 s29, s29, exec_lo
	s_and_saveexec_b32 s42, s41
	s_cbranch_execz .LBB8_980
	s_branch .LBB8_984
.LBB8_983:                              ;   in Loop: Header=BB8_981 Depth=2
	s_trap 2
	ds_load_b64 v[10:11], v0
	s_and_not1_b32 s41, s41, exec_lo
	s_mov_b32 s40, 0
	s_wait_loadcnt_dscnt 0x0
	flat_load_b32 v10, v[10:11] scope:SCOPE_SYS
	s_wait_loadcnt_dscnt 0x0
	global_inv scope:SCOPE_SYS
	v_cmp_eq_u32_e32 vcc_lo, 0, v10
	s_and_b32 s42, vcc_lo, exec_lo
	s_delay_alu instid0(SALU_CYCLE_1)
	s_or_b32 s41, s41, s42
	s_mov_b32 s43, -1
	s_or_b32 s29, s29, exec_lo
	s_and_saveexec_b32 s42, s41
	s_cbranch_execz .LBB8_980
.LBB8_984:                              ;   in Loop: Header=BB8_981 Depth=2
	s_sleep 1
	s_trap 2
	ds_load_b64 v[10:11], v0
	s_wait_dscnt 0x0
	s_and_not1_b32 s29, s29, exec_lo
	v_cmp_ge_u64_e32 vcc_lo, v[10:11], v[80:81]
	s_or_not1_b32 s43, vcc_lo, exec_lo
	s_branch .LBB8_980
.LBB8_985:                              ;   in Loop: Header=BB8_49 Depth=1
	s_or_b32 exec_lo, exec_lo, s15
	s_and_saveexec_b32 s15, s28
	s_delay_alu instid0(SALU_CYCLE_1)
	s_xor_b32 s15, exec_lo, s15
	s_cbranch_execz .LBB8_987
; %bb.986:                              ;   in Loop: Header=BB8_49 Depth=1
	ds_store_b32 v0, v77
	s_trap 2
.LBB8_987:                              ;   in Loop: Header=BB8_49 Depth=1
	s_or_b32 exec_lo, exec_lo, s14
	;;#ASMSTART
	s_wakeup
	;;#ASMEND
.LBB8_988:                              ;   in Loop: Header=BB8_49 Depth=1
	s_or_b32 exec_lo, exec_lo, s13
.LBB8_989:                              ;   in Loop: Header=BB8_49 Depth=1
	s_and_not1_saveexec_b32 s12, s12
	s_cbranch_execz .LBB8_991
; %bb.990:                              ;   in Loop: Header=BB8_49 Depth=1
	global_wb scope:SCOPE_DEV
	s_wait_storecnt 0x0
	s_wait_loadcnt_dscnt 0x0
	global_inv scope:SCOPE_DEV
	s_barrier_signal -1
	s_barrier_wait -1
.LBB8_991:                              ;   in Loop: Header=BB8_49 Depth=1
	s_or_b32 exec_lo, exec_lo, s12
.LBB8_992:                              ;   in Loop: Header=BB8_49 Depth=1
	s_delay_alu instid0(SALU_CYCLE_1) | instskip(SKIP_1) | instid1(VALU_DEP_1)
	s_or_b32 exec_lo, exec_lo, s11
	v_and_b32_e32 v10, 16, v30
	v_cmp_ne_u32_e32 vcc_lo, 0, v10
	s_and_b32 s11, vcc_lo, s10
	s_delay_alu instid0(SALU_CYCLE_1)
	s_and_saveexec_b32 s10, s11
	s_cbranch_execz .LBB8_994
; %bb.993:                              ;   in Loop: Header=BB8_49 Depth=1
	global_wb scope:SCOPE_SYS
	s_wait_storecnt 0x0
	s_wait_loadcnt_dscnt 0x0
	global_inv scope:SCOPE_SYS
.LBB8_994:                              ;   in Loop: Header=BB8_49 Depth=1
	s_or_b32 exec_lo, exec_lo, s10
	v_cmp_ne_u32_e32 vcc_lo, 0, v10
	s_xor_b32 s10, s7, -1
	s_delay_alu instid0(SALU_CYCLE_1) | instskip(NEXT) | instid1(SALU_CYCLE_1)
	s_and_b32 s11, vcc_lo, s10
	s_and_saveexec_b32 s10, s11
	s_cbranch_execz .LBB8_996
; %bb.995:                              ;   in Loop: Header=BB8_49 Depth=1
	global_wb scope:SCOPE_SYS
	s_wait_storecnt 0x0
	s_wait_loadcnt_dscnt 0x0
	flat_store_b32 v[84:85], v77 scope:SCOPE_SYS
.LBB8_996:                              ;   in Loop: Header=BB8_49 Depth=1
	s_wait_xcnt 0x0
	s_or_b32 exec_lo, exec_lo, s10
	v_and_b32_e32 v10, 48, v30
	s_mov_b32 s10, exec_lo
	s_delay_alu instid0(VALU_DEP_1)
	v_cmpx_ne_u32_e32 0, v10
	s_cbranch_execz .LBB8_998
; %bb.997:                              ;   in Loop: Header=BB8_49 Depth=1
	v_add_nc_u64_e32 v[8:9], 1, v[8:9]
	global_wb scope:SCOPE_SYS
	s_wait_storecnt 0x0
	s_wait_loadcnt_dscnt 0x0
	flat_store_b64 v[64:65], v[8:9] scope:SCOPE_SYS
.LBB8_998:                              ;   in Loop: Header=BB8_49 Depth=1
	s_wait_xcnt 0x0
	s_or_b32 exec_lo, exec_lo, s10
	v_mov_b32_e32 v10, v45
.LBB8_999:                              ;   in Loop: Header=BB8_49 Depth=1
	s_or_b32 exec_lo, exec_lo, s27
	s_and_saveexec_b32 s11, s26
	s_cbranch_execz .LBB8_48
; %bb.1000:                             ;   in Loop: Header=BB8_49 Depth=1
	s_delay_alu instid0(VALU_DEP_1) | instskip(SKIP_2) | instid1(VALU_DEP_2)
	v_sub_nc_u32_e32 v10, v44, v10
	v_and_b32_e32 v11, 12, v30
	s_mov_b32 s12, exec_lo
	v_min_i32_e32 v10, v45, v10
	s_delay_alu instid0(VALU_DEP_2)
	v_cmpx_ne_u32_e32 0, v11
	s_cbranch_execz .LBB8_1026
; %bb.1001:                             ;   in Loop: Header=BB8_49 Depth=1
	v_and_b32_e32 v86, 8, v30
	s_wait_dscnt 0x0
	v_add_nc_u64_e32 v[12:13], 1, v[8:9]
	s_mov_b32 s13, exec_lo
	s_wait_loadcnt 0x0
	v_add_nc_u64_e32 v[14:15], v[70:71], v[86:87]
	s_delay_alu instid0(VALU_DEP_1)
	v_cmpx_lt_u64_e64 v[14:15], v[12:13]
	s_cbranch_execz .LBB8_1013
; %bb.1002:                             ;   in Loop: Header=BB8_49 Depth=1
	v_and_b32_e32 v9, 64, v30
	s_mov_b32 s14, 0
	s_mov_b32 s28, 0
                                        ; implicit-def: $sgpr15
                                        ; implicit-def: $sgpr26
                                        ; implicit-def: $sgpr27
	s_delay_alu instid0(VALU_DEP_1)
	v_cmp_eq_u32_e32 vcc_lo, 0, v9
	s_branch .LBB8_1006
.LBB8_1003:                             ;   in Loop: Header=BB8_1006 Depth=2
	s_wait_loadcnt_dscnt 0x0
	v_add_nc_u64_e32 v[14:15], v[70:71], v[86:87]
	s_or_b32 s41, s41, exec_lo
	s_delay_alu instid0(VALU_DEP_1)
	v_cmp_ge_u64_e64 s10, v[14:15], v[12:13]
	s_or_not1_b32 s40, s10, exec_lo
.LBB8_1004:                             ;   in Loop: Header=BB8_1006 Depth=2
	s_or_b32 exec_lo, exec_lo, s43
	s_delay_alu instid0(SALU_CYCLE_1)
	s_and_not1_b32 s10, s27, exec_lo
	s_and_b32 s27, s41, exec_lo
	s_and_not1_b32 s26, s26, exec_lo
	s_and_b32 s40, s40, exec_lo
	s_or_b32 s27, s10, s27
	s_or_b32 s26, s26, s40
.LBB8_1005:                             ;   in Loop: Header=BB8_1006 Depth=2
	s_or_b32 exec_lo, exec_lo, s29
	s_delay_alu instid0(SALU_CYCLE_1) | instskip(NEXT) | instid1(SALU_CYCLE_1)
	s_and_b32 s10, exec_lo, s26
	s_or_b32 s14, s10, s14
	s_and_not1_b32 s10, s15, exec_lo
	s_and_b32 s15, s27, exec_lo
	s_delay_alu instid0(SALU_CYCLE_1)
	s_or_b32 s15, s10, s15
	s_and_not1_b32 exec_lo, exec_lo, s14
	s_cbranch_execz .LBB8_1010
.LBB8_1006:                             ;   Parent Loop BB8_49 Depth=1
                                        ; =>  This Inner Loop Header: Depth=2
	s_sleep 1
	s_wait_loadcnt_dscnt 0x0
	flat_load_b64 v[70:71], v[64:65] scope:SCOPE_SYS
	s_or_b32 s27, s27, exec_lo
	s_or_b32 s26, s26, exec_lo
                                        ; implicit-def: $vgpr9
	s_wait_xcnt 0x0
	s_and_saveexec_b32 s29, vcc_lo
	s_cbranch_execz .LBB8_1005
; %bb.1007:                             ;   in Loop: Header=BB8_1006 Depth=2
	s_cmp_lt_i32 s28, 0x270f
	s_mov_b32 s40, -1
	s_cselect_b32 s42, -1, 0
	s_cmp_gt_i32 s28, 0x270e
	s_cbranch_scc0 .LBB8_1009
; %bb.1008:                             ;   in Loop: Header=BB8_1006 Depth=2
	s_trap 2
	ds_load_b64 v[14:15], v0
	s_and_not1_b32 s28, s42, exec_lo
	s_mov_b32 s41, 0
	s_wait_storecnt 0x0
	s_wait_loadcnt_dscnt 0x0
	flat_load_b32 v9, v[14:15] scope:SCOPE_SYS
	s_wait_loadcnt_dscnt 0x0
	global_inv scope:SCOPE_SYS
	v_cmp_eq_u32_e64 s10, 0, v9
	s_and_b32 s10, s10, exec_lo
	s_delay_alu instid0(SALU_CYCLE_1)
	s_or_b32 s42, s28, s10
	s_mov_b32 s28, 0
	s_and_saveexec_b32 s43, s42
	s_cbranch_execz .LBB8_1004
	s_branch .LBB8_1003
.LBB8_1009:                             ;   in Loop: Header=BB8_1006 Depth=2
	s_add_co_i32 s28, s28, 1
	s_mov_b32 s41, -1
                                        ; implicit-def: $vgpr9
	s_and_saveexec_b32 s43, s42
	s_cbranch_execz .LBB8_1004
	s_branch .LBB8_1003
.LBB8_1010:                             ;   in Loop: Header=BB8_49 Depth=1
	s_or_b32 exec_lo, exec_lo, s14
	s_xor_b32 s10, s15, -1
	s_delay_alu instid0(SALU_CYCLE_1) | instskip(NEXT) | instid1(SALU_CYCLE_1)
	s_and_saveexec_b32 s14, s10
	s_xor_b32 s10, exec_lo, s14
	s_cbranch_execz .LBB8_1012
; %bb.1011:                             ;   in Loop: Header=BB8_49 Depth=1
	v_or_b32_e32 v30, 64, v30
	s_wait_storecnt 0x0
	s_wait_loadcnt_dscnt 0x0
	ds_store_b32 v0, v9
	s_trap 2
.LBB8_1012:                             ;   in Loop: Header=BB8_49 Depth=1
	s_or_b32 exec_lo, exec_lo, s10
.LBB8_1013:                             ;   in Loop: Header=BB8_49 Depth=1
	s_delay_alu instid0(SALU_CYCLE_1) | instskip(SKIP_3) | instid1(VALU_DEP_1)
	s_or_b32 exec_lo, exec_lo, s13
	v_and_b32_e32 v9, 0x108, v30
	s_mov_b32 s10, exec_lo
	;;#ASMSTART
	s_wakeup
	;;#ASMEND
                                        ; implicit-def: $vgpr14_vgpr15
	v_cmpx_ne_u32_e32 0x108, v9
	s_xor_b32 s10, exec_lo, s10
; %bb.1014:                             ;   in Loop: Header=BB8_49 Depth=1
	v_dual_mov_b32 v15, v87 :: v_dual_bitop2_b32 v14, 7, v8 bitop3:0x40
; %bb.1015:                             ;   in Loop: Header=BB8_49 Depth=1
	s_and_not1_saveexec_b32 s10, s10
	s_cbranch_execz .LBB8_1017
; %bb.1016:                             ;   in Loop: Header=BB8_49 Depth=1
	v_dual_ashrrev_i32 v11, 31, v10 :: v_dual_bitop2_b32 v14, 7, v8 bitop3:0x40
	v_mov_b32_e32 v15, v87
	s_delay_alu instid0(VALU_DEP_2) | instskip(NEXT) | instid1(VALU_DEP_3)
	v_mad_nc_u64_u32 v[8:9], v14, 24, v[6:7]
	v_lshlrev_b64_e32 v[16:17], 1, v[10:11]
	flat_store_b64 v[8:9], v[16:17] offset:8
.LBB8_1017:                             ;   in Loop: Header=BB8_49 Depth=1
	s_wait_xcnt 0x0
	s_or_b32 exec_lo, exec_lo, s10
	v_and_b32_e32 v8, 0x100, v30
	s_mov_b32 s10, -1
	s_delay_alu instid0(VALU_DEP_1)
	v_cmp_ne_u32_e32 vcc_lo, 0, v8
                                        ; implicit-def: $vgpr8_vgpr9
	s_and_saveexec_b32 s13, vcc_lo
	s_cbranch_execz .LBB8_1021
; %bb.1018:                             ;   in Loop: Header=BB8_49 Depth=1
	v_mad_nc_u64_u32 v[16:17], v14, 24, v[6:7]
	s_delay_alu instid0(VALU_DEP_1)
	v_mad_u32 v17, v15, 24, v17
	flat_load_b32 v8, v[16:17]
	s_wait_loadcnt_dscnt 0x0
	v_cmp_eq_u32_e64 s10, 1, v8
	v_cmp_ne_u32_e32 vcc_lo, 1, v8
                                        ; implicit-def: $vgpr8_vgpr9
	s_wait_xcnt 0x0
	s_and_saveexec_b32 s14, s10
	s_cbranch_execz .LBB8_1020
; %bb.1019:                             ;   in Loop: Header=BB8_49 Depth=1
	flat_load_b32 v8, v[16:17] offset:4 scope:SCOPE_SYS
	s_wait_loadcnt_dscnt 0x0
	v_ashrrev_i32_e32 v9, 31, v8
	s_delay_alu instid0(VALU_DEP_1)
	v_lshrrev_b64 v[8:9], 1, v[8:9]
.LBB8_1020:                             ;   in Loop: Header=BB8_49 Depth=1
	s_wait_xcnt 0x0
	s_or_b32 exec_lo, exec_lo, s14
	s_delay_alu instid0(SALU_CYCLE_1)
	s_or_not1_b32 s10, vcc_lo, exec_lo
.LBB8_1021:                             ;   in Loop: Header=BB8_49 Depth=1
	s_or_b32 exec_lo, exec_lo, s13
	s_and_saveexec_b32 s13, s10
; %bb.1022:                             ;   in Loop: Header=BB8_49 Depth=1
	v_mul_u64_e32 v[8:9], v[14:15], v[66:67]
; %bb.1023:                             ;   in Loop: Header=BB8_49 Depth=1
	s_or_b32 exec_lo, exec_lo, s13
	v_cmp_eq_u32_e32 vcc_lo, 0, v86
	v_and_b32_e32 v14, 0x2000, v30
	s_delay_alu instid0(VALU_DEP_3) | instskip(SKIP_2) | instid1(VALU_DEP_1)
	v_lshl_add_u64 v[8:9], v[8:9], 1, v[68:69]
	s_mov_b32 s10, exec_lo
	v_cndmask_b32_e32 v11, 0xc8, v78, vcc_lo
	v_add_nc_u32_e32 v11, v0, v11
	ds_store_b64 v11, v[8:9] offset:584
	v_cmpx_ne_u32_e32 0, v14
	s_cbranch_execz .LBB8_1025
; %bb.1024:                             ;   in Loop: Header=BB8_49 Depth=1
	ds_load_b64 v[8:9], v0 offset:872
	s_wait_dscnt 0x0
	v_add_nc_u64_e32 v[8:9], 1, v[8:9]
	ds_store_b64 v0, v[8:9] offset:872
.LBB8_1025:                             ;   in Loop: Header=BB8_49 Depth=1
	s_or_b32 exec_lo, exec_lo, s10
	v_mov_b64_e32 v[8:9], v[12:13]
.LBB8_1026:                             ;   in Loop: Header=BB8_49 Depth=1
	s_or_b32 exec_lo, exec_lo, s12
	s_and_saveexec_b32 s10, s2
	s_cbranch_execz .LBB8_1045
; %bb.1027:                             ;   in Loop: Header=BB8_49 Depth=1
	s_and_saveexec_b32 s12, s3
	s_delay_alu instid0(SALU_CYCLE_1)
	s_xor_b32 s12, exec_lo, s12
	s_cbranch_execz .LBB8_1042
; %bb.1028:                             ;   in Loop: Header=BB8_49 Depth=1
	s_and_saveexec_b32 s13, s4
	s_cbranch_execz .LBB8_1041
; %bb.1029:                             ;   in Loop: Header=BB8_49 Depth=1
	s_mov_b32 s15, exec_lo
	s_mov_b32 s14, exec_lo
	v_mbcnt_lo_u32_b32 v11, s15, 0
	global_wb scope:SCOPE_DEV
	s_wait_storecnt 0x0
	s_wait_loadcnt_dscnt 0x0
	global_inv scope:SCOPE_DEV
	v_cmpx_eq_u32_e32 0, v11
	s_cbranch_execz .LBB8_1031
; %bb.1030:                             ;   in Loop: Header=BB8_49 Depth=1
	s_bcnt1_i32_b32 s15, s15
	s_delay_alu instid0(SALU_CYCLE_1)
	v_mov_b32_e32 v86, s15
	s_wait_loadcnt 0x0
	ds_add_u64 v0, v[86:87]
	s_trap 2
.LBB8_1031:                             ;   in Loop: Header=BB8_49 Depth=1
	s_or_b32 exec_lo, exec_lo, s14
	s_trap 2
	ds_load_b64 v[12:13], v0
	s_wait_dscnt 0x0
	v_add_nc_u64_e32 v[80:81], v[80:81], v[96:97]
	s_mov_b32 s14, exec_lo
	s_delay_alu instid0(VALU_DEP_1)
	v_cmpx_lt_u64_e64 v[12:13], v[80:81]
	s_cbranch_execz .LBB8_1040
; %bb.1032:                             ;   in Loop: Header=BB8_49 Depth=1
	s_mov_b32 s15, 0
	s_mov_b32 s28, 0
                                        ; implicit-def: $sgpr26
                                        ; implicit-def: $sgpr27
	s_branch .LBB8_1034
.LBB8_1033:                             ;   in Loop: Header=BB8_1034 Depth=2
	s_or_b32 exec_lo, exec_lo, s40
	s_delay_alu instid0(SALU_CYCLE_1) | instskip(NEXT) | instid1(SALU_CYCLE_1)
	s_and_b32 s29, exec_lo, s41
	s_or_b32 s15, s29, s15
	s_and_not1_b32 s26, s26, exec_lo
	s_and_b32 s29, s27, exec_lo
	s_delay_alu instid0(SALU_CYCLE_1)
	s_or_b32 s26, s26, s29
	s_and_not1_b32 exec_lo, exec_lo, s15
	s_cbranch_execz .LBB8_1038
.LBB8_1034:                             ;   Parent Loop BB8_49 Depth=1
                                        ; =>  This Inner Loop Header: Depth=2
	s_add_co_i32 s28, s28, 1
	s_delay_alu instid0(SALU_CYCLE_1) | instskip(SKIP_1) | instid1(SALU_CYCLE_1)
	s_cmp_lg_u32 s28, 0x2710
	s_cselect_b32 s29, -1, 0
	s_and_b32 vcc_lo, exec_lo, s29
	s_cbranch_vccz .LBB8_1036
; %bb.1035:                             ;   in Loop: Header=BB8_1034 Depth=2
	s_mov_b32 s41, -1
	s_or_b32 s27, s27, exec_lo
	s_and_saveexec_b32 s40, s29
	s_cbranch_execz .LBB8_1033
	s_branch .LBB8_1037
.LBB8_1036:                             ;   in Loop: Header=BB8_1034 Depth=2
	s_trap 2
	ds_load_b64 v[12:13], v0
	s_and_not1_b32 s29, s29, exec_lo
	s_mov_b32 s28, 0
	s_wait_loadcnt_dscnt 0x0
	flat_load_b32 v11, v[12:13] scope:SCOPE_SYS
	s_wait_loadcnt_dscnt 0x0
	global_inv scope:SCOPE_SYS
	v_cmp_eq_u32_e32 vcc_lo, 0, v11
	s_and_b32 s40, vcc_lo, exec_lo
	s_delay_alu instid0(SALU_CYCLE_1)
	s_or_b32 s29, s29, s40
	s_mov_b32 s41, -1
	s_or_b32 s27, s27, exec_lo
	s_and_saveexec_b32 s40, s29
	s_cbranch_execz .LBB8_1033
.LBB8_1037:                             ;   in Loop: Header=BB8_1034 Depth=2
	s_sleep 1
	s_trap 2
	ds_load_b64 v[12:13], v0
	s_wait_dscnt 0x0
	s_and_not1_b32 s27, s27, exec_lo
	v_cmp_ge_u64_e32 vcc_lo, v[12:13], v[80:81]
	s_or_not1_b32 s41, vcc_lo, exec_lo
	s_branch .LBB8_1033
.LBB8_1038:                             ;   in Loop: Header=BB8_49 Depth=1
	s_or_b32 exec_lo, exec_lo, s15
	s_and_saveexec_b32 s15, s26
	s_delay_alu instid0(SALU_CYCLE_1)
	s_xor_b32 s15, exec_lo, s15
	s_cbranch_execz .LBB8_1040
; %bb.1039:                             ;   in Loop: Header=BB8_49 Depth=1
	ds_store_b32 v0, v77
	s_trap 2
.LBB8_1040:                             ;   in Loop: Header=BB8_49 Depth=1
	s_or_b32 exec_lo, exec_lo, s14
	;;#ASMSTART
	s_wakeup
	;;#ASMEND
.LBB8_1041:                             ;   in Loop: Header=BB8_49 Depth=1
	s_or_b32 exec_lo, exec_lo, s13
.LBB8_1042:                             ;   in Loop: Header=BB8_49 Depth=1
	s_and_not1_saveexec_b32 s12, s12
	s_cbranch_execz .LBB8_1044
; %bb.1043:                             ;   in Loop: Header=BB8_49 Depth=1
	global_wb scope:SCOPE_DEV
	s_wait_storecnt 0x0
	s_wait_loadcnt_dscnt 0x0
	global_inv scope:SCOPE_DEV
	s_barrier_signal -1
	s_barrier_wait -1
.LBB8_1044:                             ;   in Loop: Header=BB8_49 Depth=1
	s_or_b32 exec_lo, exec_lo, s12
.LBB8_1045:                             ;   in Loop: Header=BB8_49 Depth=1
	s_delay_alu instid0(SALU_CYCLE_1)
	s_or_b32 exec_lo, exec_lo, s10
	s_trap 2
	ds_load_b32 v11, v0
	v_cmp_lt_i32_e32 vcc_lo, 0, v10
	s_wait_dscnt 0x0
	v_readfirstlane_b32 s10, v11
	v_and_b32_e32 v11, 16, v30
	s_cmp_eq_u32 s10, 0
	s_delay_alu instid0(VALU_DEP_1) | instskip(SKIP_1) | instid1(SALU_CYCLE_1)
	v_cmp_ne_u32_e64 s10, 0, v11
	s_cselect_b32 s12, -1, 0
	s_and_b32 s12, vcc_lo, s12
	s_delay_alu instid0(SALU_CYCLE_1) | instskip(NEXT) | instid1(SALU_CYCLE_1)
	s_and_b32 s12, s10, s12
	s_and_saveexec_b32 s10, s12
	s_cbranch_execz .LBB8_1047
; %bb.1046:                             ;   in Loop: Header=BB8_49 Depth=1
	global_wb scope:SCOPE_SYS
	s_wait_loadcnt 0x0
	s_wait_storecnt 0x0
	global_inv scope:SCOPE_SYS
.LBB8_1047:                             ;   in Loop: Header=BB8_49 Depth=1
	s_or_b32 exec_lo, exec_lo, s10
	v_cmp_ne_u32_e32 vcc_lo, 0, v11
	s_xor_b32 s10, s7, -1
	s_delay_alu instid0(SALU_CYCLE_1) | instskip(NEXT) | instid1(SALU_CYCLE_1)
	s_and_b32 s12, vcc_lo, s10
	s_and_saveexec_b32 s10, s12
	s_cbranch_execz .LBB8_1049
; %bb.1048:                             ;   in Loop: Header=BB8_49 Depth=1
	global_wb scope:SCOPE_SYS
	s_wait_loadcnt 0x0
	s_wait_storecnt 0x0
	flat_store_b32 v[84:85], v77 scope:SCOPE_SYS
.LBB8_1049:                             ;   in Loop: Header=BB8_49 Depth=1
	s_wait_xcnt 0x0
	s_or_b32 exec_lo, exec_lo, s10
	v_and_b32_e32 v10, 48, v30
	s_mov_b32 s10, exec_lo
	s_delay_alu instid0(VALU_DEP_1)
	v_cmpx_ne_u32_e32 0, v10
	s_cbranch_execz .LBB8_47
; %bb.1050:                             ;   in Loop: Header=BB8_49 Depth=1
	v_add_nc_u64_e32 v[8:9], 1, v[8:9]
	global_wb scope:SCOPE_SYS
	s_wait_storecnt 0x0
	s_wait_loadcnt_dscnt 0x0
	flat_store_b64 v[64:65], v[8:9] scope:SCOPE_SYS
	s_branch .LBB8_47
.LBB8_1051:
	s_or_b32 exec_lo, exec_lo, s22
.LBB8_1052:
	s_delay_alu instid0(SALU_CYCLE_1)
	s_or_b32 exec_lo, exec_lo, s20
                                        ; implicit-def: $vgpr52_vgpr53
                                        ; implicit-def: $vgpr4_vgpr5
                                        ; implicit-def: $vgpr66
                                        ; implicit-def: $vgpr70_vgpr71
                                        ; implicit-def: $vgpr68_vgpr69
                                        ; implicit-def: $vgpr64_vgpr65
                                        ; implicit-def: $vgpr0
                                        ; implicit-def: $vgpr15
                                        ; implicit-def: $vgpr82_vgpr83
.LBB8_1053:
	s_and_not1_saveexec_b32 s14, s19
	s_cbranch_execz .LBB8_2050
; %bb.1054:
	v_mov_b64_e32 v[80:81], 0
	s_mov_b32 s15, exec_lo
	v_cmpx_ne_u64_e32 0, v[4:5]
	s_cbranch_execz .LBB8_2049
; %bb.1055:
	s_wait_dscnt 0x1
	v_dual_mov_b32 v87, 0 :: v_dual_lshrrev_b32 v84, 5, v1
	v_dual_ashrrev_i32 v67, 31, v66 :: v_dual_bitop2_b32 v10, 31, v31 bitop3:0x40
	v_and_b32_e32 v60, 31, v0
	s_delay_alu instid0(VALU_DEP_3) | instskip(SKIP_1) | instid1(VALU_DEP_4)
	v_dual_lshlrev_b32 v61, 9, v84 :: v_dual_lshlrev_b32 v62, 6, v84
	v_lshl_add_u32 v96, v84, 10, 0xfffffc00
	v_cmp_eq_u32_e64 s4, 0, v10
	s_delay_alu instid0(VALU_DEP_3) | instskip(SKIP_3) | instid1(VALU_DEP_4)
	v_dual_mov_b32 v85, v87 :: v_dual_add_nc_u32 v98, 0xfffffe00, v61
	v_mov_b32_e32 v103, v87
	v_subrev_nc_u32_e32 v100, 64, v62
	v_lshrrev_b32_e32 v63, 5, v0
	v_dual_ashrrev_i32 v97, 31, v96 :: v_dual_ashrrev_i32 v99, 31, v98
	v_dual_mov_b32 v73, 1 :: v_dual_lshlrev_b32 v10, 4, v60
	s_delay_alu instid0(VALU_DEP_4)
	v_ashrrev_i32_e32 v101, 31, v100
	s_lshr_b32 s2, s17, 27
	v_cmp_eq_u32_e32 vcc_lo, 32, v1
	s_add_co_i32 s2, s17, s2
	v_add_nc_u64_e32 v[112:113], 0x400, v[96:97]
	v_add_nc_u64_e32 v[114:115], 0x200, v[98:99]
	;; [unrolled: 1-line block ×3, first 2 shown]
	v_mov_b64_e32 v[118:119], 0
	v_mov_b64_e32 v[80:81], 0
	v_cmp_ge_u32_e64 s1, v0, v1
	s_ashr_i32 s19, s2, 5
	v_cmp_ne_u32_e64 s2, 32, v1
	v_cmp_ne_u32_e64 s3, v1, v72
	v_cmp_le_u32_e64 s5, v60, v15
	v_cmp_eq_u32_e64 s6, 0, v60
	v_lshl_or_b32 v102, v63, 10, v10
	s_mov_b32 s20, 0
	s_add_co_i32 s21, s33, 0xe0
	s_add_co_i32 s22, s33, 0xc0
	s_xor_b32 s23, vcc_lo, -1
	s_trap 2
	s_branch .LBB8_1058
.LBB8_1056:                             ;   in Loop: Header=BB8_1058 Depth=1
	s_wait_xcnt 0x0
	s_or_b32 exec_lo, exec_lo, s7
.LBB8_1057:                             ;   in Loop: Header=BB8_1058 Depth=1
	s_delay_alu instid0(SALU_CYCLE_1) | instskip(SKIP_1) | instid1(VALU_DEP_1)
	s_or_b32 exec_lo, exec_lo, s10
	v_add_nc_u64_e32 v[118:119], v[118:119], v[82:83]
	v_cmp_ge_u64_e32 vcc_lo, v[118:119], v[4:5]
	s_or_b32 s20, vcc_lo, s20
	s_delay_alu instid0(SALU_CYCLE_1)
	s_and_not1_b32 exec_lo, exec_lo, s20
	s_cbranch_execz .LBB8_2048
.LBB8_1058:                             ; =>This Loop Header: Depth=1
                                        ;     Child Loop BB8_1067 Depth 2
                                        ;     Child Loop BB8_1091 Depth 2
	;; [unrolled: 1-line block ×5, first 2 shown]
                                        ;       Child Loop BB8_1532 Depth 3
                                        ;       Child Loop BB8_1601 Depth 3
                                        ;     Child Loop BB8_1742 Depth 2
                                        ;     Child Loop BB8_1945 Depth 2
                                        ;       Child Loop BB8_1946 Depth 3
                                        ;       Child Loop BB8_1959 Depth 3
                                        ;     Child Loop BB8_1986 Depth 2
                                        ;     Child Loop BB8_2009 Depth 2
	;; [unrolled: 1-line block ×3, first 2 shown]
	v_sub_nc_u64_e32 v[10:11], v[4:5], v[118:119]
	v_mov_b32_e32 v14, 0
	s_delay_alu instid0(VALU_DEP_2) | instskip(NEXT) | instid1(VALU_DEP_1)
	v_min_u64 v[40:41], v[82:83], v[10:11]
	v_add_nc_u32_e32 v10, 15, v40
	s_delay_alu instid0(VALU_DEP_2) | instskip(NEXT) | instid1(VALU_DEP_2)
	v_cmp_eq_u64_e32 vcc_lo, 0, v[40:41]
	v_and_b32_e32 v10, 0x3ffffff0, v10
	s_or_b32 s24, s1, vcc_lo
	s_delay_alu instid0(SALU_CYCLE_1) | instskip(NEXT) | instid1(VALU_DEP_1)
	s_xor_b32 s7, s24, -1
	v_max_i32_e32 v41, s19, v10
	s_and_saveexec_b32 s25, s7
	s_cbranch_execz .LBB8_2002
; %bb.1059:                             ;   in Loop: Header=BB8_1058 Depth=1
	s_and_saveexec_b32 s7, s0
	s_cbranch_execz .LBB8_1061
; %bb.1060:                             ;   in Loop: Header=BB8_1058 Depth=1
	s_trap 2
	ds_load_b64 v[14:15], v0
	ds_load_2addr_b64 v[10:13], v0 offset1:1
	v_add_nc_u64_e32 v[16:17], v[118:119], v[52:53]
	s_delay_alu instid0(VALU_DEP_1) | instskip(SKIP_1) | instid1(VALU_DEP_1)
	v_lshlrev_b64_e32 v[16:17], 1, v[16:17]
	s_wait_dscnt 0x1
	v_add_nc_u64_e32 v[18:19], v[14:15], v[16:17]
	v_cmp_ne_u64_e32 vcc_lo, 0, v[14:15]
	s_wait_dscnt 0x0
	v_add_nc_u64_e32 v[10:11], v[10:11], v[16:17]
	v_add_nc_u64_e32 v[12:13], v[12:13], v[16:17]
	s_delay_alu instid0(VALU_DEP_4)
	v_dual_cndmask_b32 v15, 0, v19 :: v_dual_cndmask_b32 v14, 0, v18
	ds_store_b64 v0, v[10:11]
	ds_store_b64 v0, v[12:13]
	;; [unrolled: 1-line block ×3, first 2 shown]
.LBB8_1061:                             ;   in Loop: Header=BB8_1058 Depth=1
	s_or_b32 exec_lo, exec_lo, s7
	v_and_b32_e32 v10, 4, v30
	s_mov_b32 s10, exec_lo
	s_delay_alu instid0(VALU_DEP_1)
	v_cmpx_ne_u32_e32 0, v10
	s_cbranch_execz .LBB8_1083
; %bb.1062:                             ;   in Loop: Header=BB8_1058 Depth=1
	s_wait_dscnt 0x0
	v_add_nc_u64_e32 v[10:11], 1, v[8:9]
	s_mov_b32 s11, exec_lo
	s_wait_loadcnt 0x0
	s_delay_alu instid0(VALU_DEP_1)
	v_cmpx_lt_u64_e64 v[70:71], v[10:11]
	s_cbranch_execz .LBB8_1074
; %bb.1063:                             ;   in Loop: Header=BB8_1058 Depth=1
	v_and_b32_e32 v9, 64, v30
	s_mov_b32 s12, 0
	s_mov_b32 s28, 0
                                        ; implicit-def: $sgpr13
                                        ; implicit-def: $sgpr26
                                        ; implicit-def: $sgpr27
	s_delay_alu instid0(VALU_DEP_1)
	v_cmp_eq_u32_e32 vcc_lo, 0, v9
	s_branch .LBB8_1067
.LBB8_1064:                             ;   in Loop: Header=BB8_1067 Depth=2
	s_wait_loadcnt_dscnt 0x0
	v_cmp_ge_u64_e64 s7, v[70:71], v[10:11]
	s_or_b32 s41, s41, exec_lo
	s_or_not1_b32 s40, s7, exec_lo
.LBB8_1065:                             ;   in Loop: Header=BB8_1067 Depth=2
	s_or_b32 exec_lo, exec_lo, s43
	s_delay_alu instid0(SALU_CYCLE_1)
	s_and_not1_b32 s7, s27, exec_lo
	s_and_b32 s27, s41, exec_lo
	s_and_not1_b32 s26, s26, exec_lo
	s_and_b32 s40, s40, exec_lo
	s_or_b32 s27, s7, s27
	s_or_b32 s26, s26, s40
.LBB8_1066:                             ;   in Loop: Header=BB8_1067 Depth=2
	s_or_b32 exec_lo, exec_lo, s29
	s_delay_alu instid0(SALU_CYCLE_1) | instskip(NEXT) | instid1(SALU_CYCLE_1)
	s_and_b32 s7, exec_lo, s26
	s_or_b32 s12, s7, s12
	s_and_not1_b32 s7, s13, exec_lo
	s_and_b32 s13, s27, exec_lo
	s_delay_alu instid0(SALU_CYCLE_1)
	s_or_b32 s13, s7, s13
	s_and_not1_b32 exec_lo, exec_lo, s12
	s_cbranch_execz .LBB8_1071
.LBB8_1067:                             ;   Parent Loop BB8_1058 Depth=1
                                        ; =>  This Inner Loop Header: Depth=2
	s_sleep 1
	s_wait_loadcnt_dscnt 0x0
	flat_load_b64 v[70:71], v[64:65] scope:SCOPE_SYS
	s_or_b32 s27, s27, exec_lo
	s_or_b32 s26, s26, exec_lo
                                        ; implicit-def: $vgpr9
	s_wait_xcnt 0x0
	s_and_saveexec_b32 s29, vcc_lo
	s_cbranch_execz .LBB8_1066
; %bb.1068:                             ;   in Loop: Header=BB8_1067 Depth=2
	s_cmp_lt_i32 s28, 0x270f
	s_mov_b32 s40, -1
	s_cselect_b32 s42, -1, 0
	s_cmp_gt_i32 s28, 0x270e
	s_cbranch_scc0 .LBB8_1070
; %bb.1069:                             ;   in Loop: Header=BB8_1067 Depth=2
	s_trap 2
	ds_load_b64 v[12:13], v0
	s_and_not1_b32 s28, s42, exec_lo
	s_mov_b32 s41, 0
	s_wait_storecnt 0x0
	s_wait_loadcnt_dscnt 0x0
	flat_load_b32 v9, v[12:13] scope:SCOPE_SYS
	s_wait_loadcnt_dscnt 0x0
	global_inv scope:SCOPE_SYS
	v_cmp_eq_u32_e64 s7, 0, v9
	s_and_b32 s7, s7, exec_lo
	s_delay_alu instid0(SALU_CYCLE_1)
	s_or_b32 s42, s28, s7
	s_mov_b32 s28, 0
	s_wait_xcnt 0x0
	s_and_saveexec_b32 s43, s42
	s_cbranch_execz .LBB8_1065
	s_branch .LBB8_1064
.LBB8_1070:                             ;   in Loop: Header=BB8_1067 Depth=2
	s_add_co_i32 s28, s28, 1
	s_mov_b32 s41, -1
                                        ; implicit-def: $vgpr9
	s_and_saveexec_b32 s43, s42
	s_cbranch_execz .LBB8_1065
	s_branch .LBB8_1064
.LBB8_1071:                             ;   in Loop: Header=BB8_1058 Depth=1
	s_or_b32 exec_lo, exec_lo, s12
	s_xor_b32 s7, s13, -1
	s_delay_alu instid0(SALU_CYCLE_1) | instskip(NEXT) | instid1(SALU_CYCLE_1)
	s_and_saveexec_b32 s12, s7
	s_xor_b32 s7, exec_lo, s12
	s_cbranch_execz .LBB8_1073
; %bb.1072:                             ;   in Loop: Header=BB8_1058 Depth=1
	v_or_b32_e32 v30, 64, v30
	s_wait_storecnt 0x0
	s_wait_loadcnt_dscnt 0x0
	ds_store_b32 v0, v9
	s_trap 2
.LBB8_1073:                             ;   in Loop: Header=BB8_1058 Depth=1
	s_or_b32 exec_lo, exec_lo, s7
.LBB8_1074:                             ;   in Loop: Header=BB8_1058 Depth=1
	s_delay_alu instid0(SALU_CYCLE_1) | instskip(SKIP_4) | instid1(VALU_DEP_2)
	s_or_b32 exec_lo, exec_lo, s11
	v_and_b32_e32 v9, 0x100, v30
	v_and_b32_e32 v86, 7, v8
	s_mov_b32 s7, -1
	;;#ASMSTART
	s_wakeup
	;;#ASMEND
	v_cmp_ne_u32_e32 vcc_lo, 0, v9
                                        ; implicit-def: $vgpr8_vgpr9
	s_and_saveexec_b32 s11, vcc_lo
	s_cbranch_execz .LBB8_1078
; %bb.1075:                             ;   in Loop: Header=BB8_1058 Depth=1
	v_mad_nc_u64_u32 v[12:13], v86, 24, v[6:7]
	flat_load_b32 v8, v[12:13]
	s_wait_loadcnt_dscnt 0x0
	v_cmp_eq_u32_e64 s7, 1, v8
	v_cmp_ne_u32_e32 vcc_lo, 1, v8
                                        ; implicit-def: $vgpr8_vgpr9
	s_wait_xcnt 0x0
	s_and_saveexec_b32 s12, s7
	s_cbranch_execz .LBB8_1077
; %bb.1076:                             ;   in Loop: Header=BB8_1058 Depth=1
	flat_load_b32 v8, v[12:13] offset:4 scope:SCOPE_SYS
	s_wait_loadcnt_dscnt 0x0
	v_ashrrev_i32_e32 v9, 31, v8
	s_delay_alu instid0(VALU_DEP_1)
	v_lshrrev_b64 v[8:9], 1, v[8:9]
.LBB8_1077:                             ;   in Loop: Header=BB8_1058 Depth=1
	s_wait_xcnt 0x0
	s_or_b32 exec_lo, exec_lo, s12
	s_delay_alu instid0(SALU_CYCLE_1)
	s_or_not1_b32 s7, vcc_lo, exec_lo
.LBB8_1078:                             ;   in Loop: Header=BB8_1058 Depth=1
	s_or_b32 exec_lo, exec_lo, s11
	s_and_saveexec_b32 s11, s7
; %bb.1079:                             ;   in Loop: Header=BB8_1058 Depth=1
	v_mul_u64_e32 v[8:9], v[86:87], v[66:67]
; %bb.1080:                             ;   in Loop: Header=BB8_1058 Depth=1
	s_or_b32 exec_lo, exec_lo, s11
	v_and_b32_e32 v12, 0x2000, v30
	s_delay_alu instid0(VALU_DEP_2)
	v_lshl_add_u64 v[8:9], v[8:9], 1, v[68:69]
	s_mov_b32 s7, exec_lo
	ds_store_b64 v0, v[8:9] offset:728
	v_cmpx_ne_u32_e32 0, v12
	s_cbranch_execz .LBB8_1082
; %bb.1081:                             ;   in Loop: Header=BB8_1058 Depth=1
	ds_load_b64 v[8:9], v0 offset:872
	s_wait_dscnt 0x0
	v_add_nc_u64_e32 v[8:9], 1, v[8:9]
	ds_store_b64 v0, v[8:9] offset:872
.LBB8_1082:                             ;   in Loop: Header=BB8_1058 Depth=1
	s_or_b32 exec_lo, exec_lo, s7
	v_mov_b64_e32 v[8:9], v[10:11]
.LBB8_1083:                             ;   in Loop: Header=BB8_1058 Depth=1
	s_or_b32 exec_lo, exec_lo, s10
	s_and_saveexec_b32 s7, s2
	s_cbranch_execz .LBB8_1102
; %bb.1084:                             ;   in Loop: Header=BB8_1058 Depth=1
	s_and_saveexec_b32 s10, s3
	s_delay_alu instid0(SALU_CYCLE_1)
	s_xor_b32 s10, exec_lo, s10
	s_cbranch_execz .LBB8_1099
; %bb.1085:                             ;   in Loop: Header=BB8_1058 Depth=1
	s_and_saveexec_b32 s11, s4
	s_cbranch_execz .LBB8_1098
; %bb.1086:                             ;   in Loop: Header=BB8_1058 Depth=1
	s_mov_b32 s13, exec_lo
	s_mov_b32 s12, exec_lo
	v_mbcnt_lo_u32_b32 v10, s13, 0
	global_wb scope:SCOPE_DEV
	s_wait_storecnt 0x0
	s_wait_loadcnt_dscnt 0x0
	global_inv scope:SCOPE_DEV
	v_cmpx_eq_u32_e32 0, v10
	s_cbranch_execz .LBB8_1088
; %bb.1087:                             ;   in Loop: Header=BB8_1058 Depth=1
	s_bcnt1_i32_b32 s13, s13
	s_delay_alu instid0(SALU_CYCLE_1)
	v_mov_b32_e32 v86, s13
	s_wait_loadcnt 0x0
	ds_add_u64 v0, v[86:87]
	s_trap 2
.LBB8_1088:                             ;   in Loop: Header=BB8_1058 Depth=1
	s_or_b32 exec_lo, exec_lo, s12
	s_trap 2
	ds_load_b64 v[10:11], v0
	s_wait_dscnt 0x0
	v_add_nc_u64_e32 v[80:81], v[80:81], v[84:85]
	s_mov_b32 s12, exec_lo
	s_delay_alu instid0(VALU_DEP_1)
	v_cmpx_lt_u64_e64 v[10:11], v[80:81]
	s_cbranch_execz .LBB8_1097
; %bb.1089:                             ;   in Loop: Header=BB8_1058 Depth=1
	s_mov_b32 s13, 0
	s_mov_b32 s28, 0
                                        ; implicit-def: $sgpr26
                                        ; implicit-def: $sgpr27
	s_branch .LBB8_1091
.LBB8_1090:                             ;   in Loop: Header=BB8_1091 Depth=2
	s_or_b32 exec_lo, exec_lo, s40
	s_delay_alu instid0(SALU_CYCLE_1) | instskip(NEXT) | instid1(SALU_CYCLE_1)
	s_and_b32 s29, exec_lo, s41
	s_or_b32 s13, s29, s13
	s_and_not1_b32 s26, s26, exec_lo
	s_and_b32 s29, s27, exec_lo
	s_delay_alu instid0(SALU_CYCLE_1)
	s_or_b32 s26, s26, s29
	s_and_not1_b32 exec_lo, exec_lo, s13
	s_cbranch_execz .LBB8_1095
.LBB8_1091:                             ;   Parent Loop BB8_1058 Depth=1
                                        ; =>  This Inner Loop Header: Depth=2
	s_add_co_i32 s28, s28, 1
	s_delay_alu instid0(SALU_CYCLE_1) | instskip(SKIP_1) | instid1(SALU_CYCLE_1)
	s_cmp_lg_u32 s28, 0x2710
	s_cselect_b32 s29, -1, 0
	s_and_b32 vcc_lo, exec_lo, s29
	s_cbranch_vccz .LBB8_1093
; %bb.1092:                             ;   in Loop: Header=BB8_1091 Depth=2
	s_mov_b32 s41, -1
	s_or_b32 s27, s27, exec_lo
	s_and_saveexec_b32 s40, s29
	s_cbranch_execz .LBB8_1090
	s_branch .LBB8_1094
.LBB8_1093:                             ;   in Loop: Header=BB8_1091 Depth=2
	s_trap 2
	ds_load_b64 v[10:11], v0
	s_and_not1_b32 s29, s29, exec_lo
	s_mov_b32 s28, 0
	s_wait_loadcnt_dscnt 0x0
	flat_load_b32 v10, v[10:11] scope:SCOPE_SYS
	s_wait_loadcnt_dscnt 0x0
	global_inv scope:SCOPE_SYS
	v_cmp_eq_u32_e32 vcc_lo, 0, v10
	s_and_b32 s40, vcc_lo, exec_lo
	s_delay_alu instid0(SALU_CYCLE_1)
	s_or_b32 s29, s29, s40
	s_mov_b32 s41, -1
	s_or_b32 s27, s27, exec_lo
	s_wait_xcnt 0x0
	s_and_saveexec_b32 s40, s29
	s_cbranch_execz .LBB8_1090
.LBB8_1094:                             ;   in Loop: Header=BB8_1091 Depth=2
	s_sleep 1
	s_trap 2
	ds_load_b64 v[10:11], v0
	s_wait_dscnt 0x0
	s_and_not1_b32 s27, s27, exec_lo
	v_cmp_ge_u64_e32 vcc_lo, v[10:11], v[80:81]
	s_or_not1_b32 s41, vcc_lo, exec_lo
	s_branch .LBB8_1090
.LBB8_1095:                             ;   in Loop: Header=BB8_1058 Depth=1
	s_or_b32 exec_lo, exec_lo, s13
	s_and_saveexec_b32 s13, s26
	s_delay_alu instid0(SALU_CYCLE_1)
	s_xor_b32 s13, exec_lo, s13
	s_cbranch_execz .LBB8_1097
; %bb.1096:                             ;   in Loop: Header=BB8_1058 Depth=1
	ds_store_b32 v0, v73
	s_trap 2
.LBB8_1097:                             ;   in Loop: Header=BB8_1058 Depth=1
	s_or_b32 exec_lo, exec_lo, s12
	;;#ASMSTART
	s_wakeup
	;;#ASMEND
.LBB8_1098:                             ;   in Loop: Header=BB8_1058 Depth=1
	s_or_b32 exec_lo, exec_lo, s11
.LBB8_1099:                             ;   in Loop: Header=BB8_1058 Depth=1
	s_and_not1_saveexec_b32 s10, s10
	s_cbranch_execz .LBB8_1101
; %bb.1100:                             ;   in Loop: Header=BB8_1058 Depth=1
	global_wb scope:SCOPE_DEV
	s_wait_storecnt 0x0
	s_wait_loadcnt_dscnt 0x0
	global_inv scope:SCOPE_DEV
	s_barrier_signal -1
	s_barrier_wait -1
.LBB8_1101:                             ;   in Loop: Header=BB8_1058 Depth=1
	s_or_b32 exec_lo, exec_lo, s10
.LBB8_1102:                             ;   in Loop: Header=BB8_1058 Depth=1
	s_delay_alu instid0(SALU_CYCLE_1) | instskip(SKIP_3) | instid1(VALU_DEP_1)
	s_or_b32 exec_lo, exec_lo, s7
	s_trap 2
	ds_load_b32 v10, v0
	v_and_b32_e32 v11, 0x4000, v30
	v_cmp_ne_u32_e32 vcc_lo, 0, v11
	s_and_b32 s10, s23, vcc_lo
	s_delay_alu instid0(SALU_CYCLE_1)
	s_and_saveexec_b32 s7, s10
	s_cbranch_execz .LBB8_1121
; %bb.1103:                             ;   in Loop: Header=BB8_1058 Depth=1
	s_and_saveexec_b32 s10, s3
	s_delay_alu instid0(SALU_CYCLE_1)
	s_xor_b32 s10, exec_lo, s10
	s_cbranch_execz .LBB8_1118
; %bb.1104:                             ;   in Loop: Header=BB8_1058 Depth=1
	s_and_saveexec_b32 s11, s4
	s_cbranch_execz .LBB8_1117
; %bb.1105:                             ;   in Loop: Header=BB8_1058 Depth=1
	s_mov_b32 s13, exec_lo
	s_mov_b32 s12, exec_lo
	v_mbcnt_lo_u32_b32 v11, s13, 0
	global_wb scope:SCOPE_DEV
	s_wait_storecnt 0x0
	s_wait_loadcnt_dscnt 0x0
	global_inv scope:SCOPE_DEV
	v_cmpx_eq_u32_e32 0, v11
	s_cbranch_execz .LBB8_1107
; %bb.1106:                             ;   in Loop: Header=BB8_1058 Depth=1
	s_bcnt1_i32_b32 s13, s13
	s_delay_alu instid0(SALU_CYCLE_1)
	v_mov_b32_e32 v86, s13
	s_wait_loadcnt 0x0
	ds_add_u64 v0, v[86:87]
	s_trap 2
.LBB8_1107:                             ;   in Loop: Header=BB8_1058 Depth=1
	s_or_b32 exec_lo, exec_lo, s12
	s_trap 2
	ds_load_b64 v[12:13], v0
	s_wait_dscnt 0x0
	v_add_nc_u64_e32 v[80:81], v[80:81], v[84:85]
	s_mov_b32 s12, exec_lo
	s_delay_alu instid0(VALU_DEP_1)
	v_cmpx_lt_u64_e64 v[12:13], v[80:81]
	s_cbranch_execz .LBB8_1116
; %bb.1108:                             ;   in Loop: Header=BB8_1058 Depth=1
	s_mov_b32 s13, 0
	s_mov_b32 s28, 0
                                        ; implicit-def: $sgpr26
                                        ; implicit-def: $sgpr27
	s_branch .LBB8_1110
.LBB8_1109:                             ;   in Loop: Header=BB8_1110 Depth=2
	s_or_b32 exec_lo, exec_lo, s40
	s_delay_alu instid0(SALU_CYCLE_1) | instskip(NEXT) | instid1(SALU_CYCLE_1)
	s_and_b32 s29, exec_lo, s41
	s_or_b32 s13, s29, s13
	s_and_not1_b32 s26, s26, exec_lo
	s_and_b32 s29, s27, exec_lo
	s_delay_alu instid0(SALU_CYCLE_1)
	s_or_b32 s26, s26, s29
	s_and_not1_b32 exec_lo, exec_lo, s13
	s_cbranch_execz .LBB8_1114
.LBB8_1110:                             ;   Parent Loop BB8_1058 Depth=1
                                        ; =>  This Inner Loop Header: Depth=2
	s_add_co_i32 s28, s28, 1
	s_delay_alu instid0(SALU_CYCLE_1) | instskip(SKIP_1) | instid1(SALU_CYCLE_1)
	s_cmp_lg_u32 s28, 0x2710
	s_cselect_b32 s29, -1, 0
	s_and_b32 vcc_lo, exec_lo, s29
	s_cbranch_vccz .LBB8_1112
; %bb.1111:                             ;   in Loop: Header=BB8_1110 Depth=2
	s_mov_b32 s41, -1
	s_or_b32 s27, s27, exec_lo
	s_and_saveexec_b32 s40, s29
	s_cbranch_execz .LBB8_1109
	s_branch .LBB8_1113
.LBB8_1112:                             ;   in Loop: Header=BB8_1110 Depth=2
	s_trap 2
	ds_load_b64 v[12:13], v0
	s_and_not1_b32 s29, s29, exec_lo
	s_mov_b32 s28, 0
	s_wait_loadcnt_dscnt 0x0
	flat_load_b32 v11, v[12:13] scope:SCOPE_SYS
	s_wait_loadcnt_dscnt 0x0
	global_inv scope:SCOPE_SYS
	v_cmp_eq_u32_e32 vcc_lo, 0, v11
	s_and_b32 s40, vcc_lo, exec_lo
	s_delay_alu instid0(SALU_CYCLE_1)
	s_or_b32 s29, s29, s40
	s_mov_b32 s41, -1
	s_or_b32 s27, s27, exec_lo
	s_wait_xcnt 0x0
	s_and_saveexec_b32 s40, s29
	s_cbranch_execz .LBB8_1109
.LBB8_1113:                             ;   in Loop: Header=BB8_1110 Depth=2
	s_sleep 1
	s_trap 2
	ds_load_b64 v[12:13], v0
	s_wait_dscnt 0x0
	s_and_not1_b32 s27, s27, exec_lo
	v_cmp_ge_u64_e32 vcc_lo, v[12:13], v[80:81]
	s_or_not1_b32 s41, vcc_lo, exec_lo
	s_branch .LBB8_1109
.LBB8_1114:                             ;   in Loop: Header=BB8_1058 Depth=1
	s_or_b32 exec_lo, exec_lo, s13
	s_and_saveexec_b32 s13, s26
	s_delay_alu instid0(SALU_CYCLE_1)
	s_xor_b32 s13, exec_lo, s13
	s_cbranch_execz .LBB8_1116
; %bb.1115:                             ;   in Loop: Header=BB8_1058 Depth=1
	ds_store_b32 v0, v73
	s_trap 2
.LBB8_1116:                             ;   in Loop: Header=BB8_1058 Depth=1
	s_or_b32 exec_lo, exec_lo, s12
	;;#ASMSTART
	s_wakeup
	;;#ASMEND
.LBB8_1117:                             ;   in Loop: Header=BB8_1058 Depth=1
	s_or_b32 exec_lo, exec_lo, s11
.LBB8_1118:                             ;   in Loop: Header=BB8_1058 Depth=1
	s_and_not1_saveexec_b32 s10, s10
	s_cbranch_execz .LBB8_1120
; %bb.1119:                             ;   in Loop: Header=BB8_1058 Depth=1
	global_wb scope:SCOPE_DEV
	s_wait_storecnt 0x0
	s_wait_loadcnt_dscnt 0x0
	global_inv scope:SCOPE_DEV
	s_barrier_signal -1
	s_barrier_wait -1
.LBB8_1120:                             ;   in Loop: Header=BB8_1058 Depth=1
	s_or_b32 exec_lo, exec_lo, s10
.LBB8_1121:                             ;   in Loop: Header=BB8_1058 Depth=1
	s_delay_alu instid0(SALU_CYCLE_1)
	s_or_b32 exec_lo, exec_lo, s7
	s_trap 2
	ds_load_b64 v[42:43], v0
	v_min_u32_e32 v41, v41, v40
	s_wait_dscnt 0x0
	v_cmp_eq_u64_e32 vcc_lo, 0, v[42:43]
	s_cbranch_vccnz .LBB8_1129
; %bb.1122:                             ;   in Loop: Header=BB8_1058 Depth=1
	s_trap 2
	ds_load_b64 v[44:45], v0
	s_wait_dscnt 0x0
	v_cmp_eq_u64_e32 vcc_lo, 0, v[44:45]
	s_cbranch_vccnz .LBB8_1129
; %bb.1123:                             ;   in Loop: Header=BB8_1058 Depth=1
	s_mov_b32 s7, -1
	s_and_saveexec_b32 s10, s5
	s_cbranch_execz .LBB8_1125
; %bb.1124:                             ;   in Loop: Header=BB8_1058 Depth=1
	ds_load_b32 v11, v0 offset:720
	s_wait_dscnt 0x0
	v_and_b32_e32 v11, 15, v11
	s_delay_alu instid0(VALU_DEP_1)
	v_cmp_eq_u32_e32 vcc_lo, 0, v11
	s_or_not1_b32 s7, vcc_lo, exec_lo
.LBB8_1125:                             ;   in Loop: Header=BB8_1058 Depth=1
	s_or_b32 exec_lo, exec_lo, s10
	s_and_saveexec_b32 s10, s6
	s_cbranch_execz .LBB8_1127
; %bb.1126:                             ;   in Loop: Header=BB8_1058 Depth=1
	ds_load_b32 v11, v0 offset:784
	s_wait_dscnt 0x0
	v_and_b32_e32 v11, 15, v11
	s_delay_alu instid0(VALU_DEP_1) | instskip(SKIP_3) | instid1(SALU_CYCLE_1)
	v_cmp_eq_u32_e32 vcc_lo, 0, v11
	s_and_b32 s11, s7, vcc_lo
	s_and_not1_b32 s7, s7, exec_lo
	s_and_b32 s11, s11, exec_lo
	s_or_b32 s7, s7, s11
.LBB8_1127:                             ;   in Loop: Header=BB8_1058 Depth=1
	s_or_b32 exec_lo, exec_lo, s10
	s_xor_b32 s7, s7, -1
	s_mov_b32 s10, -1
	v_cndmask_b32_e64 v11, 0, 1, s7
	v_cmp_eq_u32_e64 s7, 0, v10
	s_delay_alu instid0(VALU_DEP_2)
	v_cmp_ne_u32_e32 vcc_lo, 0, v11
	s_cbranch_vccz .LBB8_1130
; %bb.1128:                             ;   in Loop: Header=BB8_1058 Depth=1
	s_mov_b32 s10, 0
	s_mov_b32 s26, -1
	s_branch .LBB8_1131
.LBB8_1129:                             ;   in Loop: Header=BB8_1058 Depth=1
	s_mov_b32 s7, 0
	s_and_saveexec_b32 s10, s2
	s_cbranch_execnz .LBB8_1979
	s_branch .LBB8_1997
.LBB8_1130:                             ;   in Loop: Header=BB8_1058 Depth=1
	s_mov_b32 s26, 0
.LBB8_1131:                             ;   in Loop: Header=BB8_1058 Depth=1
	v_dual_cndmask_b32 v86, 0, v41, s7 :: v_dual_mov_b32 v20, 0
	s_and_not1_b32 vcc_lo, exec_lo, s10
	s_delay_alu instid0(VALU_DEP_1)
	v_lshlrev_b32_e32 v74, 1, v86
	s_cbranch_vccnz .LBB8_1395
; %bb.1132:                             ;   in Loop: Header=BB8_1058 Depth=1
	v_lshrrev_b32_e32 v75, 9, v86
	v_add_nc_u64_e32 v[46:47], v[44:45], v[102:103]
	s_mov_b32 s10, 0
	s_mov_b32 s7, exec_lo
                                        ; implicit-def: $vgpr32_vgpr33
                                        ; implicit-def: $vgpr18_vgpr19
                                        ; implicit-def: $vgpr14_vgpr15
                                        ; implicit-def: $vgpr10_vgpr11
	s_delay_alu instid0(VALU_DEP_2) | instskip(NEXT) | instid1(VALU_DEP_1)
	v_sub_nc_u32_e32 v77, v75, v63
	v_cmpx_lt_i32_e32 0, v77
	s_cbranch_execz .LBB8_1397
; %bb.1133:                             ;   in Loop: Header=BB8_1058 Depth=1
	s_trap 2
	ds_load_b64 v[10:11], v0
	ds_load_b32 v12, v0
	v_add_nc_u64_e32 v[56:57], v[42:43], v[102:103]
	s_mov_b32 s12, 0
                                        ; implicit-def: $sgpr11
                                        ; implicit-def: $vgpr32_vgpr33
                                        ; implicit-def: $vgpr18_vgpr19
                                        ; implicit-def: $vgpr14_vgpr15
	s_wait_dscnt 0x1
	v_add_nc_u64_e32 v[58:59], v[10:11], v[102:103]
	s_wait_dscnt 0x0
	v_lshlrev_b32_e32 v76, 16, v12
                                        ; implicit-def: $vgpr10_vgpr11
	s_branch .LBB8_1135
.LBB8_1134:                             ;   in Loop: Header=BB8_1135 Depth=2
	s_or_b32 exec_lo, exec_lo, s13
	v_dual_lshrrev_b32 v37, 16, v39 :: v_dual_lshrrev_b32 v36, 16, v36
	v_dual_lshrrev_b32 v39, 16, v91 :: v_dual_lshrrev_b32 v48, 16, v89
	v_lshrrev_b32_e32 v38, 16, v38
	s_delay_alu instid0(VALU_DEP_3) | instskip(NEXT) | instid1(VALU_DEP_4)
	v_and_or_b32 v27, 0xffff0000, v27, v37
	v_and_or_b32 v26, 0xffff0000, v26, v36
	s_delay_alu instid0(VALU_DEP_4) | instskip(SKIP_3) | instid1(VALU_DEP_3)
	v_and_or_b32 v28, 0xffff0000, v28, v39
	v_dual_lshrrev_b32 v36, 16, v51 :: v_dual_lshrrev_b32 v39, 16, v49
	v_and_or_b32 v29, 0xffff0000, v29, v48
	v_dual_cndmask_b32 v48, 0, v84, s12 :: v_dual_lshrrev_b32 v37, 16, v79
	v_and_or_b32 v23, 0xffff0000, v23, v36
	s_delay_alu instid0(VALU_DEP_4) | instskip(NEXT) | instid1(VALU_DEP_3)
	v_and_or_b32 v24, 0xffff0000, v24, v39
	v_dual_cndmask_b32 v39, 0, v113, s12 :: v_dual_sub_nc_u32 v77, v77, v48
	v_add_nc_u64_e32 v[48:49], v[58:59], v[96:97]
	v_and_or_b32 v22, 0xffff0000, v22, v37
	v_and_or_b32 v25, 0xffff0000, v25, v38
	v_add_nc_u64_e32 v[36:37], v[56:57], v[96:97]
	v_cndmask_b32_e64 v38, 0x400, v112, s12
	s_clause 0x1
	global_store_b128 v[46:47], v[26:29], off th:TH_STORE_NT
	global_store_b128 v[46:47], v[22:25], off offset:512 th:TH_STORE_NT
	v_cndmask_b32_e64 v59, v59, v49, s12
	v_cmp_gt_i32_e32 vcc_lo, 1, v77
	s_wait_xcnt 0x0
	v_add_nc_u64_e32 v[46:47], v[46:47], v[38:39]
	v_dual_cndmask_b32 v57, v57, v37, s12 :: v_dual_cndmask_b32 v56, v56, v36, s12
	v_cndmask_b32_e64 v58, v58, v48, s12
	s_or_b32 s10, vcc_lo, s10
	s_and_not1_b32 s11, s11, exec_lo
	s_and_b32 s13, s12, exec_lo
	s_delay_alu instid0(SALU_CYCLE_1)
	s_or_b32 s11, s11, s13
	s_and_not1_b32 exec_lo, exec_lo, s10
	s_cbranch_execz .LBB8_1396
.LBB8_1135:                             ;   Parent Loop BB8_1058 Depth=1
                                        ; =>  This Inner Loop Header: Depth=2
	s_clause 0x1
	global_load_b128 v[48:51], v[56:57], off th:TH_LOAD_NT
	global_load_b128 v[36:39], v[56:57], off offset:512 th:TH_LOAD_NT
	s_clause 0x1
	global_load_b128 v[26:29], v[58:59], off th:TH_LOAD_NT
	global_load_b128 v[22:25], v[58:59], off offset:512 th:TH_LOAD_NT
	s_wait_xcnt 0x0
	s_and_saveexec_b32 s13, s12
	s_cbranch_execz .LBB8_1265
; %bb.1136:                             ;   in Loop: Header=BB8_1135 Depth=2
	v_lshlrev_b32_e32 v78, 16, v32
	s_mov_b32 s12, exec_lo
                                        ; implicit-def: $vgpr95
	s_delay_alu instid0(VALU_DEP_1) | instskip(NEXT) | instid1(VALU_DEP_1)
	v_mul_f32_e32 v78, v76, v78
	v_and_b32_e32 v79, 0x7f800000, v78
	s_delay_alu instid0(VALU_DEP_1)
	v_cmpx_ne_u32_e32 0x7f800000, v79
	s_xor_b32 s12, exec_lo, s12
; %bb.1137:                             ;   in Loop: Header=BB8_1135 Depth=2
	v_bfe_u32 v79, v78, 16, 1
	s_delay_alu instid0(VALU_DEP_1)
	v_add3_u32 v95, v78, v79, 0x7fff
                                        ; implicit-def: $vgpr78
; %bb.1138:                             ;   in Loop: Header=BB8_1135 Depth=2
	s_and_not1_saveexec_b32 s12, s12
; %bb.1139:                             ;   in Loop: Header=BB8_1135 Depth=2
	v_and_b32_e32 v79, 0xffff, v78
	v_or_b32_e32 v88, 0x10000, v78
	s_delay_alu instid0(VALU_DEP_2) | instskip(NEXT) | instid1(VALU_DEP_2)
	v_cmp_eq_u32_e32 vcc_lo, 0, v79
	v_cndmask_b32_e32 v95, v88, v78, vcc_lo
; %bb.1140:                             ;   in Loop: Header=BB8_1135 Depth=2
	s_or_b32 exec_lo, exec_lo, s12
	v_and_b32_e32 v32, 0xffff0000, v32
	s_mov_b32 s12, exec_lo
                                        ; implicit-def: $vgpr93
	s_delay_alu instid0(VALU_DEP_1) | instskip(NEXT) | instid1(VALU_DEP_1)
	v_mul_f32_e32 v32, v76, v32
	v_and_b32_e32 v78, 0x7f800000, v32
	s_delay_alu instid0(VALU_DEP_1)
	v_cmpx_ne_u32_e32 0x7f800000, v78
	s_xor_b32 s12, exec_lo, s12
; %bb.1141:                             ;   in Loop: Header=BB8_1135 Depth=2
	v_bfe_u32 v78, v32, 16, 1
	s_delay_alu instid0(VALU_DEP_1)
	v_add3_u32 v93, v32, v78, 0x7fff
                                        ; implicit-def: $vgpr32
; %bb.1142:                             ;   in Loop: Header=BB8_1135 Depth=2
	s_and_not1_saveexec_b32 s12, s12
; %bb.1143:                             ;   in Loop: Header=BB8_1135 Depth=2
	v_and_b32_e32 v78, 0xffff, v32
	v_or_b32_e32 v79, 0x10000, v32
	s_delay_alu instid0(VALU_DEP_2) | instskip(NEXT) | instid1(VALU_DEP_2)
	v_cmp_eq_u32_e32 vcc_lo, 0, v78
	v_cndmask_b32_e32 v93, v79, v32, vcc_lo
; %bb.1144:                             ;   in Loop: Header=BB8_1135 Depth=2
	s_or_b32 exec_lo, exec_lo, s12
	v_lshlrev_b32_e32 v32, 16, v33
	s_mov_b32 s12, exec_lo
                                        ; implicit-def: $vgpr94
	s_delay_alu instid0(VALU_DEP_1) | instskip(NEXT) | instid1(VALU_DEP_1)
	v_mul_f32_e32 v32, v76, v32
	v_and_b32_e32 v78, 0x7f800000, v32
	s_delay_alu instid0(VALU_DEP_1)
	v_cmpx_ne_u32_e32 0x7f800000, v78
	s_xor_b32 s12, exec_lo, s12
; %bb.1145:                             ;   in Loop: Header=BB8_1135 Depth=2
	v_bfe_u32 v78, v32, 16, 1
	s_delay_alu instid0(VALU_DEP_1)
	v_add3_u32 v94, v32, v78, 0x7fff
                                        ; implicit-def: $vgpr32
; %bb.1146:                             ;   in Loop: Header=BB8_1135 Depth=2
	s_and_not1_saveexec_b32 s12, s12
; %bb.1147:                             ;   in Loop: Header=BB8_1135 Depth=2
	v_and_b32_e32 v78, 0xffff, v32
	v_or_b32_e32 v79, 0x10000, v32
	s_delay_alu instid0(VALU_DEP_2) | instskip(NEXT) | instid1(VALU_DEP_2)
	v_cmp_eq_u32_e32 vcc_lo, 0, v78
	v_cndmask_b32_e32 v94, v79, v32, vcc_lo
; %bb.1148:                             ;   in Loop: Header=BB8_1135 Depth=2
	s_or_b32 exec_lo, exec_lo, s12
	v_and_b32_e32 v32, 0xffff0000, v33
	s_mov_b32 s12, exec_lo
                                        ; implicit-def: $vgpr91
	s_delay_alu instid0(VALU_DEP_1) | instskip(NEXT) | instid1(VALU_DEP_1)
	v_mul_f32_e32 v32, v76, v32
	v_and_b32_e32 v33, 0x7f800000, v32
	s_delay_alu instid0(VALU_DEP_1)
	v_cmpx_ne_u32_e32 0x7f800000, v33
	s_xor_b32 s12, exec_lo, s12
; %bb.1149:                             ;   in Loop: Header=BB8_1135 Depth=2
	v_bfe_u32 v33, v32, 16, 1
	s_delay_alu instid0(VALU_DEP_1)
	v_add3_u32 v91, v32, v33, 0x7fff
                                        ; implicit-def: $vgpr32
; %bb.1150:                             ;   in Loop: Header=BB8_1135 Depth=2
	s_and_not1_saveexec_b32 s12, s12
; %bb.1151:                             ;   in Loop: Header=BB8_1135 Depth=2
	v_and_b32_e32 v33, 0xffff, v32
	v_or_b32_e32 v78, 0x10000, v32
	s_delay_alu instid0(VALU_DEP_2) | instskip(NEXT) | instid1(VALU_DEP_2)
	v_cmp_eq_u32_e32 vcc_lo, 0, v33
	v_cndmask_b32_e32 v91, v78, v32, vcc_lo
; %bb.1152:                             ;   in Loop: Header=BB8_1135 Depth=2
	s_or_b32 exec_lo, exec_lo, s12
	v_lshlrev_b32_e32 v32, 16, v34
	s_mov_b32 s12, exec_lo
                                        ; implicit-def: $vgpr92
	s_delay_alu instid0(VALU_DEP_1) | instskip(NEXT) | instid1(VALU_DEP_1)
	v_mul_f32_e32 v32, v76, v32
	v_and_b32_e32 v33, 0x7f800000, v32
	s_delay_alu instid0(VALU_DEP_1)
	v_cmpx_ne_u32_e32 0x7f800000, v33
	s_xor_b32 s12, exec_lo, s12
; %bb.1153:                             ;   in Loop: Header=BB8_1135 Depth=2
	v_bfe_u32 v33, v32, 16, 1
	s_delay_alu instid0(VALU_DEP_1)
	v_add3_u32 v92, v32, v33, 0x7fff
                                        ; implicit-def: $vgpr32
; %bb.1154:                             ;   in Loop: Header=BB8_1135 Depth=2
	s_and_not1_saveexec_b32 s12, s12
; %bb.1155:                             ;   in Loop: Header=BB8_1135 Depth=2
	v_and_b32_e32 v33, 0xffff, v32
	v_or_b32_e32 v78, 0x10000, v32
	s_delay_alu instid0(VALU_DEP_2) | instskip(NEXT) | instid1(VALU_DEP_2)
	v_cmp_eq_u32_e32 vcc_lo, 0, v33
	v_cndmask_b32_e32 v92, v78, v32, vcc_lo
; %bb.1156:                             ;   in Loop: Header=BB8_1135 Depth=2
	s_or_b32 exec_lo, exec_lo, s12
	v_and_b32_e32 v32, 0xffff0000, v34
	s_mov_b32 s12, exec_lo
                                        ; implicit-def: $vgpr89
	s_delay_alu instid0(VALU_DEP_1) | instskip(NEXT) | instid1(VALU_DEP_1)
	v_mul_f32_e32 v32, v76, v32
	v_and_b32_e32 v33, 0x7f800000, v32
	s_delay_alu instid0(VALU_DEP_1)
	v_cmpx_ne_u32_e32 0x7f800000, v33
	s_xor_b32 s12, exec_lo, s12
; %bb.1157:                             ;   in Loop: Header=BB8_1135 Depth=2
	v_bfe_u32 v33, v32, 16, 1
	s_delay_alu instid0(VALU_DEP_1)
	v_add3_u32 v89, v32, v33, 0x7fff
                                        ; implicit-def: $vgpr32
; %bb.1158:                             ;   in Loop: Header=BB8_1135 Depth=2
	s_and_not1_saveexec_b32 s12, s12
; %bb.1159:                             ;   in Loop: Header=BB8_1135 Depth=2
	v_and_b32_e32 v33, 0xffff, v32
	v_or_b32_e32 v34, 0x10000, v32
	s_delay_alu instid0(VALU_DEP_2) | instskip(NEXT) | instid1(VALU_DEP_2)
	v_cmp_eq_u32_e32 vcc_lo, 0, v33
	v_cndmask_b32_e32 v89, v34, v32, vcc_lo
; %bb.1160:                             ;   in Loop: Header=BB8_1135 Depth=2
	s_or_b32 exec_lo, exec_lo, s12
	v_lshlrev_b32_e32 v32, 16, v35
	s_mov_b32 s12, exec_lo
                                        ; implicit-def: $vgpr90
	s_delay_alu instid0(VALU_DEP_1) | instskip(NEXT) | instid1(VALU_DEP_1)
	v_mul_f32_e32 v32, v76, v32
	v_and_b32_e32 v33, 0x7f800000, v32
	s_delay_alu instid0(VALU_DEP_1)
	v_cmpx_ne_u32_e32 0x7f800000, v33
	s_xor_b32 s12, exec_lo, s12
; %bb.1161:                             ;   in Loop: Header=BB8_1135 Depth=2
	v_bfe_u32 v33, v32, 16, 1
	s_delay_alu instid0(VALU_DEP_1)
	v_add3_u32 v90, v32, v33, 0x7fff
                                        ; implicit-def: $vgpr32
; %bb.1162:                             ;   in Loop: Header=BB8_1135 Depth=2
	s_and_not1_saveexec_b32 s12, s12
; %bb.1163:                             ;   in Loop: Header=BB8_1135 Depth=2
	v_and_b32_e32 v33, 0xffff, v32
	v_or_b32_e32 v34, 0x10000, v32
	s_delay_alu instid0(VALU_DEP_2) | instskip(NEXT) | instid1(VALU_DEP_2)
	v_cmp_eq_u32_e32 vcc_lo, 0, v33
	v_cndmask_b32_e32 v90, v34, v32, vcc_lo
; %bb.1164:                             ;   in Loop: Header=BB8_1135 Depth=2
	s_or_b32 exec_lo, exec_lo, s12
	v_and_b32_e32 v32, 0xffff0000, v35
	s_mov_b32 s12, exec_lo
                                        ; implicit-def: $vgpr79
	s_delay_alu instid0(VALU_DEP_1) | instskip(NEXT) | instid1(VALU_DEP_1)
	v_mul_f32_e32 v32, v76, v32
	v_and_b32_e32 v33, 0x7f800000, v32
	s_delay_alu instid0(VALU_DEP_1)
	v_cmpx_ne_u32_e32 0x7f800000, v33
	s_xor_b32 s12, exec_lo, s12
; %bb.1165:                             ;   in Loop: Header=BB8_1135 Depth=2
	v_bfe_u32 v33, v32, 16, 1
	s_delay_alu instid0(VALU_DEP_1)
	v_add3_u32 v79, v32, v33, 0x7fff
                                        ; implicit-def: $vgpr32
; %bb.1166:                             ;   in Loop: Header=BB8_1135 Depth=2
	s_and_not1_saveexec_b32 s12, s12
; %bb.1167:                             ;   in Loop: Header=BB8_1135 Depth=2
	v_and_b32_e32 v33, 0xffff, v32
	v_or_b32_e32 v34, 0x10000, v32
	s_delay_alu instid0(VALU_DEP_2) | instskip(NEXT) | instid1(VALU_DEP_2)
	v_cmp_eq_u32_e32 vcc_lo, 0, v33
	v_cndmask_b32_e32 v79, v34, v32, vcc_lo
; %bb.1168:                             ;   in Loop: Header=BB8_1135 Depth=2
	s_or_b32 exec_lo, exec_lo, s12
	v_lshlrev_b32_e32 v32, 16, v18
	s_mov_b32 s12, exec_lo
                                        ; implicit-def: $vgpr88
	s_delay_alu instid0(VALU_DEP_1) | instskip(NEXT) | instid1(VALU_DEP_1)
	v_mul_f32_e32 v32, v76, v32
	v_and_b32_e32 v33, 0x7f800000, v32
	s_delay_alu instid0(VALU_DEP_1)
	v_cmpx_ne_u32_e32 0x7f800000, v33
	s_xor_b32 s12, exec_lo, s12
; %bb.1169:                             ;   in Loop: Header=BB8_1135 Depth=2
	v_bfe_u32 v33, v32, 16, 1
	s_delay_alu instid0(VALU_DEP_1)
	v_add3_u32 v88, v32, v33, 0x7fff
                                        ; implicit-def: $vgpr32
; %bb.1170:                             ;   in Loop: Header=BB8_1135 Depth=2
	s_and_not1_saveexec_b32 s12, s12
; %bb.1171:                             ;   in Loop: Header=BB8_1135 Depth=2
	v_and_b32_e32 v33, 0xffff, v32
	v_or_b32_e32 v34, 0x10000, v32
	s_delay_alu instid0(VALU_DEP_2) | instskip(NEXT) | instid1(VALU_DEP_2)
	v_cmp_eq_u32_e32 vcc_lo, 0, v33
	v_cndmask_b32_e32 v88, v34, v32, vcc_lo
; %bb.1172:                             ;   in Loop: Header=BB8_1135 Depth=2
	s_or_b32 exec_lo, exec_lo, s12
	v_and_b32_e32 v18, 0xffff0000, v18
	s_mov_b32 s12, exec_lo
                                        ; implicit-def: $vgpr35
	s_delay_alu instid0(VALU_DEP_1) | instskip(NEXT) | instid1(VALU_DEP_1)
	v_mul_f32_e32 v18, v76, v18
	v_and_b32_e32 v32, 0x7f800000, v18
	s_delay_alu instid0(VALU_DEP_1)
	v_cmpx_ne_u32_e32 0x7f800000, v32
	s_xor_b32 s12, exec_lo, s12
; %bb.1173:                             ;   in Loop: Header=BB8_1135 Depth=2
	v_bfe_u32 v32, v18, 16, 1
	s_delay_alu instid0(VALU_DEP_1)
	v_add3_u32 v35, v18, v32, 0x7fff
                                        ; implicit-def: $vgpr18
; %bb.1174:                             ;   in Loop: Header=BB8_1135 Depth=2
	s_and_not1_saveexec_b32 s12, s12
; %bb.1175:                             ;   in Loop: Header=BB8_1135 Depth=2
	v_and_b32_e32 v32, 0xffff, v18
	v_or_b32_e32 v33, 0x10000, v18
	s_delay_alu instid0(VALU_DEP_2) | instskip(NEXT) | instid1(VALU_DEP_2)
	v_cmp_eq_u32_e32 vcc_lo, 0, v32
	v_cndmask_b32_e32 v35, v33, v18, vcc_lo
; %bb.1176:                             ;   in Loop: Header=BB8_1135 Depth=2
	s_or_b32 exec_lo, exec_lo, s12
	v_lshlrev_b32_e32 v18, 16, v19
	s_mov_b32 s12, exec_lo
                                        ; implicit-def: $vgpr78
	s_delay_alu instid0(VALU_DEP_1) | instskip(NEXT) | instid1(VALU_DEP_1)
	v_mul_f32_e32 v18, v76, v18
	v_and_b32_e32 v32, 0x7f800000, v18
	s_delay_alu instid0(VALU_DEP_1)
	v_cmpx_ne_u32_e32 0x7f800000, v32
	s_xor_b32 s12, exec_lo, s12
; %bb.1177:                             ;   in Loop: Header=BB8_1135 Depth=2
	v_bfe_u32 v32, v18, 16, 1
	s_delay_alu instid0(VALU_DEP_1)
	v_add3_u32 v78, v18, v32, 0x7fff
                                        ; implicit-def: $vgpr18
; %bb.1178:                             ;   in Loop: Header=BB8_1135 Depth=2
	s_and_not1_saveexec_b32 s12, s12
; %bb.1179:                             ;   in Loop: Header=BB8_1135 Depth=2
	v_and_b32_e32 v32, 0xffff, v18
	v_or_b32_e32 v33, 0x10000, v18
	s_delay_alu instid0(VALU_DEP_2) | instskip(NEXT) | instid1(VALU_DEP_2)
	v_cmp_eq_u32_e32 vcc_lo, 0, v32
	v_cndmask_b32_e32 v78, v33, v18, vcc_lo
; %bb.1180:                             ;   in Loop: Header=BB8_1135 Depth=2
	s_or_b32 exec_lo, exec_lo, s12
	v_and_b32_e32 v18, 0xffff0000, v19
	s_mov_b32 s12, exec_lo
                                        ; implicit-def: $vgpr33
	s_delay_alu instid0(VALU_DEP_1) | instskip(NEXT) | instid1(VALU_DEP_1)
	v_mul_f32_e32 v18, v76, v18
	v_and_b32_e32 v19, 0x7f800000, v18
	s_delay_alu instid0(VALU_DEP_1)
	v_cmpx_ne_u32_e32 0x7f800000, v19
	s_xor_b32 s12, exec_lo, s12
; %bb.1181:                             ;   in Loop: Header=BB8_1135 Depth=2
	v_bfe_u32 v19, v18, 16, 1
	s_delay_alu instid0(VALU_DEP_1)
	v_add3_u32 v33, v18, v19, 0x7fff
                                        ; implicit-def: $vgpr18
; %bb.1182:                             ;   in Loop: Header=BB8_1135 Depth=2
	s_and_not1_saveexec_b32 s12, s12
; %bb.1183:                             ;   in Loop: Header=BB8_1135 Depth=2
	v_and_b32_e32 v19, 0xffff, v18
	v_or_b32_e32 v32, 0x10000, v18
	s_delay_alu instid0(VALU_DEP_2) | instskip(NEXT) | instid1(VALU_DEP_2)
	v_cmp_eq_u32_e32 vcc_lo, 0, v19
	v_cndmask_b32_e32 v33, v32, v18, vcc_lo
; %bb.1184:                             ;   in Loop: Header=BB8_1135 Depth=2
	s_or_b32 exec_lo, exec_lo, s12
	v_lshlrev_b32_e32 v18, 16, v20
	s_mov_b32 s12, exec_lo
                                        ; implicit-def: $vgpr34
	s_delay_alu instid0(VALU_DEP_1) | instskip(NEXT) | instid1(VALU_DEP_1)
	v_mul_f32_e32 v18, v76, v18
	v_and_b32_e32 v19, 0x7f800000, v18
	s_delay_alu instid0(VALU_DEP_1)
	v_cmpx_ne_u32_e32 0x7f800000, v19
	s_xor_b32 s12, exec_lo, s12
; %bb.1185:                             ;   in Loop: Header=BB8_1135 Depth=2
	v_bfe_u32 v19, v18, 16, 1
	s_delay_alu instid0(VALU_DEP_1)
	v_add3_u32 v34, v18, v19, 0x7fff
                                        ; implicit-def: $vgpr18
; %bb.1186:                             ;   in Loop: Header=BB8_1135 Depth=2
	s_and_not1_saveexec_b32 s12, s12
; %bb.1187:                             ;   in Loop: Header=BB8_1135 Depth=2
	v_and_b32_e32 v19, 0xffff, v18
	v_or_b32_e32 v32, 0x10000, v18
	s_delay_alu instid0(VALU_DEP_2) | instskip(NEXT) | instid1(VALU_DEP_2)
	v_cmp_eq_u32_e32 vcc_lo, 0, v19
	v_cndmask_b32_e32 v34, v32, v18, vcc_lo
; %bb.1188:                             ;   in Loop: Header=BB8_1135 Depth=2
	s_or_b32 exec_lo, exec_lo, s12
	v_and_b32_e32 v18, 0xffff0000, v20
	s_mov_b32 s12, exec_lo
                                        ; implicit-def: $vgpr20
	s_delay_alu instid0(VALU_DEP_1) | instskip(NEXT) | instid1(VALU_DEP_1)
	v_mul_f32_e32 v18, v76, v18
	v_and_b32_e32 v19, 0x7f800000, v18
	s_delay_alu instid0(VALU_DEP_1)
	v_cmpx_ne_u32_e32 0x7f800000, v19
	s_xor_b32 s12, exec_lo, s12
; %bb.1189:                             ;   in Loop: Header=BB8_1135 Depth=2
	v_bfe_u32 v19, v18, 16, 1
	s_delay_alu instid0(VALU_DEP_1)
	v_add3_u32 v20, v18, v19, 0x7fff
                                        ; implicit-def: $vgpr18
; %bb.1190:                             ;   in Loop: Header=BB8_1135 Depth=2
	s_and_not1_saveexec_b32 s12, s12
; %bb.1191:                             ;   in Loop: Header=BB8_1135 Depth=2
	v_and_b32_e32 v19, 0xffff, v18
	v_or_b32_e32 v20, 0x10000, v18
	s_delay_alu instid0(VALU_DEP_2) | instskip(NEXT) | instid1(VALU_DEP_2)
	v_cmp_eq_u32_e32 vcc_lo, 0, v19
	v_cndmask_b32_e32 v20, v20, v18, vcc_lo
; %bb.1192:                             ;   in Loop: Header=BB8_1135 Depth=2
	s_or_b32 exec_lo, exec_lo, s12
	v_lshlrev_b32_e32 v18, 16, v21
	s_mov_b32 s12, exec_lo
                                        ; implicit-def: $vgpr32
	s_delay_alu instid0(VALU_DEP_1) | instskip(NEXT) | instid1(VALU_DEP_1)
	v_mul_f32_e32 v18, v76, v18
	v_and_b32_e32 v19, 0x7f800000, v18
	s_delay_alu instid0(VALU_DEP_1)
	v_cmpx_ne_u32_e32 0x7f800000, v19
	s_xor_b32 s12, exec_lo, s12
; %bb.1193:                             ;   in Loop: Header=BB8_1135 Depth=2
	v_bfe_u32 v19, v18, 16, 1
	s_delay_alu instid0(VALU_DEP_1)
	v_add3_u32 v32, v18, v19, 0x7fff
                                        ; implicit-def: $vgpr18
; %bb.1194:                             ;   in Loop: Header=BB8_1135 Depth=2
	s_and_not1_saveexec_b32 s12, s12
; %bb.1195:                             ;   in Loop: Header=BB8_1135 Depth=2
	v_and_b32_e32 v19, 0xffff, v18
	v_or_b32_e32 v32, 0x10000, v18
	s_delay_alu instid0(VALU_DEP_2) | instskip(NEXT) | instid1(VALU_DEP_2)
	v_cmp_eq_u32_e32 vcc_lo, 0, v19
	v_cndmask_b32_e32 v32, v32, v18, vcc_lo
; %bb.1196:                             ;   in Loop: Header=BB8_1135 Depth=2
	s_or_b32 exec_lo, exec_lo, s12
	v_and_b32_e32 v18, 0xffff0000, v21
	s_delay_alu instid0(VALU_DEP_1) | instskip(NEXT) | instid1(VALU_DEP_1)
	v_mul_f32_e32 v18, v76, v18
	v_and_b32_e32 v19, 0x7f800000, v18
	s_delay_alu instid0(VALU_DEP_1) | instskip(SKIP_1) | instid1(SALU_CYCLE_1)
	v_cmp_ne_u32_e32 vcc_lo, 0x7f800000, v19
                                        ; implicit-def: $vgpr19
	s_and_saveexec_b32 s12, vcc_lo
	s_xor_b32 s12, exec_lo, s12
; %bb.1197:                             ;   in Loop: Header=BB8_1135 Depth=2
	v_bfe_u32 v19, v18, 16, 1
	s_delay_alu instid0(VALU_DEP_1)
	v_add3_u32 v19, v18, v19, 0x7fff
                                        ; implicit-def: $vgpr18
; %bb.1198:                             ;   in Loop: Header=BB8_1135 Depth=2
	s_and_not1_saveexec_b32 s12, s12
; %bb.1199:                             ;   in Loop: Header=BB8_1135 Depth=2
	v_and_b32_e32 v19, 0xffff, v18
	v_or_b32_e32 v21, 0x10000, v18
	s_delay_alu instid0(VALU_DEP_2) | instskip(NEXT) | instid1(VALU_DEP_2)
	v_cmp_eq_u32_e32 vcc_lo, 0, v19
	v_cndmask_b32_e32 v19, v21, v18, vcc_lo
; %bb.1200:                             ;   in Loop: Header=BB8_1135 Depth=2
	s_or_b32 exec_lo, exec_lo, s12
	v_and_b32_e32 v18, 0xffff0000, v95
	v_lshlrev_b32_e32 v21, 16, v14
	s_delay_alu instid0(VALU_DEP_1) | instskip(NEXT) | instid1(VALU_DEP_1)
	v_add_f32_e32 v21, v21, v18
	v_and_b32_e32 v18, 0x7f800000, v21
	s_delay_alu instid0(VALU_DEP_1) | instskip(SKIP_1) | instid1(SALU_CYCLE_1)
	v_cmp_ne_u32_e32 vcc_lo, 0x7f800000, v18
                                        ; implicit-def: $vgpr18
	s_and_saveexec_b32 s12, vcc_lo
	s_xor_b32 s12, exec_lo, s12
; %bb.1201:                             ;   in Loop: Header=BB8_1135 Depth=2
	v_bfe_u32 v18, v21, 16, 1
	s_delay_alu instid0(VALU_DEP_1)
	v_add3_u32 v18, v21, v18, 0x7fff
                                        ; implicit-def: $vgpr21
; %bb.1202:                             ;   in Loop: Header=BB8_1135 Depth=2
	s_and_not1_saveexec_b32 s12, s12
; %bb.1203:                             ;   in Loop: Header=BB8_1135 Depth=2
	v_and_b32_e32 v18, 0xffff, v21
	v_or_b32_e32 v95, 0x10000, v21
	s_delay_alu instid0(VALU_DEP_2) | instskip(NEXT) | instid1(VALU_DEP_2)
	v_cmp_eq_u32_e32 vcc_lo, 0, v18
	v_cndmask_b32_e32 v18, v95, v21, vcc_lo
; %bb.1204:                             ;   in Loop: Header=BB8_1135 Depth=2
	s_or_b32 exec_lo, exec_lo, s12
	v_and_b32_e32 v21, 0xffff0000, v14
	v_and_b32_e32 v93, 0xffff0000, v93
	s_delay_alu instid0(VALU_DEP_1) | instskip(NEXT) | instid1(VALU_DEP_1)
	v_add_f32_e32 v93, v21, v93
	v_and_b32_e32 v21, 0x7f800000, v93
	s_delay_alu instid0(VALU_DEP_1) | instskip(SKIP_1) | instid1(SALU_CYCLE_1)
	v_cmp_ne_u32_e32 vcc_lo, 0x7f800000, v21
                                        ; implicit-def: $vgpr21
	s_and_saveexec_b32 s12, vcc_lo
	s_xor_b32 s12, exec_lo, s12
; %bb.1205:                             ;   in Loop: Header=BB8_1135 Depth=2
	v_bfe_u32 v21, v93, 16, 1
	s_delay_alu instid0(VALU_DEP_1)
	v_add3_u32 v21, v93, v21, 0x7fff
                                        ; implicit-def: $vgpr93
; %bb.1206:                             ;   in Loop: Header=BB8_1135 Depth=2
	s_and_not1_saveexec_b32 s12, s12
; %bb.1207:                             ;   in Loop: Header=BB8_1135 Depth=2
	v_and_b32_e32 v21, 0xffff, v93
	v_or_b32_e32 v95, 0x10000, v93
	s_delay_alu instid0(VALU_DEP_2) | instskip(NEXT) | instid1(VALU_DEP_2)
	v_cmp_eq_u32_e32 vcc_lo, 0, v21
	v_cndmask_b32_e32 v21, v95, v93, vcc_lo
; %bb.1208:                             ;   in Loop: Header=BB8_1135 Depth=2
	s_or_b32 exec_lo, exec_lo, s12
	v_and_b32_e32 v93, 0xffff0000, v94
	v_lshlrev_b32_e32 v94, 16, v15
	s_delay_alu instid0(VALU_DEP_1) | instskip(NEXT) | instid1(VALU_DEP_1)
	v_add_f32_e32 v94, v94, v93
	v_and_b32_e32 v93, 0x7f800000, v94
	s_delay_alu instid0(VALU_DEP_1) | instskip(SKIP_1) | instid1(SALU_CYCLE_1)
	v_cmp_ne_u32_e32 vcc_lo, 0x7f800000, v93
                                        ; implicit-def: $vgpr93
	s_and_saveexec_b32 s12, vcc_lo
	s_xor_b32 s12, exec_lo, s12
; %bb.1209:                             ;   in Loop: Header=BB8_1135 Depth=2
	v_bfe_u32 v93, v94, 16, 1
	s_delay_alu instid0(VALU_DEP_1)
	v_add3_u32 v93, v94, v93, 0x7fff
                                        ; implicit-def: $vgpr94
; %bb.1210:                             ;   in Loop: Header=BB8_1135 Depth=2
	s_and_not1_saveexec_b32 s12, s12
; %bb.1211:                             ;   in Loop: Header=BB8_1135 Depth=2
	v_and_b32_e32 v93, 0xffff, v94
	v_or_b32_e32 v95, 0x10000, v94
	s_delay_alu instid0(VALU_DEP_2) | instskip(NEXT) | instid1(VALU_DEP_2)
	v_cmp_eq_u32_e32 vcc_lo, 0, v93
	v_cndmask_b32_e32 v93, v95, v94, vcc_lo
; %bb.1212:                             ;   in Loop: Header=BB8_1135 Depth=2
	s_or_b32 exec_lo, exec_lo, s12
	v_and_b32_e32 v94, 0xffff0000, v15
	v_and_b32_e32 v91, 0xffff0000, v91
	s_delay_alu instid0(VALU_DEP_1) | instskip(NEXT) | instid1(VALU_DEP_1)
	v_add_f32_e32 v94, v94, v91
	v_and_b32_e32 v91, 0x7f800000, v94
	s_delay_alu instid0(VALU_DEP_1) | instskip(SKIP_1) | instid1(SALU_CYCLE_1)
	v_cmp_ne_u32_e32 vcc_lo, 0x7f800000, v91
                                        ; implicit-def: $vgpr91
	s_and_saveexec_b32 s12, vcc_lo
	s_xor_b32 s12, exec_lo, s12
; %bb.1213:                             ;   in Loop: Header=BB8_1135 Depth=2
	v_bfe_u32 v91, v94, 16, 1
	s_delay_alu instid0(VALU_DEP_1)
	v_add3_u32 v91, v94, v91, 0x7fff
                                        ; implicit-def: $vgpr94
; %bb.1214:                             ;   in Loop: Header=BB8_1135 Depth=2
	s_and_not1_saveexec_b32 s12, s12
; %bb.1215:                             ;   in Loop: Header=BB8_1135 Depth=2
	v_and_b32_e32 v91, 0xffff, v94
	v_or_b32_e32 v95, 0x10000, v94
	s_delay_alu instid0(VALU_DEP_2) | instskip(NEXT) | instid1(VALU_DEP_2)
	v_cmp_eq_u32_e32 vcc_lo, 0, v91
	v_cndmask_b32_e32 v91, v95, v94, vcc_lo
; %bb.1216:                             ;   in Loop: Header=BB8_1135 Depth=2
	s_or_b32 exec_lo, exec_lo, s12
	v_and_b32_e32 v92, 0xffff0000, v92
	v_lshlrev_b32_e32 v94, 16, v16
	s_delay_alu instid0(VALU_DEP_1) | instskip(NEXT) | instid1(VALU_DEP_1)
	v_add_f32_e32 v94, v94, v92
	v_and_b32_e32 v92, 0x7f800000, v94
	s_delay_alu instid0(VALU_DEP_1) | instskip(SKIP_1) | instid1(SALU_CYCLE_1)
	v_cmp_ne_u32_e32 vcc_lo, 0x7f800000, v92
                                        ; implicit-def: $vgpr92
	s_and_saveexec_b32 s12, vcc_lo
	s_xor_b32 s12, exec_lo, s12
; %bb.1217:                             ;   in Loop: Header=BB8_1135 Depth=2
	v_bfe_u32 v92, v94, 16, 1
	s_delay_alu instid0(VALU_DEP_1)
	v_add3_u32 v92, v94, v92, 0x7fff
                                        ; implicit-def: $vgpr94
; %bb.1218:                             ;   in Loop: Header=BB8_1135 Depth=2
	s_and_not1_saveexec_b32 s12, s12
; %bb.1219:                             ;   in Loop: Header=BB8_1135 Depth=2
	v_and_b32_e32 v92, 0xffff, v94
	v_or_b32_e32 v95, 0x10000, v94
	s_delay_alu instid0(VALU_DEP_2) | instskip(NEXT) | instid1(VALU_DEP_2)
	v_cmp_eq_u32_e32 vcc_lo, 0, v92
	v_cndmask_b32_e32 v92, v95, v94, vcc_lo
; %bb.1220:                             ;   in Loop: Header=BB8_1135 Depth=2
	s_or_b32 exec_lo, exec_lo, s12
	v_and_b32_e32 v94, 0xffff0000, v16
	v_and_b32_e32 v89, 0xffff0000, v89
	s_delay_alu instid0(VALU_DEP_1) | instskip(NEXT) | instid1(VALU_DEP_1)
	v_add_f32_e32 v94, v94, v89
	v_and_b32_e32 v89, 0x7f800000, v94
	s_delay_alu instid0(VALU_DEP_1) | instskip(SKIP_1) | instid1(SALU_CYCLE_1)
	v_cmp_ne_u32_e32 vcc_lo, 0x7f800000, v89
                                        ; implicit-def: $vgpr89
	s_and_saveexec_b32 s12, vcc_lo
	s_xor_b32 s12, exec_lo, s12
; %bb.1221:                             ;   in Loop: Header=BB8_1135 Depth=2
	v_bfe_u32 v89, v94, 16, 1
	s_delay_alu instid0(VALU_DEP_1)
	v_add3_u32 v89, v94, v89, 0x7fff
                                        ; implicit-def: $vgpr94
; %bb.1222:                             ;   in Loop: Header=BB8_1135 Depth=2
	s_and_not1_saveexec_b32 s12, s12
; %bb.1223:                             ;   in Loop: Header=BB8_1135 Depth=2
	v_and_b32_e32 v89, 0xffff, v94
	v_or_b32_e32 v95, 0x10000, v94
	s_delay_alu instid0(VALU_DEP_2) | instskip(NEXT) | instid1(VALU_DEP_2)
	v_cmp_eq_u32_e32 vcc_lo, 0, v89
	v_cndmask_b32_e32 v89, v95, v94, vcc_lo
; %bb.1224:                             ;   in Loop: Header=BB8_1135 Depth=2
	s_or_b32 exec_lo, exec_lo, s12
	v_and_b32_e32 v90, 0xffff0000, v90
	v_lshlrev_b32_e32 v94, 16, v17
	s_delay_alu instid0(VALU_DEP_1) | instskip(NEXT) | instid1(VALU_DEP_1)
	v_add_f32_e32 v94, v94, v90
	v_and_b32_e32 v90, 0x7f800000, v94
	s_delay_alu instid0(VALU_DEP_1) | instskip(SKIP_1) | instid1(SALU_CYCLE_1)
	v_cmp_ne_u32_e32 vcc_lo, 0x7f800000, v90
                                        ; implicit-def: $vgpr90
	s_and_saveexec_b32 s12, vcc_lo
	s_xor_b32 s12, exec_lo, s12
; %bb.1225:                             ;   in Loop: Header=BB8_1135 Depth=2
	v_bfe_u32 v90, v94, 16, 1
	s_delay_alu instid0(VALU_DEP_1)
	v_add3_u32 v90, v94, v90, 0x7fff
                                        ; implicit-def: $vgpr94
; %bb.1226:                             ;   in Loop: Header=BB8_1135 Depth=2
	s_and_not1_saveexec_b32 s12, s12
; %bb.1227:                             ;   in Loop: Header=BB8_1135 Depth=2
	v_and_b32_e32 v90, 0xffff, v94
	v_or_b32_e32 v95, 0x10000, v94
	s_delay_alu instid0(VALU_DEP_2) | instskip(NEXT) | instid1(VALU_DEP_2)
	v_cmp_eq_u32_e32 vcc_lo, 0, v90
	v_cndmask_b32_e32 v90, v95, v94, vcc_lo
; %bb.1228:                             ;   in Loop: Header=BB8_1135 Depth=2
	s_or_b32 exec_lo, exec_lo, s12
	v_and_b32_e32 v94, 0xffff0000, v17
	v_and_b32_e32 v79, 0xffff0000, v79
	s_delay_alu instid0(VALU_DEP_1) | instskip(NEXT) | instid1(VALU_DEP_1)
	v_add_f32_e32 v94, v94, v79
	v_and_b32_e32 v79, 0x7f800000, v94
	s_delay_alu instid0(VALU_DEP_1) | instskip(SKIP_1) | instid1(SALU_CYCLE_1)
	v_cmp_ne_u32_e32 vcc_lo, 0x7f800000, v79
                                        ; implicit-def: $vgpr79
	s_and_saveexec_b32 s12, vcc_lo
	s_xor_b32 s12, exec_lo, s12
; %bb.1229:                             ;   in Loop: Header=BB8_1135 Depth=2
	v_bfe_u32 v79, v94, 16, 1
	s_delay_alu instid0(VALU_DEP_1)
	v_add3_u32 v79, v94, v79, 0x7fff
                                        ; implicit-def: $vgpr94
; %bb.1230:                             ;   in Loop: Header=BB8_1135 Depth=2
	s_and_not1_saveexec_b32 s12, s12
; %bb.1231:                             ;   in Loop: Header=BB8_1135 Depth=2
	v_and_b32_e32 v79, 0xffff, v94
	v_or_b32_e32 v95, 0x10000, v94
	s_delay_alu instid0(VALU_DEP_2) | instskip(NEXT) | instid1(VALU_DEP_2)
	v_cmp_eq_u32_e32 vcc_lo, 0, v79
	v_cndmask_b32_e32 v79, v95, v94, vcc_lo
; %bb.1232:                             ;   in Loop: Header=BB8_1135 Depth=2
	s_or_b32 exec_lo, exec_lo, s12
	v_and_b32_e32 v88, 0xffff0000, v88
	v_lshlrev_b32_e32 v94, 16, v10
	s_delay_alu instid0(VALU_DEP_1) | instskip(NEXT) | instid1(VALU_DEP_1)
	v_add_f32_e32 v94, v94, v88
	v_and_b32_e32 v88, 0x7f800000, v94
	s_delay_alu instid0(VALU_DEP_1) | instskip(SKIP_1) | instid1(SALU_CYCLE_1)
	v_cmp_ne_u32_e32 vcc_lo, 0x7f800000, v88
                                        ; implicit-def: $vgpr88
	s_and_saveexec_b32 s12, vcc_lo
	s_xor_b32 s12, exec_lo, s12
; %bb.1233:                             ;   in Loop: Header=BB8_1135 Depth=2
	v_bfe_u32 v88, v94, 16, 1
	s_delay_alu instid0(VALU_DEP_1)
	v_add3_u32 v88, v94, v88, 0x7fff
                                        ; implicit-def: $vgpr94
; %bb.1234:                             ;   in Loop: Header=BB8_1135 Depth=2
	s_and_not1_saveexec_b32 s12, s12
; %bb.1235:                             ;   in Loop: Header=BB8_1135 Depth=2
	v_and_b32_e32 v88, 0xffff, v94
	v_or_b32_e32 v95, 0x10000, v94
	s_delay_alu instid0(VALU_DEP_2) | instskip(NEXT) | instid1(VALU_DEP_2)
	v_cmp_eq_u32_e32 vcc_lo, 0, v88
	v_cndmask_b32_e32 v88, v95, v94, vcc_lo
; %bb.1236:                             ;   in Loop: Header=BB8_1135 Depth=2
	s_or_b32 exec_lo, exec_lo, s12
	v_and_b32_e32 v94, 0xffff0000, v10
	v_and_b32_e32 v35, 0xffff0000, v35
	s_delay_alu instid0(VALU_DEP_1) | instskip(NEXT) | instid1(VALU_DEP_1)
	v_add_f32_e32 v35, v94, v35
	v_and_b32_e32 v94, 0x7f800000, v35
	s_delay_alu instid0(VALU_DEP_1) | instskip(SKIP_1) | instid1(SALU_CYCLE_1)
	v_cmp_ne_u32_e32 vcc_lo, 0x7f800000, v94
                                        ; implicit-def: $vgpr94
	s_and_saveexec_b32 s12, vcc_lo
	s_xor_b32 s12, exec_lo, s12
; %bb.1237:                             ;   in Loop: Header=BB8_1135 Depth=2
	v_bfe_u32 v94, v35, 16, 1
	s_delay_alu instid0(VALU_DEP_1)
	v_add3_u32 v94, v35, v94, 0x7fff
                                        ; implicit-def: $vgpr35
; %bb.1238:                             ;   in Loop: Header=BB8_1135 Depth=2
	s_and_not1_saveexec_b32 s12, s12
; %bb.1239:                             ;   in Loop: Header=BB8_1135 Depth=2
	v_and_b32_e32 v94, 0xffff, v35
	v_or_b32_e32 v95, 0x10000, v35
	s_delay_alu instid0(VALU_DEP_2) | instskip(NEXT) | instid1(VALU_DEP_2)
	v_cmp_eq_u32_e32 vcc_lo, 0, v94
	v_cndmask_b32_e32 v94, v95, v35, vcc_lo
; %bb.1240:                             ;   in Loop: Header=BB8_1135 Depth=2
	s_or_b32 exec_lo, exec_lo, s12
	v_and_b32_e32 v35, 0xffff0000, v78
	v_lshlrev_b32_e32 v78, 16, v11
	s_delay_alu instid0(VALU_DEP_1) | instskip(NEXT) | instid1(VALU_DEP_1)
	v_add_f32_e32 v78, v78, v35
	v_and_b32_e32 v35, 0x7f800000, v78
	s_delay_alu instid0(VALU_DEP_1) | instskip(SKIP_1) | instid1(SALU_CYCLE_1)
	v_cmp_ne_u32_e32 vcc_lo, 0x7f800000, v35
                                        ; implicit-def: $vgpr35
	s_and_saveexec_b32 s12, vcc_lo
	s_xor_b32 s12, exec_lo, s12
; %bb.1241:                             ;   in Loop: Header=BB8_1135 Depth=2
	v_bfe_u32 v35, v78, 16, 1
	s_delay_alu instid0(VALU_DEP_1)
	v_add3_u32 v35, v78, v35, 0x7fff
                                        ; implicit-def: $vgpr78
; %bb.1242:                             ;   in Loop: Header=BB8_1135 Depth=2
	s_and_not1_saveexec_b32 s12, s12
; %bb.1243:                             ;   in Loop: Header=BB8_1135 Depth=2
	v_and_b32_e32 v35, 0xffff, v78
	v_or_b32_e32 v95, 0x10000, v78
	s_delay_alu instid0(VALU_DEP_2) | instskip(NEXT) | instid1(VALU_DEP_2)
	v_cmp_eq_u32_e32 vcc_lo, 0, v35
	v_cndmask_b32_e32 v35, v95, v78, vcc_lo
; %bb.1244:                             ;   in Loop: Header=BB8_1135 Depth=2
	s_or_b32 exec_lo, exec_lo, s12
	v_and_b32_e32 v78, 0xffff0000, v11
	v_and_b32_e32 v33, 0xffff0000, v33
	s_delay_alu instid0(VALU_DEP_1) | instskip(NEXT) | instid1(VALU_DEP_1)
	v_add_f32_e32 v33, v78, v33
	v_and_b32_e32 v78, 0x7f800000, v33
	s_delay_alu instid0(VALU_DEP_1) | instskip(SKIP_1) | instid1(SALU_CYCLE_1)
	v_cmp_ne_u32_e32 vcc_lo, 0x7f800000, v78
                                        ; implicit-def: $vgpr78
	s_and_saveexec_b32 s12, vcc_lo
	s_xor_b32 s12, exec_lo, s12
; %bb.1245:                             ;   in Loop: Header=BB8_1135 Depth=2
	v_bfe_u32 v78, v33, 16, 1
	s_delay_alu instid0(VALU_DEP_1)
	v_add3_u32 v78, v33, v78, 0x7fff
                                        ; implicit-def: $vgpr33
; %bb.1246:                             ;   in Loop: Header=BB8_1135 Depth=2
	s_and_not1_saveexec_b32 s12, s12
; %bb.1247:                             ;   in Loop: Header=BB8_1135 Depth=2
	v_and_b32_e32 v78, 0xffff, v33
	v_or_b32_e32 v95, 0x10000, v33
	s_delay_alu instid0(VALU_DEP_2) | instskip(NEXT) | instid1(VALU_DEP_2)
	v_cmp_eq_u32_e32 vcc_lo, 0, v78
	v_cndmask_b32_e32 v78, v95, v33, vcc_lo
; %bb.1248:                             ;   in Loop: Header=BB8_1135 Depth=2
	s_or_b32 exec_lo, exec_lo, s12
	v_and_b32_e32 v33, 0xffff0000, v34
	v_lshlrev_b32_e32 v34, 16, v12
	s_mov_b32 s12, exec_lo
                                        ; implicit-def: $vgpr95
	s_delay_alu instid0(VALU_DEP_1) | instskip(NEXT) | instid1(VALU_DEP_1)
	v_add_f32_e32 v33, v34, v33
	v_and_b32_e32 v34, 0x7f800000, v33
	s_delay_alu instid0(VALU_DEP_1)
	v_cmpx_ne_u32_e32 0x7f800000, v34
	s_xor_b32 s12, exec_lo, s12
; %bb.1249:                             ;   in Loop: Header=BB8_1135 Depth=2
	v_bfe_u32 v34, v33, 16, 1
	s_delay_alu instid0(VALU_DEP_1)
	v_add3_u32 v95, v33, v34, 0x7fff
                                        ; implicit-def: $vgpr33
; %bb.1250:                             ;   in Loop: Header=BB8_1135 Depth=2
	s_and_not1_saveexec_b32 s12, s12
; %bb.1251:                             ;   in Loop: Header=BB8_1135 Depth=2
	v_and_b32_e32 v34, 0xffff, v33
	v_or_b32_e32 v95, 0x10000, v33
	s_delay_alu instid0(VALU_DEP_2) | instskip(NEXT) | instid1(VALU_DEP_2)
	v_cmp_eq_u32_e32 vcc_lo, 0, v34
	v_cndmask_b32_e32 v95, v95, v33, vcc_lo
; %bb.1252:                             ;   in Loop: Header=BB8_1135 Depth=2
	s_or_b32 exec_lo, exec_lo, s12
	v_and_b32_e32 v33, 0xffff0000, v12
	v_and_b32_e32 v20, 0xffff0000, v20
	s_delay_alu instid0(VALU_DEP_1) | instskip(NEXT) | instid1(VALU_DEP_1)
	v_add_f32_e32 v33, v33, v20
	v_and_b32_e32 v20, 0x7f800000, v33
	s_delay_alu instid0(VALU_DEP_1) | instskip(SKIP_1) | instid1(SALU_CYCLE_1)
	v_cmp_ne_u32_e32 vcc_lo, 0x7f800000, v20
                                        ; implicit-def: $vgpr20
	s_and_saveexec_b32 s12, vcc_lo
	s_xor_b32 s12, exec_lo, s12
; %bb.1253:                             ;   in Loop: Header=BB8_1135 Depth=2
	v_bfe_u32 v20, v33, 16, 1
	s_delay_alu instid0(VALU_DEP_1)
	v_add3_u32 v20, v33, v20, 0x7fff
                                        ; implicit-def: $vgpr33
; %bb.1254:                             ;   in Loop: Header=BB8_1135 Depth=2
	s_and_not1_saveexec_b32 s12, s12
; %bb.1255:                             ;   in Loop: Header=BB8_1135 Depth=2
	v_and_b32_e32 v20, 0xffff, v33
	v_or_b32_e32 v34, 0x10000, v33
	s_delay_alu instid0(VALU_DEP_2) | instskip(NEXT) | instid1(VALU_DEP_2)
	v_cmp_eq_u32_e32 vcc_lo, 0, v20
	v_cndmask_b32_e32 v20, v34, v33, vcc_lo
; %bb.1256:                             ;   in Loop: Header=BB8_1135 Depth=2
	s_or_b32 exec_lo, exec_lo, s12
	v_and_b32_e32 v32, 0xffff0000, v32
	v_lshlrev_b32_e32 v33, 16, v13
	s_mov_b32 s12, exec_lo
                                        ; implicit-def: $vgpr104
	s_delay_alu instid0(VALU_DEP_1) | instskip(NEXT) | instid1(VALU_DEP_1)
	v_add_f32_e32 v32, v33, v32
	v_and_b32_e32 v33, 0x7f800000, v32
	s_delay_alu instid0(VALU_DEP_1)
	v_cmpx_ne_u32_e32 0x7f800000, v33
	s_xor_b32 s12, exec_lo, s12
; %bb.1257:                             ;   in Loop: Header=BB8_1135 Depth=2
	v_bfe_u32 v33, v32, 16, 1
	s_delay_alu instid0(VALU_DEP_1)
	v_add3_u32 v104, v32, v33, 0x7fff
                                        ; implicit-def: $vgpr32
; %bb.1258:                             ;   in Loop: Header=BB8_1135 Depth=2
	s_and_not1_saveexec_b32 s12, s12
; %bb.1259:                             ;   in Loop: Header=BB8_1135 Depth=2
	v_and_b32_e32 v33, 0xffff, v32
	v_or_b32_e32 v34, 0x10000, v32
	s_delay_alu instid0(VALU_DEP_2) | instskip(NEXT) | instid1(VALU_DEP_2)
	v_cmp_eq_u32_e32 vcc_lo, 0, v33
	v_cndmask_b32_e32 v104, v34, v32, vcc_lo
; %bb.1260:                             ;   in Loop: Header=BB8_1135 Depth=2
	s_or_b32 exec_lo, exec_lo, s12
	v_and_b32_e32 v32, 0xffff0000, v13
	v_and_b32_e32 v19, 0xffff0000, v19
	s_mov_b32 s12, exec_lo
                                        ; implicit-def: $vgpr105
	s_delay_alu instid0(VALU_DEP_1) | instskip(NEXT) | instid1(VALU_DEP_1)
	v_add_f32_e32 v19, v32, v19
	v_and_b32_e32 v32, 0x7f800000, v19
	s_delay_alu instid0(VALU_DEP_1)
	v_cmpx_ne_u32_e32 0x7f800000, v32
	s_xor_b32 s12, exec_lo, s12
; %bb.1261:                             ;   in Loop: Header=BB8_1135 Depth=2
	v_bfe_u32 v32, v19, 16, 1
	s_delay_alu instid0(VALU_DEP_1)
	v_add3_u32 v105, v19, v32, 0x7fff
                                        ; implicit-def: $vgpr19
; %bb.1262:                             ;   in Loop: Header=BB8_1135 Depth=2
	s_and_not1_saveexec_b32 s12, s12
; %bb.1263:                             ;   in Loop: Header=BB8_1135 Depth=2
	v_and_b32_e32 v32, 0xffff, v19
	v_or_b32_e32 v33, 0x10000, v19
	s_delay_alu instid0(VALU_DEP_2) | instskip(NEXT) | instid1(VALU_DEP_2)
	v_cmp_eq_u32_e32 vcc_lo, 0, v32
	v_cndmask_b32_e32 v105, v33, v19, vcc_lo
; %bb.1264:                             ;   in Loop: Header=BB8_1135 Depth=2
	s_or_b32 exec_lo, exec_lo, s12
	v_dual_lshrrev_b32 v19, 16, v93 :: v_dual_lshrrev_b32 v18, 16, v18
	v_lshrrev_b32_e32 v34, 16, v92
	s_delay_alu instid0(VALU_DEP_2) | instskip(NEXT) | instid1(VALU_DEP_3)
	v_and_or_b32 v33, 0xffff0000, v91, v19
	v_and_or_b32 v32, 0xffff0000, v21, v18
	v_lshrrev_b32_e32 v18, 16, v90
	s_delay_alu instid0(VALU_DEP_4) | instskip(SKIP_2) | instid1(VALU_DEP_4)
	v_and_or_b32 v34, 0xffff0000, v89, v34
	v_dual_lshrrev_b32 v19, 16, v35 :: v_dual_lshrrev_b32 v21, 16, v88
	v_dual_lshrrev_b32 v88, 16, v95 :: v_dual_lshrrev_b32 v89, 16, v104
	v_and_or_b32 v35, 0xffff0000, v79, v18
	s_delay_alu instid0(VALU_DEP_3) | instskip(NEXT) | instid1(VALU_DEP_4)
	v_and_or_b32 v19, 0xffff0000, v78, v19
	v_and_or_b32 v18, 0xffff0000, v94, v21
	s_delay_alu instid0(VALU_DEP_4)
	v_and_or_b32 v20, 0xffff0000, v20, v88
	v_and_or_b32 v21, 0xffff0000, v105, v89
	s_clause 0x1
	global_store_b128 v[46:47], v[32:35], off th:TH_STORE_NT
	global_store_b128 v[46:47], v[18:21], off offset:512 th:TH_STORE_NT
	s_wait_xcnt 0x0
	v_add_nc_u64_e32 v[46:47], v[46:47], v[112:113]
.LBB8_1265:                             ;   in Loop: Header=BB8_1135 Depth=2
	s_or_b32 exec_lo, exec_lo, s13
	v_sub_nc_u32_e32 v77, v77, v84
	v_add_nc_u64_e32 v[56:57], v[56:57], v[112:113]
	v_add_nc_u64_e32 v[58:59], v[58:59], v[112:113]
	s_delay_alu instid0(VALU_DEP_3)
	v_cmp_lt_i32_e64 s12, 0, v77
	s_and_saveexec_b32 s13, s12
	s_cbranch_execz .LBB8_1267
; %bb.1266:                             ;   in Loop: Header=BB8_1135 Depth=2
	s_clause 0x1
	global_load_b128 v[32:35], v[56:57], off th:TH_LOAD_NT
	global_load_b128 v[18:21], v[56:57], off offset:512 th:TH_LOAD_NT
	s_clause 0x1
	global_load_b128 v[14:17], v[58:59], off th:TH_LOAD_NT
	global_load_b128 v[10:13], v[58:59], off offset:512 th:TH_LOAD_NT
	s_wait_xcnt 0x2
	v_add_nc_u64_e32 v[56:57], 0x400, v[56:57]
	s_wait_xcnt 0x0
	v_add_nc_u64_e32 v[58:59], 0x400, v[58:59]
.LBB8_1267:                             ;   in Loop: Header=BB8_1135 Depth=2
	s_or_b32 exec_lo, exec_lo, s13
	s_wait_loadcnt 0x3
	v_lshlrev_b32_e32 v78, 16, v48
	s_mov_b32 s13, exec_lo
                                        ; implicit-def: $vgpr95
	s_delay_alu instid0(VALU_DEP_1) | instskip(NEXT) | instid1(VALU_DEP_1)
	v_mul_f32_e32 v78, v76, v78
	v_and_b32_e32 v79, 0x7f800000, v78
	s_delay_alu instid0(VALU_DEP_1)
	v_cmpx_ne_u32_e32 0x7f800000, v79
	s_xor_b32 s13, exec_lo, s13
; %bb.1268:                             ;   in Loop: Header=BB8_1135 Depth=2
	v_bfe_u32 v79, v78, 16, 1
	s_delay_alu instid0(VALU_DEP_1)
	v_add3_u32 v95, v78, v79, 0x7fff
                                        ; implicit-def: $vgpr78
; %bb.1269:                             ;   in Loop: Header=BB8_1135 Depth=2
	s_and_not1_saveexec_b32 s13, s13
; %bb.1270:                             ;   in Loop: Header=BB8_1135 Depth=2
	v_and_b32_e32 v79, 0xffff, v78
	v_or_b32_e32 v88, 0x10000, v78
	s_delay_alu instid0(VALU_DEP_2) | instskip(NEXT) | instid1(VALU_DEP_2)
	v_cmp_eq_u32_e32 vcc_lo, 0, v79
	v_cndmask_b32_e32 v95, v88, v78, vcc_lo
; %bb.1271:                             ;   in Loop: Header=BB8_1135 Depth=2
	s_or_b32 exec_lo, exec_lo, s13
	v_and_b32_e32 v48, 0xffff0000, v48
	s_mov_b32 s13, exec_lo
                                        ; implicit-def: $vgpr93
	s_delay_alu instid0(VALU_DEP_1) | instskip(NEXT) | instid1(VALU_DEP_1)
	v_mul_f32_e32 v48, v76, v48
	v_and_b32_e32 v78, 0x7f800000, v48
	s_delay_alu instid0(VALU_DEP_1)
	v_cmpx_ne_u32_e32 0x7f800000, v78
	s_xor_b32 s13, exec_lo, s13
; %bb.1272:                             ;   in Loop: Header=BB8_1135 Depth=2
	v_bfe_u32 v78, v48, 16, 1
	s_delay_alu instid0(VALU_DEP_1)
	v_add3_u32 v93, v48, v78, 0x7fff
                                        ; implicit-def: $vgpr48
; %bb.1273:                             ;   in Loop: Header=BB8_1135 Depth=2
	s_and_not1_saveexec_b32 s13, s13
; %bb.1274:                             ;   in Loop: Header=BB8_1135 Depth=2
	v_and_b32_e32 v78, 0xffff, v48
	v_or_b32_e32 v79, 0x10000, v48
	s_delay_alu instid0(VALU_DEP_2) | instskip(NEXT) | instid1(VALU_DEP_2)
	v_cmp_eq_u32_e32 vcc_lo, 0, v78
	v_cndmask_b32_e32 v93, v79, v48, vcc_lo
; %bb.1275:                             ;   in Loop: Header=BB8_1135 Depth=2
	s_or_b32 exec_lo, exec_lo, s13
	v_lshlrev_b32_e32 v48, 16, v49
	s_mov_b32 s13, exec_lo
                                        ; implicit-def: $vgpr94
	s_delay_alu instid0(VALU_DEP_1) | instskip(NEXT) | instid1(VALU_DEP_1)
	v_mul_f32_e32 v48, v76, v48
	v_and_b32_e32 v78, 0x7f800000, v48
	s_delay_alu instid0(VALU_DEP_1)
	v_cmpx_ne_u32_e32 0x7f800000, v78
	s_xor_b32 s13, exec_lo, s13
; %bb.1276:                             ;   in Loop: Header=BB8_1135 Depth=2
	v_bfe_u32 v78, v48, 16, 1
	s_delay_alu instid0(VALU_DEP_1)
	v_add3_u32 v94, v48, v78, 0x7fff
                                        ; implicit-def: $vgpr48
; %bb.1277:                             ;   in Loop: Header=BB8_1135 Depth=2
	s_and_not1_saveexec_b32 s13, s13
; %bb.1278:                             ;   in Loop: Header=BB8_1135 Depth=2
	v_and_b32_e32 v78, 0xffff, v48
	v_or_b32_e32 v79, 0x10000, v48
	s_delay_alu instid0(VALU_DEP_2) | instskip(NEXT) | instid1(VALU_DEP_2)
	v_cmp_eq_u32_e32 vcc_lo, 0, v78
	v_cndmask_b32_e32 v94, v79, v48, vcc_lo
; %bb.1279:                             ;   in Loop: Header=BB8_1135 Depth=2
	s_or_b32 exec_lo, exec_lo, s13
	v_and_b32_e32 v48, 0xffff0000, v49
	s_mov_b32 s13, exec_lo
                                        ; implicit-def: $vgpr91
	s_delay_alu instid0(VALU_DEP_1) | instskip(NEXT) | instid1(VALU_DEP_1)
	v_mul_f32_e32 v48, v76, v48
	v_and_b32_e32 v49, 0x7f800000, v48
	s_delay_alu instid0(VALU_DEP_1)
	v_cmpx_ne_u32_e32 0x7f800000, v49
	s_xor_b32 s13, exec_lo, s13
; %bb.1280:                             ;   in Loop: Header=BB8_1135 Depth=2
	v_bfe_u32 v49, v48, 16, 1
	s_delay_alu instid0(VALU_DEP_1)
	v_add3_u32 v91, v48, v49, 0x7fff
                                        ; implicit-def: $vgpr48
; %bb.1281:                             ;   in Loop: Header=BB8_1135 Depth=2
	s_and_not1_saveexec_b32 s13, s13
; %bb.1282:                             ;   in Loop: Header=BB8_1135 Depth=2
	v_and_b32_e32 v49, 0xffff, v48
	v_or_b32_e32 v78, 0x10000, v48
	s_delay_alu instid0(VALU_DEP_2) | instskip(NEXT) | instid1(VALU_DEP_2)
	v_cmp_eq_u32_e32 vcc_lo, 0, v49
	v_cndmask_b32_e32 v91, v78, v48, vcc_lo
; %bb.1283:                             ;   in Loop: Header=BB8_1135 Depth=2
	s_or_b32 exec_lo, exec_lo, s13
	v_lshlrev_b32_e32 v48, 16, v50
	s_mov_b32 s13, exec_lo
                                        ; implicit-def: $vgpr92
	s_delay_alu instid0(VALU_DEP_1) | instskip(NEXT) | instid1(VALU_DEP_1)
	v_mul_f32_e32 v48, v76, v48
	v_and_b32_e32 v49, 0x7f800000, v48
	s_delay_alu instid0(VALU_DEP_1)
	v_cmpx_ne_u32_e32 0x7f800000, v49
	s_xor_b32 s13, exec_lo, s13
; %bb.1284:                             ;   in Loop: Header=BB8_1135 Depth=2
	v_bfe_u32 v49, v48, 16, 1
	s_delay_alu instid0(VALU_DEP_1)
	v_add3_u32 v92, v48, v49, 0x7fff
                                        ; implicit-def: $vgpr48
; %bb.1285:                             ;   in Loop: Header=BB8_1135 Depth=2
	s_and_not1_saveexec_b32 s13, s13
; %bb.1286:                             ;   in Loop: Header=BB8_1135 Depth=2
	v_and_b32_e32 v49, 0xffff, v48
	v_or_b32_e32 v78, 0x10000, v48
	s_delay_alu instid0(VALU_DEP_2) | instskip(NEXT) | instid1(VALU_DEP_2)
	v_cmp_eq_u32_e32 vcc_lo, 0, v49
	v_cndmask_b32_e32 v92, v78, v48, vcc_lo
; %bb.1287:                             ;   in Loop: Header=BB8_1135 Depth=2
	s_or_b32 exec_lo, exec_lo, s13
	v_and_b32_e32 v48, 0xffff0000, v50
	s_mov_b32 s13, exec_lo
                                        ; implicit-def: $vgpr89
	s_delay_alu instid0(VALU_DEP_1) | instskip(NEXT) | instid1(VALU_DEP_1)
	v_mul_f32_e32 v48, v76, v48
	v_and_b32_e32 v49, 0x7f800000, v48
	s_delay_alu instid0(VALU_DEP_1)
	v_cmpx_ne_u32_e32 0x7f800000, v49
	s_xor_b32 s13, exec_lo, s13
; %bb.1288:                             ;   in Loop: Header=BB8_1135 Depth=2
	v_bfe_u32 v49, v48, 16, 1
	s_delay_alu instid0(VALU_DEP_1)
	v_add3_u32 v89, v48, v49, 0x7fff
                                        ; implicit-def: $vgpr48
; %bb.1289:                             ;   in Loop: Header=BB8_1135 Depth=2
	s_and_not1_saveexec_b32 s13, s13
; %bb.1290:                             ;   in Loop: Header=BB8_1135 Depth=2
	v_and_b32_e32 v49, 0xffff, v48
	v_or_b32_e32 v50, 0x10000, v48
	s_delay_alu instid0(VALU_DEP_2) | instskip(NEXT) | instid1(VALU_DEP_2)
	v_cmp_eq_u32_e32 vcc_lo, 0, v49
	v_cndmask_b32_e32 v89, v50, v48, vcc_lo
; %bb.1291:                             ;   in Loop: Header=BB8_1135 Depth=2
	s_or_b32 exec_lo, exec_lo, s13
	v_lshlrev_b32_e32 v48, 16, v51
	s_mov_b32 s13, exec_lo
                                        ; implicit-def: $vgpr90
	s_delay_alu instid0(VALU_DEP_1) | instskip(NEXT) | instid1(VALU_DEP_1)
	v_mul_f32_e32 v48, v76, v48
	v_and_b32_e32 v49, 0x7f800000, v48
	s_delay_alu instid0(VALU_DEP_1)
	v_cmpx_ne_u32_e32 0x7f800000, v49
	s_xor_b32 s13, exec_lo, s13
; %bb.1292:                             ;   in Loop: Header=BB8_1135 Depth=2
	v_bfe_u32 v49, v48, 16, 1
	s_delay_alu instid0(VALU_DEP_1)
	v_add3_u32 v90, v48, v49, 0x7fff
                                        ; implicit-def: $vgpr48
; %bb.1293:                             ;   in Loop: Header=BB8_1135 Depth=2
	s_and_not1_saveexec_b32 s13, s13
; %bb.1294:                             ;   in Loop: Header=BB8_1135 Depth=2
	v_and_b32_e32 v49, 0xffff, v48
	v_or_b32_e32 v50, 0x10000, v48
	s_delay_alu instid0(VALU_DEP_2) | instskip(NEXT) | instid1(VALU_DEP_2)
	v_cmp_eq_u32_e32 vcc_lo, 0, v49
	v_cndmask_b32_e32 v90, v50, v48, vcc_lo
; %bb.1295:                             ;   in Loop: Header=BB8_1135 Depth=2
	s_or_b32 exec_lo, exec_lo, s13
	v_and_b32_e32 v48, 0xffff0000, v51
	s_mov_b32 s13, exec_lo
                                        ; implicit-def: $vgpr79
	s_delay_alu instid0(VALU_DEP_1) | instskip(NEXT) | instid1(VALU_DEP_1)
	v_mul_f32_e32 v48, v76, v48
	v_and_b32_e32 v49, 0x7f800000, v48
	s_delay_alu instid0(VALU_DEP_1)
	v_cmpx_ne_u32_e32 0x7f800000, v49
	s_xor_b32 s13, exec_lo, s13
; %bb.1296:                             ;   in Loop: Header=BB8_1135 Depth=2
	v_bfe_u32 v49, v48, 16, 1
	s_delay_alu instid0(VALU_DEP_1)
	v_add3_u32 v79, v48, v49, 0x7fff
                                        ; implicit-def: $vgpr48
; %bb.1297:                             ;   in Loop: Header=BB8_1135 Depth=2
	s_and_not1_saveexec_b32 s13, s13
; %bb.1298:                             ;   in Loop: Header=BB8_1135 Depth=2
	v_and_b32_e32 v49, 0xffff, v48
	v_or_b32_e32 v50, 0x10000, v48
	s_delay_alu instid0(VALU_DEP_2) | instskip(NEXT) | instid1(VALU_DEP_2)
	v_cmp_eq_u32_e32 vcc_lo, 0, v49
	v_cndmask_b32_e32 v79, v50, v48, vcc_lo
; %bb.1299:                             ;   in Loop: Header=BB8_1135 Depth=2
	s_or_b32 exec_lo, exec_lo, s13
	s_wait_loadcnt 0x2
	v_lshlrev_b32_e32 v48, 16, v36
	s_mov_b32 s13, exec_lo
                                        ; implicit-def: $vgpr88
	s_delay_alu instid0(VALU_DEP_1) | instskip(NEXT) | instid1(VALU_DEP_1)
	v_mul_f32_e32 v48, v76, v48
	v_and_b32_e32 v49, 0x7f800000, v48
	s_delay_alu instid0(VALU_DEP_1)
	v_cmpx_ne_u32_e32 0x7f800000, v49
	s_xor_b32 s13, exec_lo, s13
; %bb.1300:                             ;   in Loop: Header=BB8_1135 Depth=2
	v_bfe_u32 v49, v48, 16, 1
	s_delay_alu instid0(VALU_DEP_1)
	v_add3_u32 v88, v48, v49, 0x7fff
                                        ; implicit-def: $vgpr48
; %bb.1301:                             ;   in Loop: Header=BB8_1135 Depth=2
	s_and_not1_saveexec_b32 s13, s13
; %bb.1302:                             ;   in Loop: Header=BB8_1135 Depth=2
	v_and_b32_e32 v49, 0xffff, v48
	v_or_b32_e32 v50, 0x10000, v48
	s_delay_alu instid0(VALU_DEP_2) | instskip(NEXT) | instid1(VALU_DEP_2)
	v_cmp_eq_u32_e32 vcc_lo, 0, v49
	v_cndmask_b32_e32 v88, v50, v48, vcc_lo
; %bb.1303:                             ;   in Loop: Header=BB8_1135 Depth=2
	s_or_b32 exec_lo, exec_lo, s13
	v_and_b32_e32 v36, 0xffff0000, v36
	s_mov_b32 s13, exec_lo
                                        ; implicit-def: $vgpr51
	s_delay_alu instid0(VALU_DEP_1) | instskip(NEXT) | instid1(VALU_DEP_1)
	v_mul_f32_e32 v36, v76, v36
	v_and_b32_e32 v48, 0x7f800000, v36
	s_delay_alu instid0(VALU_DEP_1)
	v_cmpx_ne_u32_e32 0x7f800000, v48
	s_xor_b32 s13, exec_lo, s13
; %bb.1304:                             ;   in Loop: Header=BB8_1135 Depth=2
	v_bfe_u32 v48, v36, 16, 1
	s_delay_alu instid0(VALU_DEP_1)
	v_add3_u32 v51, v36, v48, 0x7fff
                                        ; implicit-def: $vgpr36
; %bb.1305:                             ;   in Loop: Header=BB8_1135 Depth=2
	s_and_not1_saveexec_b32 s13, s13
; %bb.1306:                             ;   in Loop: Header=BB8_1135 Depth=2
	v_and_b32_e32 v48, 0xffff, v36
	v_or_b32_e32 v49, 0x10000, v36
	s_delay_alu instid0(VALU_DEP_2) | instskip(NEXT) | instid1(VALU_DEP_2)
	v_cmp_eq_u32_e32 vcc_lo, 0, v48
	v_cndmask_b32_e32 v51, v49, v36, vcc_lo
; %bb.1307:                             ;   in Loop: Header=BB8_1135 Depth=2
	s_or_b32 exec_lo, exec_lo, s13
	v_lshlrev_b32_e32 v36, 16, v37
	s_mov_b32 s13, exec_lo
                                        ; implicit-def: $vgpr78
	s_delay_alu instid0(VALU_DEP_1) | instskip(NEXT) | instid1(VALU_DEP_1)
	v_mul_f32_e32 v36, v76, v36
	v_and_b32_e32 v48, 0x7f800000, v36
	s_delay_alu instid0(VALU_DEP_1)
	v_cmpx_ne_u32_e32 0x7f800000, v48
	s_xor_b32 s13, exec_lo, s13
; %bb.1308:                             ;   in Loop: Header=BB8_1135 Depth=2
	v_bfe_u32 v48, v36, 16, 1
	s_delay_alu instid0(VALU_DEP_1)
	v_add3_u32 v78, v36, v48, 0x7fff
                                        ; implicit-def: $vgpr36
; %bb.1309:                             ;   in Loop: Header=BB8_1135 Depth=2
	s_and_not1_saveexec_b32 s13, s13
; %bb.1310:                             ;   in Loop: Header=BB8_1135 Depth=2
	v_and_b32_e32 v48, 0xffff, v36
	v_or_b32_e32 v49, 0x10000, v36
	s_delay_alu instid0(VALU_DEP_2) | instskip(NEXT) | instid1(VALU_DEP_2)
	v_cmp_eq_u32_e32 vcc_lo, 0, v48
	v_cndmask_b32_e32 v78, v49, v36, vcc_lo
; %bb.1311:                             ;   in Loop: Header=BB8_1135 Depth=2
	s_or_b32 exec_lo, exec_lo, s13
	v_and_b32_e32 v36, 0xffff0000, v37
	s_mov_b32 s13, exec_lo
                                        ; implicit-def: $vgpr49
	s_delay_alu instid0(VALU_DEP_1) | instskip(NEXT) | instid1(VALU_DEP_1)
	v_mul_f32_e32 v36, v76, v36
	v_and_b32_e32 v37, 0x7f800000, v36
	s_delay_alu instid0(VALU_DEP_1)
	v_cmpx_ne_u32_e32 0x7f800000, v37
	s_xor_b32 s13, exec_lo, s13
; %bb.1312:                             ;   in Loop: Header=BB8_1135 Depth=2
	v_bfe_u32 v37, v36, 16, 1
	s_delay_alu instid0(VALU_DEP_1)
	v_add3_u32 v49, v36, v37, 0x7fff
                                        ; implicit-def: $vgpr36
; %bb.1313:                             ;   in Loop: Header=BB8_1135 Depth=2
	s_and_not1_saveexec_b32 s13, s13
; %bb.1314:                             ;   in Loop: Header=BB8_1135 Depth=2
	v_and_b32_e32 v37, 0xffff, v36
	v_or_b32_e32 v48, 0x10000, v36
	s_delay_alu instid0(VALU_DEP_2) | instskip(NEXT) | instid1(VALU_DEP_2)
	v_cmp_eq_u32_e32 vcc_lo, 0, v37
	v_cndmask_b32_e32 v49, v48, v36, vcc_lo
; %bb.1315:                             ;   in Loop: Header=BB8_1135 Depth=2
	s_or_b32 exec_lo, exec_lo, s13
	v_lshlrev_b32_e32 v36, 16, v38
	s_mov_b32 s13, exec_lo
                                        ; implicit-def: $vgpr50
	s_delay_alu instid0(VALU_DEP_1) | instskip(NEXT) | instid1(VALU_DEP_1)
	v_mul_f32_e32 v36, v76, v36
	v_and_b32_e32 v37, 0x7f800000, v36
	s_delay_alu instid0(VALU_DEP_1)
	v_cmpx_ne_u32_e32 0x7f800000, v37
	s_xor_b32 s13, exec_lo, s13
; %bb.1316:                             ;   in Loop: Header=BB8_1135 Depth=2
	v_bfe_u32 v37, v36, 16, 1
	s_delay_alu instid0(VALU_DEP_1)
	v_add3_u32 v50, v36, v37, 0x7fff
                                        ; implicit-def: $vgpr36
; %bb.1317:                             ;   in Loop: Header=BB8_1135 Depth=2
	s_and_not1_saveexec_b32 s13, s13
; %bb.1318:                             ;   in Loop: Header=BB8_1135 Depth=2
	v_and_b32_e32 v37, 0xffff, v36
	v_or_b32_e32 v48, 0x10000, v36
	s_delay_alu instid0(VALU_DEP_2) | instskip(NEXT) | instid1(VALU_DEP_2)
	v_cmp_eq_u32_e32 vcc_lo, 0, v37
	v_cndmask_b32_e32 v50, v48, v36, vcc_lo
; %bb.1319:                             ;   in Loop: Header=BB8_1135 Depth=2
	s_or_b32 exec_lo, exec_lo, s13
	v_and_b32_e32 v36, 0xffff0000, v38
	s_mov_b32 s13, exec_lo
                                        ; implicit-def: $vgpr38
	s_delay_alu instid0(VALU_DEP_1) | instskip(NEXT) | instid1(VALU_DEP_1)
	v_mul_f32_e32 v36, v76, v36
	v_and_b32_e32 v37, 0x7f800000, v36
	s_delay_alu instid0(VALU_DEP_1)
	v_cmpx_ne_u32_e32 0x7f800000, v37
	s_xor_b32 s13, exec_lo, s13
; %bb.1320:                             ;   in Loop: Header=BB8_1135 Depth=2
	v_bfe_u32 v37, v36, 16, 1
	s_delay_alu instid0(VALU_DEP_1)
	v_add3_u32 v38, v36, v37, 0x7fff
                                        ; implicit-def: $vgpr36
; %bb.1321:                             ;   in Loop: Header=BB8_1135 Depth=2
	s_and_not1_saveexec_b32 s13, s13
; %bb.1322:                             ;   in Loop: Header=BB8_1135 Depth=2
	v_and_b32_e32 v37, 0xffff, v36
	v_or_b32_e32 v38, 0x10000, v36
	s_delay_alu instid0(VALU_DEP_2) | instskip(NEXT) | instid1(VALU_DEP_2)
	v_cmp_eq_u32_e32 vcc_lo, 0, v37
	v_cndmask_b32_e32 v38, v38, v36, vcc_lo
; %bb.1323:                             ;   in Loop: Header=BB8_1135 Depth=2
	s_or_b32 exec_lo, exec_lo, s13
	v_lshlrev_b32_e32 v36, 16, v39
	s_mov_b32 s13, exec_lo
                                        ; implicit-def: $vgpr48
	s_delay_alu instid0(VALU_DEP_1) | instskip(NEXT) | instid1(VALU_DEP_1)
	v_mul_f32_e32 v36, v76, v36
	v_and_b32_e32 v37, 0x7f800000, v36
	s_delay_alu instid0(VALU_DEP_1)
	v_cmpx_ne_u32_e32 0x7f800000, v37
	s_xor_b32 s13, exec_lo, s13
; %bb.1324:                             ;   in Loop: Header=BB8_1135 Depth=2
	v_bfe_u32 v37, v36, 16, 1
	s_delay_alu instid0(VALU_DEP_1)
	v_add3_u32 v48, v36, v37, 0x7fff
                                        ; implicit-def: $vgpr36
; %bb.1325:                             ;   in Loop: Header=BB8_1135 Depth=2
	s_and_not1_saveexec_b32 s13, s13
; %bb.1326:                             ;   in Loop: Header=BB8_1135 Depth=2
	v_and_b32_e32 v37, 0xffff, v36
	v_or_b32_e32 v48, 0x10000, v36
	s_delay_alu instid0(VALU_DEP_2) | instskip(NEXT) | instid1(VALU_DEP_2)
	v_cmp_eq_u32_e32 vcc_lo, 0, v37
	v_cndmask_b32_e32 v48, v48, v36, vcc_lo
; %bb.1327:                             ;   in Loop: Header=BB8_1135 Depth=2
	s_or_b32 exec_lo, exec_lo, s13
	v_and_b32_e32 v36, 0xffff0000, v39
	s_delay_alu instid0(VALU_DEP_1) | instskip(NEXT) | instid1(VALU_DEP_1)
	v_mul_f32_e32 v36, v76, v36
	v_and_b32_e32 v37, 0x7f800000, v36
	s_delay_alu instid0(VALU_DEP_1) | instskip(SKIP_1) | instid1(SALU_CYCLE_1)
	v_cmp_ne_u32_e32 vcc_lo, 0x7f800000, v37
                                        ; implicit-def: $vgpr37
	s_and_saveexec_b32 s13, vcc_lo
	s_xor_b32 s13, exec_lo, s13
; %bb.1328:                             ;   in Loop: Header=BB8_1135 Depth=2
	v_bfe_u32 v37, v36, 16, 1
	s_delay_alu instid0(VALU_DEP_1)
	v_add3_u32 v37, v36, v37, 0x7fff
                                        ; implicit-def: $vgpr36
; %bb.1329:                             ;   in Loop: Header=BB8_1135 Depth=2
	s_and_not1_saveexec_b32 s13, s13
; %bb.1330:                             ;   in Loop: Header=BB8_1135 Depth=2
	v_and_b32_e32 v37, 0xffff, v36
	v_or_b32_e32 v39, 0x10000, v36
	s_delay_alu instid0(VALU_DEP_2) | instskip(NEXT) | instid1(VALU_DEP_2)
	v_cmp_eq_u32_e32 vcc_lo, 0, v37
	v_cndmask_b32_e32 v37, v39, v36, vcc_lo
; %bb.1331:                             ;   in Loop: Header=BB8_1135 Depth=2
	s_or_b32 exec_lo, exec_lo, s13
	v_and_b32_e32 v36, 0xffff0000, v95
	s_wait_loadcnt 0x1
	v_lshlrev_b32_e32 v39, 16, v26
	s_delay_alu instid0(VALU_DEP_1) | instskip(NEXT) | instid1(VALU_DEP_1)
	v_add_f32_e32 v39, v39, v36
	v_and_b32_e32 v36, 0x7f800000, v39
	s_delay_alu instid0(VALU_DEP_1) | instskip(SKIP_1) | instid1(SALU_CYCLE_1)
	v_cmp_ne_u32_e32 vcc_lo, 0x7f800000, v36
                                        ; implicit-def: $vgpr36
	s_and_saveexec_b32 s13, vcc_lo
	s_xor_b32 s13, exec_lo, s13
; %bb.1332:                             ;   in Loop: Header=BB8_1135 Depth=2
	v_bfe_u32 v36, v39, 16, 1
	s_delay_alu instid0(VALU_DEP_1)
	v_add3_u32 v36, v39, v36, 0x7fff
                                        ; implicit-def: $vgpr39
; %bb.1333:                             ;   in Loop: Header=BB8_1135 Depth=2
	s_and_not1_saveexec_b32 s13, s13
; %bb.1334:                             ;   in Loop: Header=BB8_1135 Depth=2
	v_and_b32_e32 v36, 0xffff, v39
	v_or_b32_e32 v95, 0x10000, v39
	s_delay_alu instid0(VALU_DEP_2) | instskip(NEXT) | instid1(VALU_DEP_2)
	v_cmp_eq_u32_e32 vcc_lo, 0, v36
	v_cndmask_b32_e32 v36, v95, v39, vcc_lo
; %bb.1335:                             ;   in Loop: Header=BB8_1135 Depth=2
	s_or_b32 exec_lo, exec_lo, s13
	v_and_b32_e32 v26, 0xffff0000, v26
	v_and_b32_e32 v39, 0xffff0000, v93
	s_delay_alu instid0(VALU_DEP_1) | instskip(NEXT) | instid1(VALU_DEP_1)
	v_add_f32_e32 v39, v26, v39
	v_and_b32_e32 v26, 0x7f800000, v39
	s_delay_alu instid0(VALU_DEP_1) | instskip(SKIP_1) | instid1(SALU_CYCLE_1)
	v_cmp_ne_u32_e32 vcc_lo, 0x7f800000, v26
                                        ; implicit-def: $vgpr26
	s_and_saveexec_b32 s13, vcc_lo
	s_xor_b32 s13, exec_lo, s13
; %bb.1336:                             ;   in Loop: Header=BB8_1135 Depth=2
	v_bfe_u32 v26, v39, 16, 1
	s_delay_alu instid0(VALU_DEP_1)
	v_add3_u32 v26, v39, v26, 0x7fff
                                        ; implicit-def: $vgpr39
; %bb.1337:                             ;   in Loop: Header=BB8_1135 Depth=2
	s_and_not1_saveexec_b32 s13, s13
; %bb.1338:                             ;   in Loop: Header=BB8_1135 Depth=2
	v_and_b32_e32 v26, 0xffff, v39
	v_or_b32_e32 v93, 0x10000, v39
	s_delay_alu instid0(VALU_DEP_2) | instskip(NEXT) | instid1(VALU_DEP_2)
	v_cmp_eq_u32_e32 vcc_lo, 0, v26
	v_cndmask_b32_e32 v26, v93, v39, vcc_lo
; %bb.1339:                             ;   in Loop: Header=BB8_1135 Depth=2
	s_or_b32 exec_lo, exec_lo, s13
	v_and_b32_e32 v39, 0xffff0000, v94
	v_lshlrev_b32_e32 v93, 16, v27
	s_delay_alu instid0(VALU_DEP_1) | instskip(NEXT) | instid1(VALU_DEP_1)
	v_add_f32_e32 v93, v93, v39
	v_and_b32_e32 v39, 0x7f800000, v93
	s_delay_alu instid0(VALU_DEP_1) | instskip(SKIP_1) | instid1(SALU_CYCLE_1)
	v_cmp_ne_u32_e32 vcc_lo, 0x7f800000, v39
                                        ; implicit-def: $vgpr39
	s_and_saveexec_b32 s13, vcc_lo
	s_xor_b32 s13, exec_lo, s13
; %bb.1340:                             ;   in Loop: Header=BB8_1135 Depth=2
	v_bfe_u32 v39, v93, 16, 1
	s_delay_alu instid0(VALU_DEP_1)
	v_add3_u32 v39, v93, v39, 0x7fff
                                        ; implicit-def: $vgpr93
; %bb.1341:                             ;   in Loop: Header=BB8_1135 Depth=2
	s_and_not1_saveexec_b32 s13, s13
; %bb.1342:                             ;   in Loop: Header=BB8_1135 Depth=2
	v_and_b32_e32 v39, 0xffff, v93
	v_or_b32_e32 v94, 0x10000, v93
	s_delay_alu instid0(VALU_DEP_2) | instskip(NEXT) | instid1(VALU_DEP_2)
	v_cmp_eq_u32_e32 vcc_lo, 0, v39
	v_cndmask_b32_e32 v39, v94, v93, vcc_lo
; %bb.1343:                             ;   in Loop: Header=BB8_1135 Depth=2
	s_or_b32 exec_lo, exec_lo, s13
	v_and_b32_e32 v27, 0xffff0000, v27
	v_and_b32_e32 v91, 0xffff0000, v91
	s_delay_alu instid0(VALU_DEP_1) | instskip(NEXT) | instid1(VALU_DEP_1)
	v_add_f32_e32 v91, v27, v91
	v_and_b32_e32 v27, 0x7f800000, v91
	s_delay_alu instid0(VALU_DEP_1) | instskip(SKIP_1) | instid1(SALU_CYCLE_1)
	v_cmp_ne_u32_e32 vcc_lo, 0x7f800000, v27
                                        ; implicit-def: $vgpr27
	s_and_saveexec_b32 s13, vcc_lo
	s_xor_b32 s13, exec_lo, s13
; %bb.1344:                             ;   in Loop: Header=BB8_1135 Depth=2
	v_bfe_u32 v27, v91, 16, 1
	s_delay_alu instid0(VALU_DEP_1)
	v_add3_u32 v27, v91, v27, 0x7fff
                                        ; implicit-def: $vgpr91
; %bb.1345:                             ;   in Loop: Header=BB8_1135 Depth=2
	s_and_not1_saveexec_b32 s13, s13
; %bb.1346:                             ;   in Loop: Header=BB8_1135 Depth=2
	v_and_b32_e32 v27, 0xffff, v91
	v_or_b32_e32 v93, 0x10000, v91
	s_delay_alu instid0(VALU_DEP_2) | instskip(NEXT) | instid1(VALU_DEP_2)
	v_cmp_eq_u32_e32 vcc_lo, 0, v27
	v_cndmask_b32_e32 v27, v93, v91, vcc_lo
; %bb.1347:                             ;   in Loop: Header=BB8_1135 Depth=2
	s_or_b32 exec_lo, exec_lo, s13
	v_and_b32_e32 v91, 0xffff0000, v92
	v_lshlrev_b32_e32 v92, 16, v28
	s_delay_alu instid0(VALU_DEP_1) | instskip(NEXT) | instid1(VALU_DEP_1)
	v_add_f32_e32 v92, v92, v91
	v_and_b32_e32 v91, 0x7f800000, v92
	s_delay_alu instid0(VALU_DEP_1) | instskip(SKIP_1) | instid1(SALU_CYCLE_1)
	v_cmp_ne_u32_e32 vcc_lo, 0x7f800000, v91
                                        ; implicit-def: $vgpr91
	s_and_saveexec_b32 s13, vcc_lo
	s_xor_b32 s13, exec_lo, s13
; %bb.1348:                             ;   in Loop: Header=BB8_1135 Depth=2
	v_bfe_u32 v91, v92, 16, 1
	s_delay_alu instid0(VALU_DEP_1)
	v_add3_u32 v91, v92, v91, 0x7fff
                                        ; implicit-def: $vgpr92
; %bb.1349:                             ;   in Loop: Header=BB8_1135 Depth=2
	s_and_not1_saveexec_b32 s13, s13
; %bb.1350:                             ;   in Loop: Header=BB8_1135 Depth=2
	v_and_b32_e32 v91, 0xffff, v92
	v_or_b32_e32 v93, 0x10000, v92
	s_delay_alu instid0(VALU_DEP_2) | instskip(NEXT) | instid1(VALU_DEP_2)
	v_cmp_eq_u32_e32 vcc_lo, 0, v91
	v_cndmask_b32_e32 v91, v93, v92, vcc_lo
; %bb.1351:                             ;   in Loop: Header=BB8_1135 Depth=2
	s_or_b32 exec_lo, exec_lo, s13
	v_and_b32_e32 v28, 0xffff0000, v28
	v_and_b32_e32 v89, 0xffff0000, v89
	s_delay_alu instid0(VALU_DEP_1) | instskip(NEXT) | instid1(VALU_DEP_1)
	v_add_f32_e32 v89, v28, v89
	v_and_b32_e32 v28, 0x7f800000, v89
	s_delay_alu instid0(VALU_DEP_1) | instskip(SKIP_1) | instid1(SALU_CYCLE_1)
	v_cmp_ne_u32_e32 vcc_lo, 0x7f800000, v28
                                        ; implicit-def: $vgpr28
	s_and_saveexec_b32 s13, vcc_lo
	s_xor_b32 s13, exec_lo, s13
; %bb.1352:                             ;   in Loop: Header=BB8_1135 Depth=2
	v_bfe_u32 v28, v89, 16, 1
	s_delay_alu instid0(VALU_DEP_1)
	v_add3_u32 v28, v89, v28, 0x7fff
                                        ; implicit-def: $vgpr89
; %bb.1353:                             ;   in Loop: Header=BB8_1135 Depth=2
	s_and_not1_saveexec_b32 s13, s13
; %bb.1354:                             ;   in Loop: Header=BB8_1135 Depth=2
	v_and_b32_e32 v28, 0xffff, v89
	v_or_b32_e32 v92, 0x10000, v89
	s_delay_alu instid0(VALU_DEP_2) | instskip(NEXT) | instid1(VALU_DEP_2)
	v_cmp_eq_u32_e32 vcc_lo, 0, v28
	v_cndmask_b32_e32 v28, v92, v89, vcc_lo
; %bb.1355:                             ;   in Loop: Header=BB8_1135 Depth=2
	s_or_b32 exec_lo, exec_lo, s13
	v_and_b32_e32 v89, 0xffff0000, v90
	v_lshlrev_b32_e32 v90, 16, v29
	s_delay_alu instid0(VALU_DEP_1) | instskip(NEXT) | instid1(VALU_DEP_1)
	v_add_f32_e32 v90, v90, v89
	v_and_b32_e32 v89, 0x7f800000, v90
	s_delay_alu instid0(VALU_DEP_1) | instskip(SKIP_1) | instid1(SALU_CYCLE_1)
	v_cmp_ne_u32_e32 vcc_lo, 0x7f800000, v89
                                        ; implicit-def: $vgpr89
	s_and_saveexec_b32 s13, vcc_lo
	s_xor_b32 s13, exec_lo, s13
; %bb.1356:                             ;   in Loop: Header=BB8_1135 Depth=2
	v_bfe_u32 v89, v90, 16, 1
	s_delay_alu instid0(VALU_DEP_1)
	v_add3_u32 v89, v90, v89, 0x7fff
                                        ; implicit-def: $vgpr90
; %bb.1357:                             ;   in Loop: Header=BB8_1135 Depth=2
	s_and_not1_saveexec_b32 s13, s13
; %bb.1358:                             ;   in Loop: Header=BB8_1135 Depth=2
	v_and_b32_e32 v89, 0xffff, v90
	v_or_b32_e32 v92, 0x10000, v90
	s_delay_alu instid0(VALU_DEP_2) | instskip(NEXT) | instid1(VALU_DEP_2)
	v_cmp_eq_u32_e32 vcc_lo, 0, v89
	v_cndmask_b32_e32 v89, v92, v90, vcc_lo
; %bb.1359:                             ;   in Loop: Header=BB8_1135 Depth=2
	s_or_b32 exec_lo, exec_lo, s13
	v_and_b32_e32 v29, 0xffff0000, v29
	v_and_b32_e32 v79, 0xffff0000, v79
	s_delay_alu instid0(VALU_DEP_1) | instskip(NEXT) | instid1(VALU_DEP_1)
	v_add_f32_e32 v79, v29, v79
	v_and_b32_e32 v29, 0x7f800000, v79
	s_delay_alu instid0(VALU_DEP_1) | instskip(SKIP_1) | instid1(SALU_CYCLE_1)
	v_cmp_ne_u32_e32 vcc_lo, 0x7f800000, v29
                                        ; implicit-def: $vgpr29
	s_and_saveexec_b32 s13, vcc_lo
	s_xor_b32 s13, exec_lo, s13
; %bb.1360:                             ;   in Loop: Header=BB8_1135 Depth=2
	v_bfe_u32 v29, v79, 16, 1
	s_delay_alu instid0(VALU_DEP_1)
	v_add3_u32 v29, v79, v29, 0x7fff
                                        ; implicit-def: $vgpr79
; %bb.1361:                             ;   in Loop: Header=BB8_1135 Depth=2
	s_and_not1_saveexec_b32 s13, s13
; %bb.1362:                             ;   in Loop: Header=BB8_1135 Depth=2
	v_and_b32_e32 v29, 0xffff, v79
	v_or_b32_e32 v90, 0x10000, v79
	s_delay_alu instid0(VALU_DEP_2) | instskip(NEXT) | instid1(VALU_DEP_2)
	v_cmp_eq_u32_e32 vcc_lo, 0, v29
	v_cndmask_b32_e32 v29, v90, v79, vcc_lo
; %bb.1363:                             ;   in Loop: Header=BB8_1135 Depth=2
	s_or_b32 exec_lo, exec_lo, s13
	v_and_b32_e32 v79, 0xffff0000, v88
	s_wait_loadcnt 0x0
	v_lshlrev_b32_e32 v88, 16, v22
	s_delay_alu instid0(VALU_DEP_1) | instskip(NEXT) | instid1(VALU_DEP_1)
	v_add_f32_e32 v88, v88, v79
	v_and_b32_e32 v79, 0x7f800000, v88
	s_delay_alu instid0(VALU_DEP_1) | instskip(SKIP_1) | instid1(SALU_CYCLE_1)
	v_cmp_ne_u32_e32 vcc_lo, 0x7f800000, v79
                                        ; implicit-def: $vgpr79
	s_and_saveexec_b32 s13, vcc_lo
	s_xor_b32 s13, exec_lo, s13
; %bb.1364:                             ;   in Loop: Header=BB8_1135 Depth=2
	v_bfe_u32 v79, v88, 16, 1
	s_delay_alu instid0(VALU_DEP_1)
	v_add3_u32 v79, v88, v79, 0x7fff
                                        ; implicit-def: $vgpr88
; %bb.1365:                             ;   in Loop: Header=BB8_1135 Depth=2
	s_and_not1_saveexec_b32 s13, s13
; %bb.1366:                             ;   in Loop: Header=BB8_1135 Depth=2
	v_and_b32_e32 v79, 0xffff, v88
	v_or_b32_e32 v90, 0x10000, v88
	s_delay_alu instid0(VALU_DEP_2) | instskip(NEXT) | instid1(VALU_DEP_2)
	v_cmp_eq_u32_e32 vcc_lo, 0, v79
	v_cndmask_b32_e32 v79, v90, v88, vcc_lo
; %bb.1367:                             ;   in Loop: Header=BB8_1135 Depth=2
	s_or_b32 exec_lo, exec_lo, s13
	v_and_b32_e32 v22, 0xffff0000, v22
	v_and_b32_e32 v51, 0xffff0000, v51
	s_delay_alu instid0(VALU_DEP_1) | instskip(NEXT) | instid1(VALU_DEP_1)
	v_add_f32_e32 v51, v22, v51
	v_and_b32_e32 v22, 0x7f800000, v51
	s_delay_alu instid0(VALU_DEP_1) | instskip(SKIP_1) | instid1(SALU_CYCLE_1)
	v_cmp_ne_u32_e32 vcc_lo, 0x7f800000, v22
                                        ; implicit-def: $vgpr22
	s_and_saveexec_b32 s13, vcc_lo
	s_xor_b32 s13, exec_lo, s13
; %bb.1368:                             ;   in Loop: Header=BB8_1135 Depth=2
	v_bfe_u32 v22, v51, 16, 1
	s_delay_alu instid0(VALU_DEP_1)
	v_add3_u32 v22, v51, v22, 0x7fff
                                        ; implicit-def: $vgpr51
; %bb.1369:                             ;   in Loop: Header=BB8_1135 Depth=2
	s_and_not1_saveexec_b32 s13, s13
; %bb.1370:                             ;   in Loop: Header=BB8_1135 Depth=2
	v_and_b32_e32 v22, 0xffff, v51
	v_or_b32_e32 v88, 0x10000, v51
	s_delay_alu instid0(VALU_DEP_2) | instskip(NEXT) | instid1(VALU_DEP_2)
	v_cmp_eq_u32_e32 vcc_lo, 0, v22
	v_cndmask_b32_e32 v22, v88, v51, vcc_lo
; %bb.1371:                             ;   in Loop: Header=BB8_1135 Depth=2
	s_or_b32 exec_lo, exec_lo, s13
	v_and_b32_e32 v51, 0xffff0000, v78
	v_lshlrev_b32_e32 v78, 16, v23
	s_delay_alu instid0(VALU_DEP_1) | instskip(NEXT) | instid1(VALU_DEP_1)
	v_add_f32_e32 v78, v78, v51
	v_and_b32_e32 v51, 0x7f800000, v78
	s_delay_alu instid0(VALU_DEP_1) | instskip(SKIP_1) | instid1(SALU_CYCLE_1)
	v_cmp_ne_u32_e32 vcc_lo, 0x7f800000, v51
                                        ; implicit-def: $vgpr51
	s_and_saveexec_b32 s13, vcc_lo
	s_xor_b32 s13, exec_lo, s13
; %bb.1372:                             ;   in Loop: Header=BB8_1135 Depth=2
	v_bfe_u32 v51, v78, 16, 1
	s_delay_alu instid0(VALU_DEP_1)
	v_add3_u32 v51, v78, v51, 0x7fff
                                        ; implicit-def: $vgpr78
; %bb.1373:                             ;   in Loop: Header=BB8_1135 Depth=2
	s_and_not1_saveexec_b32 s13, s13
; %bb.1374:                             ;   in Loop: Header=BB8_1135 Depth=2
	v_and_b32_e32 v51, 0xffff, v78
	v_or_b32_e32 v88, 0x10000, v78
	s_delay_alu instid0(VALU_DEP_2) | instskip(NEXT) | instid1(VALU_DEP_2)
	v_cmp_eq_u32_e32 vcc_lo, 0, v51
	v_cndmask_b32_e32 v51, v88, v78, vcc_lo
; %bb.1375:                             ;   in Loop: Header=BB8_1135 Depth=2
	s_or_b32 exec_lo, exec_lo, s13
	v_and_b32_e32 v23, 0xffff0000, v23
	v_and_b32_e32 v49, 0xffff0000, v49
	s_delay_alu instid0(VALU_DEP_1) | instskip(NEXT) | instid1(VALU_DEP_1)
	v_add_f32_e32 v49, v23, v49
	v_and_b32_e32 v23, 0x7f800000, v49
	s_delay_alu instid0(VALU_DEP_1) | instskip(SKIP_1) | instid1(SALU_CYCLE_1)
	v_cmp_ne_u32_e32 vcc_lo, 0x7f800000, v23
                                        ; implicit-def: $vgpr23
	s_and_saveexec_b32 s13, vcc_lo
	s_xor_b32 s13, exec_lo, s13
; %bb.1376:                             ;   in Loop: Header=BB8_1135 Depth=2
	v_bfe_u32 v23, v49, 16, 1
	s_delay_alu instid0(VALU_DEP_1)
	v_add3_u32 v23, v49, v23, 0x7fff
                                        ; implicit-def: $vgpr49
; %bb.1377:                             ;   in Loop: Header=BB8_1135 Depth=2
	s_and_not1_saveexec_b32 s13, s13
; %bb.1378:                             ;   in Loop: Header=BB8_1135 Depth=2
	v_and_b32_e32 v23, 0xffff, v49
	v_or_b32_e32 v78, 0x10000, v49
	s_delay_alu instid0(VALU_DEP_2) | instskip(NEXT) | instid1(VALU_DEP_2)
	v_cmp_eq_u32_e32 vcc_lo, 0, v23
	v_cndmask_b32_e32 v23, v78, v49, vcc_lo
; %bb.1379:                             ;   in Loop: Header=BB8_1135 Depth=2
	s_or_b32 exec_lo, exec_lo, s13
	v_and_b32_e32 v49, 0xffff0000, v50
	v_lshlrev_b32_e32 v50, 16, v24
	s_delay_alu instid0(VALU_DEP_1) | instskip(NEXT) | instid1(VALU_DEP_1)
	v_add_f32_e32 v50, v50, v49
	v_and_b32_e32 v49, 0x7f800000, v50
	s_delay_alu instid0(VALU_DEP_1) | instskip(SKIP_1) | instid1(SALU_CYCLE_1)
	v_cmp_ne_u32_e32 vcc_lo, 0x7f800000, v49
                                        ; implicit-def: $vgpr49
	s_and_saveexec_b32 s13, vcc_lo
	s_xor_b32 s13, exec_lo, s13
; %bb.1380:                             ;   in Loop: Header=BB8_1135 Depth=2
	v_bfe_u32 v49, v50, 16, 1
	s_delay_alu instid0(VALU_DEP_1)
	v_add3_u32 v49, v50, v49, 0x7fff
                                        ; implicit-def: $vgpr50
; %bb.1381:                             ;   in Loop: Header=BB8_1135 Depth=2
	s_and_not1_saveexec_b32 s13, s13
; %bb.1382:                             ;   in Loop: Header=BB8_1135 Depth=2
	v_and_b32_e32 v49, 0xffff, v50
	v_or_b32_e32 v78, 0x10000, v50
	s_delay_alu instid0(VALU_DEP_2) | instskip(NEXT) | instid1(VALU_DEP_2)
	v_cmp_eq_u32_e32 vcc_lo, 0, v49
	v_cndmask_b32_e32 v49, v78, v50, vcc_lo
; %bb.1383:                             ;   in Loop: Header=BB8_1135 Depth=2
	s_or_b32 exec_lo, exec_lo, s13
	v_and_b32_e32 v24, 0xffff0000, v24
	v_and_b32_e32 v38, 0xffff0000, v38
	s_delay_alu instid0(VALU_DEP_1) | instskip(NEXT) | instid1(VALU_DEP_1)
	v_add_f32_e32 v38, v24, v38
	v_and_b32_e32 v24, 0x7f800000, v38
	s_delay_alu instid0(VALU_DEP_1) | instskip(SKIP_1) | instid1(SALU_CYCLE_1)
	v_cmp_ne_u32_e32 vcc_lo, 0x7f800000, v24
                                        ; implicit-def: $vgpr24
	s_and_saveexec_b32 s13, vcc_lo
	s_xor_b32 s13, exec_lo, s13
; %bb.1384:                             ;   in Loop: Header=BB8_1135 Depth=2
	v_bfe_u32 v24, v38, 16, 1
	s_delay_alu instid0(VALU_DEP_1)
	v_add3_u32 v24, v38, v24, 0x7fff
                                        ; implicit-def: $vgpr38
; %bb.1385:                             ;   in Loop: Header=BB8_1135 Depth=2
	s_and_not1_saveexec_b32 s13, s13
; %bb.1386:                             ;   in Loop: Header=BB8_1135 Depth=2
	v_and_b32_e32 v24, 0xffff, v38
	v_or_b32_e32 v50, 0x10000, v38
	s_delay_alu instid0(VALU_DEP_2) | instskip(NEXT) | instid1(VALU_DEP_2)
	v_cmp_eq_u32_e32 vcc_lo, 0, v24
	v_cndmask_b32_e32 v24, v50, v38, vcc_lo
; %bb.1387:                             ;   in Loop: Header=BB8_1135 Depth=2
	s_or_b32 exec_lo, exec_lo, s13
	v_and_b32_e32 v38, 0xffff0000, v48
	v_lshlrev_b32_e32 v48, 16, v25
	s_delay_alu instid0(VALU_DEP_1) | instskip(NEXT) | instid1(VALU_DEP_1)
	v_add_f32_e32 v48, v48, v38
	v_and_b32_e32 v38, 0x7f800000, v48
	s_delay_alu instid0(VALU_DEP_1) | instskip(SKIP_1) | instid1(SALU_CYCLE_1)
	v_cmp_ne_u32_e32 vcc_lo, 0x7f800000, v38
                                        ; implicit-def: $vgpr38
	s_and_saveexec_b32 s13, vcc_lo
	s_xor_b32 s13, exec_lo, s13
; %bb.1388:                             ;   in Loop: Header=BB8_1135 Depth=2
	v_bfe_u32 v38, v48, 16, 1
	s_delay_alu instid0(VALU_DEP_1)
	v_add3_u32 v38, v48, v38, 0x7fff
                                        ; implicit-def: $vgpr48
; %bb.1389:                             ;   in Loop: Header=BB8_1135 Depth=2
	s_and_not1_saveexec_b32 s13, s13
; %bb.1390:                             ;   in Loop: Header=BB8_1135 Depth=2
	v_and_b32_e32 v38, 0xffff, v48
	v_or_b32_e32 v50, 0x10000, v48
	s_delay_alu instid0(VALU_DEP_2) | instskip(NEXT) | instid1(VALU_DEP_2)
	v_cmp_eq_u32_e32 vcc_lo, 0, v38
	v_cndmask_b32_e32 v38, v50, v48, vcc_lo
; %bb.1391:                             ;   in Loop: Header=BB8_1135 Depth=2
	s_or_b32 exec_lo, exec_lo, s13
	v_and_b32_e32 v25, 0xffff0000, v25
	v_and_b32_e32 v37, 0xffff0000, v37
	s_delay_alu instid0(VALU_DEP_1) | instskip(NEXT) | instid1(VALU_DEP_1)
	v_add_f32_e32 v37, v25, v37
	v_and_b32_e32 v25, 0x7f800000, v37
	s_delay_alu instid0(VALU_DEP_1) | instskip(SKIP_1) | instid1(SALU_CYCLE_1)
	v_cmp_ne_u32_e32 vcc_lo, 0x7f800000, v25
                                        ; implicit-def: $vgpr25
	s_and_saveexec_b32 s13, vcc_lo
	s_xor_b32 s13, exec_lo, s13
; %bb.1392:                             ;   in Loop: Header=BB8_1135 Depth=2
	v_bfe_u32 v25, v37, 16, 1
	s_delay_alu instid0(VALU_DEP_1)
	v_add3_u32 v25, v37, v25, 0x7fff
                                        ; implicit-def: $vgpr37
; %bb.1393:                             ;   in Loop: Header=BB8_1135 Depth=2
	s_and_not1_saveexec_b32 s13, s13
	s_cbranch_execz .LBB8_1134
; %bb.1394:                             ;   in Loop: Header=BB8_1135 Depth=2
	v_and_b32_e32 v25, 0xffff, v37
	v_or_b32_e32 v48, 0x10000, v37
	s_delay_alu instid0(VALU_DEP_2) | instskip(NEXT) | instid1(VALU_DEP_2)
	v_cmp_eq_u32_e32 vcc_lo, 0, v25
	v_cndmask_b32_e32 v25, v48, v37, vcc_lo
	s_branch .LBB8_1134
.LBB8_1395:                             ;   in Loop: Header=BB8_1058 Depth=1
	v_dual_mov_b32 v10, v0 :: v_dual_mov_b32 v21, v60
	s_and_saveexec_b32 s11, s26
	s_cbranch_execnz .LBB8_1739
	s_branch .LBB8_1978
.LBB8_1396:                             ;   in Loop: Header=BB8_1058 Depth=1
	s_or_b32 exec_lo, exec_lo, s10
	s_delay_alu instid0(SALU_CYCLE_1)
	s_and_b32 s10, s11, exec_lo
.LBB8_1397:                             ;   in Loop: Header=BB8_1058 Depth=1
	s_or_b32 exec_lo, exec_lo, s7
	s_and_saveexec_b32 s7, s10
	s_cbranch_execz .LBB8_1527
; %bb.1398:                             ;   in Loop: Header=BB8_1058 Depth=1
	s_trap 2
	ds_load_b32 v22, v0
	s_mov_b32 s10, exec_lo
                                        ; implicit-def: $vgpr48
	s_wait_dscnt 0x0
	v_dual_lshlrev_b32 v23, 16, v22 :: v_dual_lshlrev_b32 v22, 16, v32
	s_delay_alu instid0(VALU_DEP_1) | instskip(NEXT) | instid1(VALU_DEP_1)
	v_mov_b32_e32 v24, v23
	v_pk_mul_f32 v[24:25], v[24:25], v[22:23]
	s_delay_alu instid0(VALU_DEP_1) | instskip(NEXT) | instid1(VALU_DEP_1)
	v_and_b32_e32 v22, 0x7f800000, v24
	v_cmpx_ne_u32_e32 0x7f800000, v22
	s_xor_b32 s10, exec_lo, s10
; %bb.1399:                             ;   in Loop: Header=BB8_1058 Depth=1
	v_bfe_u32 v22, v24, 16, 1
	s_delay_alu instid0(VALU_DEP_1)
	v_add3_u32 v48, v24, v22, 0x7fff
                                        ; implicit-def: $vgpr24_vgpr25
; %bb.1400:                             ;   in Loop: Header=BB8_1058 Depth=1
	s_and_not1_saveexec_b32 s10, s10
; %bb.1401:                             ;   in Loop: Header=BB8_1058 Depth=1
	v_and_b32_e32 v22, 0xffff, v24
	v_or_b32_e32 v25, 0x10000, v24
	s_delay_alu instid0(VALU_DEP_2) | instskip(NEXT) | instid1(VALU_DEP_2)
	v_cmp_eq_u32_e32 vcc_lo, 0, v22
	v_cndmask_b32_e32 v48, v25, v24, vcc_lo
; %bb.1402:                             ;   in Loop: Header=BB8_1058 Depth=1
	s_or_b32 exec_lo, exec_lo, s10
	v_and_b32_e32 v22, 0xffff0000, v32
	s_mov_b32 s10, exec_lo
                                        ; implicit-def: $vgpr38
	s_delay_alu instid0(VALU_DEP_1) | instskip(NEXT) | instid1(VALU_DEP_1)
	v_mul_f32_e32 v22, v23, v22
	v_and_b32_e32 v24, 0x7f800000, v22
	s_delay_alu instid0(VALU_DEP_1)
	v_cmpx_ne_u32_e32 0x7f800000, v24
	s_xor_b32 s10, exec_lo, s10
; %bb.1403:                             ;   in Loop: Header=BB8_1058 Depth=1
	v_bfe_u32 v24, v22, 16, 1
	s_delay_alu instid0(VALU_DEP_1)
	v_add3_u32 v38, v22, v24, 0x7fff
                                        ; implicit-def: $vgpr22
; %bb.1404:                             ;   in Loop: Header=BB8_1058 Depth=1
	s_and_not1_saveexec_b32 s10, s10
; %bb.1405:                             ;   in Loop: Header=BB8_1058 Depth=1
	v_and_b32_e32 v24, 0xffff, v22
	v_or_b32_e32 v25, 0x10000, v22
	s_delay_alu instid0(VALU_DEP_2) | instskip(NEXT) | instid1(VALU_DEP_2)
	v_cmp_eq_u32_e32 vcc_lo, 0, v24
	v_cndmask_b32_e32 v38, v25, v22, vcc_lo
; %bb.1406:                             ;   in Loop: Header=BB8_1058 Depth=1
	s_or_b32 exec_lo, exec_lo, s10
	v_lshlrev_b32_e32 v22, 16, v33
	s_mov_b32 s10, exec_lo
                                        ; implicit-def: $vgpr39
	s_delay_alu instid0(VALU_DEP_1) | instskip(NEXT) | instid1(VALU_DEP_1)
	v_mul_f32_e32 v22, v23, v22
	v_and_b32_e32 v24, 0x7f800000, v22
	s_delay_alu instid0(VALU_DEP_1)
	v_cmpx_ne_u32_e32 0x7f800000, v24
	s_xor_b32 s10, exec_lo, s10
; %bb.1407:                             ;   in Loop: Header=BB8_1058 Depth=1
	v_bfe_u32 v24, v22, 16, 1
	s_delay_alu instid0(VALU_DEP_1)
	v_add3_u32 v39, v22, v24, 0x7fff
                                        ; implicit-def: $vgpr22
; %bb.1408:                             ;   in Loop: Header=BB8_1058 Depth=1
	s_and_not1_saveexec_b32 s10, s10
; %bb.1409:                             ;   in Loop: Header=BB8_1058 Depth=1
	v_and_b32_e32 v24, 0xffff, v22
	v_or_b32_e32 v25, 0x10000, v22
	s_delay_alu instid0(VALU_DEP_2) | instskip(NEXT) | instid1(VALU_DEP_2)
	v_cmp_eq_u32_e32 vcc_lo, 0, v24
	v_cndmask_b32_e32 v39, v25, v22, vcc_lo
; %bb.1410:                             ;   in Loop: Header=BB8_1058 Depth=1
	s_or_b32 exec_lo, exec_lo, s10
	v_and_b32_e32 v22, 0xffff0000, v33
	s_mov_b32 s10, exec_lo
                                        ; implicit-def: $vgpr36
	s_delay_alu instid0(VALU_DEP_1) | instskip(NEXT) | instid1(VALU_DEP_1)
	v_mul_f32_e32 v22, v23, v22
	v_and_b32_e32 v24, 0x7f800000, v22
	s_delay_alu instid0(VALU_DEP_1)
	v_cmpx_ne_u32_e32 0x7f800000, v24
	s_xor_b32 s10, exec_lo, s10
; %bb.1411:                             ;   in Loop: Header=BB8_1058 Depth=1
	v_bfe_u32 v24, v22, 16, 1
	s_delay_alu instid0(VALU_DEP_1)
	v_add3_u32 v36, v22, v24, 0x7fff
                                        ; implicit-def: $vgpr22
; %bb.1412:                             ;   in Loop: Header=BB8_1058 Depth=1
	s_and_not1_saveexec_b32 s10, s10
; %bb.1413:                             ;   in Loop: Header=BB8_1058 Depth=1
	v_and_b32_e32 v24, 0xffff, v22
	v_or_b32_e32 v25, 0x10000, v22
	s_delay_alu instid0(VALU_DEP_2) | instskip(NEXT) | instid1(VALU_DEP_2)
	v_cmp_eq_u32_e32 vcc_lo, 0, v24
	v_cndmask_b32_e32 v36, v25, v22, vcc_lo
; %bb.1414:                             ;   in Loop: Header=BB8_1058 Depth=1
	s_or_b32 exec_lo, exec_lo, s10
	v_lshlrev_b32_e32 v22, 16, v34
	s_mov_b32 s10, exec_lo
                                        ; implicit-def: $vgpr37
	s_delay_alu instid0(VALU_DEP_1) | instskip(NEXT) | instid1(VALU_DEP_1)
	v_mul_f32_e32 v22, v23, v22
	v_and_b32_e32 v24, 0x7f800000, v22
	s_delay_alu instid0(VALU_DEP_1)
	v_cmpx_ne_u32_e32 0x7f800000, v24
	s_xor_b32 s10, exec_lo, s10
; %bb.1415:                             ;   in Loop: Header=BB8_1058 Depth=1
	v_bfe_u32 v24, v22, 16, 1
	s_delay_alu instid0(VALU_DEP_1)
	v_add3_u32 v37, v22, v24, 0x7fff
                                        ; implicit-def: $vgpr22
; %bb.1416:                             ;   in Loop: Header=BB8_1058 Depth=1
	s_and_not1_saveexec_b32 s10, s10
; %bb.1417:                             ;   in Loop: Header=BB8_1058 Depth=1
	v_and_b32_e32 v24, 0xffff, v22
	v_or_b32_e32 v25, 0x10000, v22
	s_delay_alu instid0(VALU_DEP_2) | instskip(NEXT) | instid1(VALU_DEP_2)
	v_cmp_eq_u32_e32 vcc_lo, 0, v24
	v_cndmask_b32_e32 v37, v25, v22, vcc_lo
; %bb.1418:                             ;   in Loop: Header=BB8_1058 Depth=1
	s_or_b32 exec_lo, exec_lo, s10
	v_and_b32_e32 v22, 0xffff0000, v34
	s_mov_b32 s10, exec_lo
                                        ; implicit-def: $vgpr32
	s_delay_alu instid0(VALU_DEP_1) | instskip(NEXT) | instid1(VALU_DEP_1)
	v_mul_f32_e32 v22, v23, v22
	v_and_b32_e32 v24, 0x7f800000, v22
	s_delay_alu instid0(VALU_DEP_1)
	v_cmpx_ne_u32_e32 0x7f800000, v24
	s_xor_b32 s10, exec_lo, s10
; %bb.1419:                             ;   in Loop: Header=BB8_1058 Depth=1
	v_bfe_u32 v24, v22, 16, 1
	s_delay_alu instid0(VALU_DEP_1)
	v_add3_u32 v32, v22, v24, 0x7fff
                                        ; implicit-def: $vgpr22
; %bb.1420:                             ;   in Loop: Header=BB8_1058 Depth=1
	s_and_not1_saveexec_b32 s10, s10
; %bb.1421:                             ;   in Loop: Header=BB8_1058 Depth=1
	v_and_b32_e32 v24, 0xffff, v22
	v_or_b32_e32 v25, 0x10000, v22
	s_delay_alu instid0(VALU_DEP_2) | instskip(NEXT) | instid1(VALU_DEP_2)
	v_cmp_eq_u32_e32 vcc_lo, 0, v24
	v_cndmask_b32_e32 v32, v25, v22, vcc_lo
; %bb.1422:                             ;   in Loop: Header=BB8_1058 Depth=1
	s_or_b32 exec_lo, exec_lo, s10
	v_lshlrev_b32_e32 v22, 16, v35
	s_mov_b32 s10, exec_lo
                                        ; implicit-def: $vgpr33
	s_delay_alu instid0(VALU_DEP_1) | instskip(NEXT) | instid1(VALU_DEP_1)
	v_mul_f32_e32 v22, v23, v22
	v_and_b32_e32 v24, 0x7f800000, v22
	s_delay_alu instid0(VALU_DEP_1)
	v_cmpx_ne_u32_e32 0x7f800000, v24
	s_xor_b32 s10, exec_lo, s10
; %bb.1423:                             ;   in Loop: Header=BB8_1058 Depth=1
	v_bfe_u32 v24, v22, 16, 1
	s_delay_alu instid0(VALU_DEP_1)
	v_add3_u32 v33, v22, v24, 0x7fff
                                        ; implicit-def: $vgpr22
; %bb.1424:                             ;   in Loop: Header=BB8_1058 Depth=1
	s_and_not1_saveexec_b32 s10, s10
; %bb.1425:                             ;   in Loop: Header=BB8_1058 Depth=1
	v_and_b32_e32 v24, 0xffff, v22
	v_or_b32_e32 v25, 0x10000, v22
	s_delay_alu instid0(VALU_DEP_2) | instskip(NEXT) | instid1(VALU_DEP_2)
	v_cmp_eq_u32_e32 vcc_lo, 0, v24
	v_cndmask_b32_e32 v33, v25, v22, vcc_lo
; %bb.1426:                             ;   in Loop: Header=BB8_1058 Depth=1
	s_or_b32 exec_lo, exec_lo, s10
	v_and_b32_e32 v22, 0xffff0000, v35
	s_mov_b32 s10, exec_lo
                                        ; implicit-def: $vgpr28
	s_delay_alu instid0(VALU_DEP_1) | instskip(NEXT) | instid1(VALU_DEP_1)
	v_mul_f32_e32 v22, v23, v22
	v_and_b32_e32 v24, 0x7f800000, v22
	s_delay_alu instid0(VALU_DEP_1)
	v_cmpx_ne_u32_e32 0x7f800000, v24
	s_xor_b32 s10, exec_lo, s10
; %bb.1427:                             ;   in Loop: Header=BB8_1058 Depth=1
	v_bfe_u32 v24, v22, 16, 1
	s_delay_alu instid0(VALU_DEP_1)
	v_add3_u32 v28, v22, v24, 0x7fff
                                        ; implicit-def: $vgpr22
; %bb.1428:                             ;   in Loop: Header=BB8_1058 Depth=1
	s_and_not1_saveexec_b32 s10, s10
; %bb.1429:                             ;   in Loop: Header=BB8_1058 Depth=1
	v_and_b32_e32 v24, 0xffff, v22
	v_or_b32_e32 v25, 0x10000, v22
	s_delay_alu instid0(VALU_DEP_2) | instskip(NEXT) | instid1(VALU_DEP_2)
	v_cmp_eq_u32_e32 vcc_lo, 0, v24
	v_cndmask_b32_e32 v28, v25, v22, vcc_lo
; %bb.1430:                             ;   in Loop: Header=BB8_1058 Depth=1
	s_or_b32 exec_lo, exec_lo, s10
	v_lshlrev_b32_e32 v22, 16, v18
	s_mov_b32 s10, exec_lo
                                        ; implicit-def: $vgpr29
	s_delay_alu instid0(VALU_DEP_1) | instskip(NEXT) | instid1(VALU_DEP_1)
	v_mul_f32_e32 v22, v23, v22
	v_and_b32_e32 v24, 0x7f800000, v22
	s_delay_alu instid0(VALU_DEP_1)
	v_cmpx_ne_u32_e32 0x7f800000, v24
	s_xor_b32 s10, exec_lo, s10
; %bb.1431:                             ;   in Loop: Header=BB8_1058 Depth=1
	v_bfe_u32 v24, v22, 16, 1
	s_delay_alu instid0(VALU_DEP_1)
	v_add3_u32 v29, v22, v24, 0x7fff
                                        ; implicit-def: $vgpr22
; %bb.1432:                             ;   in Loop: Header=BB8_1058 Depth=1
	s_and_not1_saveexec_b32 s10, s10
; %bb.1433:                             ;   in Loop: Header=BB8_1058 Depth=1
	v_and_b32_e32 v24, 0xffff, v22
	v_or_b32_e32 v25, 0x10000, v22
	s_delay_alu instid0(VALU_DEP_2) | instskip(NEXT) | instid1(VALU_DEP_2)
	v_cmp_eq_u32_e32 vcc_lo, 0, v24
	v_cndmask_b32_e32 v29, v25, v22, vcc_lo
; %bb.1434:                             ;   in Loop: Header=BB8_1058 Depth=1
	s_or_b32 exec_lo, exec_lo, s10
	v_and_b32_e32 v18, 0xffff0000, v18
	s_mov_b32 s10, exec_lo
                                        ; implicit-def: $vgpr26
	s_delay_alu instid0(VALU_DEP_1) | instskip(NEXT) | instid1(VALU_DEP_1)
	v_mul_f32_e32 v18, v23, v18
	v_and_b32_e32 v22, 0x7f800000, v18
	s_delay_alu instid0(VALU_DEP_1)
	v_cmpx_ne_u32_e32 0x7f800000, v22
	s_xor_b32 s10, exec_lo, s10
; %bb.1435:                             ;   in Loop: Header=BB8_1058 Depth=1
	v_bfe_u32 v22, v18, 16, 1
	s_delay_alu instid0(VALU_DEP_1)
	v_add3_u32 v26, v18, v22, 0x7fff
                                        ; implicit-def: $vgpr18
; %bb.1436:                             ;   in Loop: Header=BB8_1058 Depth=1
	s_and_not1_saveexec_b32 s10, s10
; %bb.1437:                             ;   in Loop: Header=BB8_1058 Depth=1
	v_and_b32_e32 v22, 0xffff, v18
	v_or_b32_e32 v24, 0x10000, v18
	s_delay_alu instid0(VALU_DEP_2) | instskip(NEXT) | instid1(VALU_DEP_2)
	v_cmp_eq_u32_e32 vcc_lo, 0, v22
	v_cndmask_b32_e32 v26, v24, v18, vcc_lo
; %bb.1438:                             ;   in Loop: Header=BB8_1058 Depth=1
	s_or_b32 exec_lo, exec_lo, s10
	v_lshlrev_b32_e32 v18, 16, v19
	s_mov_b32 s10, exec_lo
                                        ; implicit-def: $vgpr27
	s_delay_alu instid0(VALU_DEP_1) | instskip(NEXT) | instid1(VALU_DEP_1)
	v_mul_f32_e32 v18, v23, v18
	v_and_b32_e32 v22, 0x7f800000, v18
	s_delay_alu instid0(VALU_DEP_1)
	v_cmpx_ne_u32_e32 0x7f800000, v22
	s_xor_b32 s10, exec_lo, s10
; %bb.1439:                             ;   in Loop: Header=BB8_1058 Depth=1
	v_bfe_u32 v22, v18, 16, 1
	s_delay_alu instid0(VALU_DEP_1)
	v_add3_u32 v27, v18, v22, 0x7fff
                                        ; implicit-def: $vgpr18
; %bb.1440:                             ;   in Loop: Header=BB8_1058 Depth=1
	s_and_not1_saveexec_b32 s10, s10
; %bb.1441:                             ;   in Loop: Header=BB8_1058 Depth=1
	v_and_b32_e32 v22, 0xffff, v18
	v_or_b32_e32 v24, 0x10000, v18
	s_delay_alu instid0(VALU_DEP_2) | instskip(NEXT) | instid1(VALU_DEP_2)
	v_cmp_eq_u32_e32 vcc_lo, 0, v22
	v_cndmask_b32_e32 v27, v24, v18, vcc_lo
; %bb.1442:                             ;   in Loop: Header=BB8_1058 Depth=1
	s_or_b32 exec_lo, exec_lo, s10
	v_and_b32_e32 v18, 0xffff0000, v19
	s_mov_b32 s10, exec_lo
                                        ; implicit-def: $vgpr24
	s_delay_alu instid0(VALU_DEP_1) | instskip(NEXT) | instid1(VALU_DEP_1)
	v_mul_f32_e32 v18, v23, v18
	v_and_b32_e32 v19, 0x7f800000, v18
	s_delay_alu instid0(VALU_DEP_1)
	v_cmpx_ne_u32_e32 0x7f800000, v19
	s_xor_b32 s10, exec_lo, s10
; %bb.1443:                             ;   in Loop: Header=BB8_1058 Depth=1
	v_bfe_u32 v19, v18, 16, 1
	s_delay_alu instid0(VALU_DEP_1)
	v_add3_u32 v24, v18, v19, 0x7fff
                                        ; implicit-def: $vgpr18
; %bb.1444:                             ;   in Loop: Header=BB8_1058 Depth=1
	s_and_not1_saveexec_b32 s10, s10
; %bb.1445:                             ;   in Loop: Header=BB8_1058 Depth=1
	v_and_b32_e32 v19, 0xffff, v18
	v_or_b32_e32 v22, 0x10000, v18
	s_delay_alu instid0(VALU_DEP_2) | instskip(NEXT) | instid1(VALU_DEP_2)
	v_cmp_eq_u32_e32 vcc_lo, 0, v19
	v_cndmask_b32_e32 v24, v22, v18, vcc_lo
; %bb.1446:                             ;   in Loop: Header=BB8_1058 Depth=1
	s_or_b32 exec_lo, exec_lo, s10
	v_lshlrev_b32_e32 v18, 16, v20
	s_mov_b32 s10, exec_lo
                                        ; implicit-def: $vgpr25
	s_delay_alu instid0(VALU_DEP_1) | instskip(NEXT) | instid1(VALU_DEP_1)
	v_mul_f32_e32 v18, v23, v18
	v_and_b32_e32 v19, 0x7f800000, v18
	s_delay_alu instid0(VALU_DEP_1)
	v_cmpx_ne_u32_e32 0x7f800000, v19
	s_xor_b32 s10, exec_lo, s10
; %bb.1447:                             ;   in Loop: Header=BB8_1058 Depth=1
	v_bfe_u32 v19, v18, 16, 1
	s_delay_alu instid0(VALU_DEP_1)
	v_add3_u32 v25, v18, v19, 0x7fff
                                        ; implicit-def: $vgpr18
; %bb.1448:                             ;   in Loop: Header=BB8_1058 Depth=1
	s_and_not1_saveexec_b32 s10, s10
; %bb.1449:                             ;   in Loop: Header=BB8_1058 Depth=1
	v_and_b32_e32 v19, 0xffff, v18
	v_or_b32_e32 v22, 0x10000, v18
	s_delay_alu instid0(VALU_DEP_2) | instskip(NEXT) | instid1(VALU_DEP_2)
	v_cmp_eq_u32_e32 vcc_lo, 0, v19
	v_cndmask_b32_e32 v25, v22, v18, vcc_lo
; %bb.1450:                             ;   in Loop: Header=BB8_1058 Depth=1
	s_or_b32 exec_lo, exec_lo, s10
	v_and_b32_e32 v18, 0xffff0000, v20
	s_mov_b32 s10, exec_lo
                                        ; implicit-def: $vgpr20
	s_delay_alu instid0(VALU_DEP_1) | instskip(NEXT) | instid1(VALU_DEP_1)
	v_mul_f32_e32 v18, v23, v18
	v_and_b32_e32 v19, 0x7f800000, v18
	s_delay_alu instid0(VALU_DEP_1)
	v_cmpx_ne_u32_e32 0x7f800000, v19
	s_xor_b32 s10, exec_lo, s10
; %bb.1451:                             ;   in Loop: Header=BB8_1058 Depth=1
	v_bfe_u32 v19, v18, 16, 1
	s_delay_alu instid0(VALU_DEP_1)
	v_add3_u32 v20, v18, v19, 0x7fff
                                        ; implicit-def: $vgpr18
; %bb.1452:                             ;   in Loop: Header=BB8_1058 Depth=1
	s_and_not1_saveexec_b32 s10, s10
; %bb.1453:                             ;   in Loop: Header=BB8_1058 Depth=1
	v_and_b32_e32 v19, 0xffff, v18
	v_or_b32_e32 v20, 0x10000, v18
	s_delay_alu instid0(VALU_DEP_2) | instskip(NEXT) | instid1(VALU_DEP_2)
	v_cmp_eq_u32_e32 vcc_lo, 0, v19
	v_cndmask_b32_e32 v20, v20, v18, vcc_lo
; %bb.1454:                             ;   in Loop: Header=BB8_1058 Depth=1
	s_or_b32 exec_lo, exec_lo, s10
	v_lshlrev_b32_e32 v18, 16, v21
	s_mov_b32 s10, exec_lo
                                        ; implicit-def: $vgpr22
	s_delay_alu instid0(VALU_DEP_1) | instskip(NEXT) | instid1(VALU_DEP_1)
	v_mul_f32_e32 v18, v23, v18
	v_and_b32_e32 v19, 0x7f800000, v18
	s_delay_alu instid0(VALU_DEP_1)
	v_cmpx_ne_u32_e32 0x7f800000, v19
	s_xor_b32 s10, exec_lo, s10
; %bb.1455:                             ;   in Loop: Header=BB8_1058 Depth=1
	v_bfe_u32 v19, v18, 16, 1
	s_delay_alu instid0(VALU_DEP_1)
	v_add3_u32 v22, v18, v19, 0x7fff
                                        ; implicit-def: $vgpr18
; %bb.1456:                             ;   in Loop: Header=BB8_1058 Depth=1
	s_and_not1_saveexec_b32 s10, s10
; %bb.1457:                             ;   in Loop: Header=BB8_1058 Depth=1
	v_and_b32_e32 v19, 0xffff, v18
	v_or_b32_e32 v22, 0x10000, v18
	s_delay_alu instid0(VALU_DEP_2) | instskip(NEXT) | instid1(VALU_DEP_2)
	v_cmp_eq_u32_e32 vcc_lo, 0, v19
	v_cndmask_b32_e32 v22, v22, v18, vcc_lo
; %bb.1458:                             ;   in Loop: Header=BB8_1058 Depth=1
	s_or_b32 exec_lo, exec_lo, s10
	v_and_b32_e32 v18, 0xffff0000, v21
	s_delay_alu instid0(VALU_DEP_1) | instskip(NEXT) | instid1(VALU_DEP_1)
	v_mul_f32_e32 v18, v23, v18
	v_and_b32_e32 v19, 0x7f800000, v18
	s_delay_alu instid0(VALU_DEP_1) | instskip(SKIP_1) | instid1(SALU_CYCLE_1)
	v_cmp_ne_u32_e32 vcc_lo, 0x7f800000, v19
                                        ; implicit-def: $vgpr19
	s_and_saveexec_b32 s10, vcc_lo
	s_xor_b32 s10, exec_lo, s10
; %bb.1459:                             ;   in Loop: Header=BB8_1058 Depth=1
	v_bfe_u32 v19, v18, 16, 1
	s_delay_alu instid0(VALU_DEP_1)
	v_add3_u32 v19, v18, v19, 0x7fff
                                        ; implicit-def: $vgpr18
; %bb.1460:                             ;   in Loop: Header=BB8_1058 Depth=1
	s_and_not1_saveexec_b32 s10, s10
; %bb.1461:                             ;   in Loop: Header=BB8_1058 Depth=1
	v_and_b32_e32 v19, 0xffff, v18
	v_or_b32_e32 v21, 0x10000, v18
	s_delay_alu instid0(VALU_DEP_2) | instskip(NEXT) | instid1(VALU_DEP_2)
	v_cmp_eq_u32_e32 vcc_lo, 0, v19
	v_cndmask_b32_e32 v19, v21, v18, vcc_lo
; %bb.1462:                             ;   in Loop: Header=BB8_1058 Depth=1
	s_or_b32 exec_lo, exec_lo, s10
	v_and_b32_e32 v18, 0xffff0000, v48
	v_lshlrev_b32_e32 v21, 16, v14
	s_delay_alu instid0(VALU_DEP_1) | instskip(NEXT) | instid1(VALU_DEP_1)
	v_add_f32_e32 v21, v21, v18
	v_and_b32_e32 v18, 0x7f800000, v21
	s_delay_alu instid0(VALU_DEP_1) | instskip(SKIP_1) | instid1(SALU_CYCLE_1)
	v_cmp_ne_u32_e32 vcc_lo, 0x7f800000, v18
                                        ; implicit-def: $vgpr18
	s_and_saveexec_b32 s10, vcc_lo
	s_xor_b32 s10, exec_lo, s10
; %bb.1463:                             ;   in Loop: Header=BB8_1058 Depth=1
	v_bfe_u32 v18, v21, 16, 1
	s_delay_alu instid0(VALU_DEP_1)
	v_add3_u32 v18, v21, v18, 0x7fff
                                        ; implicit-def: $vgpr21
; %bb.1464:                             ;   in Loop: Header=BB8_1058 Depth=1
	s_and_not1_saveexec_b32 s10, s10
; %bb.1465:                             ;   in Loop: Header=BB8_1058 Depth=1
	v_and_b32_e32 v18, 0xffff, v21
	v_or_b32_e32 v23, 0x10000, v21
	s_delay_alu instid0(VALU_DEP_2) | instskip(NEXT) | instid1(VALU_DEP_2)
	v_cmp_eq_u32_e32 vcc_lo, 0, v18
	v_cndmask_b32_e32 v18, v23, v21, vcc_lo
; %bb.1466:                             ;   in Loop: Header=BB8_1058 Depth=1
	s_or_b32 exec_lo, exec_lo, s10
	v_and_b32_e32 v14, 0xffff0000, v14
	v_and_b32_e32 v21, 0xffff0000, v38
	s_delay_alu instid0(VALU_DEP_1) | instskip(NEXT) | instid1(VALU_DEP_1)
	v_add_f32_e32 v21, v14, v21
	v_and_b32_e32 v14, 0x7f800000, v21
	s_delay_alu instid0(VALU_DEP_1) | instskip(SKIP_1) | instid1(SALU_CYCLE_1)
	v_cmp_ne_u32_e32 vcc_lo, 0x7f800000, v14
                                        ; implicit-def: $vgpr14
	s_and_saveexec_b32 s10, vcc_lo
	s_xor_b32 s10, exec_lo, s10
; %bb.1467:                             ;   in Loop: Header=BB8_1058 Depth=1
	v_bfe_u32 v14, v21, 16, 1
	s_delay_alu instid0(VALU_DEP_1)
	v_add3_u32 v14, v21, v14, 0x7fff
                                        ; implicit-def: $vgpr21
; %bb.1468:                             ;   in Loop: Header=BB8_1058 Depth=1
	s_and_not1_saveexec_b32 s10, s10
; %bb.1469:                             ;   in Loop: Header=BB8_1058 Depth=1
	v_and_b32_e32 v14, 0xffff, v21
	v_or_b32_e32 v23, 0x10000, v21
	s_delay_alu instid0(VALU_DEP_2) | instskip(NEXT) | instid1(VALU_DEP_2)
	v_cmp_eq_u32_e32 vcc_lo, 0, v14
	v_cndmask_b32_e32 v14, v23, v21, vcc_lo
; %bb.1470:                             ;   in Loop: Header=BB8_1058 Depth=1
	s_or_b32 exec_lo, exec_lo, s10
	v_and_b32_e32 v21, 0xffff0000, v39
	v_lshlrev_b32_e32 v23, 16, v15
	s_delay_alu instid0(VALU_DEP_1) | instskip(NEXT) | instid1(VALU_DEP_1)
	v_add_f32_e32 v23, v23, v21
	v_and_b32_e32 v21, 0x7f800000, v23
	s_delay_alu instid0(VALU_DEP_1) | instskip(SKIP_1) | instid1(SALU_CYCLE_1)
	v_cmp_ne_u32_e32 vcc_lo, 0x7f800000, v21
                                        ; implicit-def: $vgpr21
	s_and_saveexec_b32 s10, vcc_lo
	s_xor_b32 s10, exec_lo, s10
; %bb.1471:                             ;   in Loop: Header=BB8_1058 Depth=1
	v_bfe_u32 v21, v23, 16, 1
	s_delay_alu instid0(VALU_DEP_1)
	v_add3_u32 v21, v23, v21, 0x7fff
                                        ; implicit-def: $vgpr23
; %bb.1472:                             ;   in Loop: Header=BB8_1058 Depth=1
	s_and_not1_saveexec_b32 s10, s10
; %bb.1473:                             ;   in Loop: Header=BB8_1058 Depth=1
	v_and_b32_e32 v21, 0xffff, v23
	v_or_b32_e32 v34, 0x10000, v23
	s_delay_alu instid0(VALU_DEP_2) | instskip(NEXT) | instid1(VALU_DEP_2)
	v_cmp_eq_u32_e32 vcc_lo, 0, v21
	v_cndmask_b32_e32 v21, v34, v23, vcc_lo
; %bb.1474:                             ;   in Loop: Header=BB8_1058 Depth=1
	s_or_b32 exec_lo, exec_lo, s10
	v_and_b32_e32 v15, 0xffff0000, v15
	v_and_b32_e32 v23, 0xffff0000, v36
	s_delay_alu instid0(VALU_DEP_1) | instskip(NEXT) | instid1(VALU_DEP_1)
	v_add_f32_e32 v23, v15, v23
	v_and_b32_e32 v15, 0x7f800000, v23
	s_delay_alu instid0(VALU_DEP_1) | instskip(SKIP_1) | instid1(SALU_CYCLE_1)
	v_cmp_ne_u32_e32 vcc_lo, 0x7f800000, v15
                                        ; implicit-def: $vgpr15
	s_and_saveexec_b32 s10, vcc_lo
	s_xor_b32 s10, exec_lo, s10
; %bb.1475:                             ;   in Loop: Header=BB8_1058 Depth=1
	v_bfe_u32 v15, v23, 16, 1
	s_delay_alu instid0(VALU_DEP_1)
	v_add3_u32 v15, v23, v15, 0x7fff
                                        ; implicit-def: $vgpr23
; %bb.1476:                             ;   in Loop: Header=BB8_1058 Depth=1
	s_and_not1_saveexec_b32 s10, s10
; %bb.1477:                             ;   in Loop: Header=BB8_1058 Depth=1
	v_and_b32_e32 v15, 0xffff, v23
	v_or_b32_e32 v34, 0x10000, v23
	s_delay_alu instid0(VALU_DEP_2) | instskip(NEXT) | instid1(VALU_DEP_2)
	v_cmp_eq_u32_e32 vcc_lo, 0, v15
	v_cndmask_b32_e32 v15, v34, v23, vcc_lo
; %bb.1478:                             ;   in Loop: Header=BB8_1058 Depth=1
	s_or_b32 exec_lo, exec_lo, s10
	v_and_b32_e32 v23, 0xffff0000, v37
	v_lshlrev_b32_e32 v34, 16, v16
	s_delay_alu instid0(VALU_DEP_1) | instskip(NEXT) | instid1(VALU_DEP_1)
	v_add_f32_e32 v34, v34, v23
	v_and_b32_e32 v23, 0x7f800000, v34
	s_delay_alu instid0(VALU_DEP_1) | instskip(SKIP_1) | instid1(SALU_CYCLE_1)
	v_cmp_ne_u32_e32 vcc_lo, 0x7f800000, v23
                                        ; implicit-def: $vgpr23
	s_and_saveexec_b32 s10, vcc_lo
	s_xor_b32 s10, exec_lo, s10
; %bb.1479:                             ;   in Loop: Header=BB8_1058 Depth=1
	v_bfe_u32 v23, v34, 16, 1
	s_delay_alu instid0(VALU_DEP_1)
	v_add3_u32 v23, v34, v23, 0x7fff
                                        ; implicit-def: $vgpr34
; %bb.1480:                             ;   in Loop: Header=BB8_1058 Depth=1
	s_and_not1_saveexec_b32 s10, s10
; %bb.1481:                             ;   in Loop: Header=BB8_1058 Depth=1
	v_and_b32_e32 v23, 0xffff, v34
	v_or_b32_e32 v35, 0x10000, v34
	s_delay_alu instid0(VALU_DEP_2) | instskip(NEXT) | instid1(VALU_DEP_2)
	v_cmp_eq_u32_e32 vcc_lo, 0, v23
	v_cndmask_b32_e32 v23, v35, v34, vcc_lo
; %bb.1482:                             ;   in Loop: Header=BB8_1058 Depth=1
	s_or_b32 exec_lo, exec_lo, s10
	v_and_b32_e32 v16, 0xffff0000, v16
	v_and_b32_e32 v32, 0xffff0000, v32
	s_delay_alu instid0(VALU_DEP_1) | instskip(NEXT) | instid1(VALU_DEP_1)
	v_add_f32_e32 v32, v16, v32
	v_and_b32_e32 v16, 0x7f800000, v32
	s_delay_alu instid0(VALU_DEP_1) | instskip(SKIP_1) | instid1(SALU_CYCLE_1)
	v_cmp_ne_u32_e32 vcc_lo, 0x7f800000, v16
                                        ; implicit-def: $vgpr16
	s_and_saveexec_b32 s10, vcc_lo
	s_xor_b32 s10, exec_lo, s10
; %bb.1483:                             ;   in Loop: Header=BB8_1058 Depth=1
	v_bfe_u32 v16, v32, 16, 1
	s_delay_alu instid0(VALU_DEP_1)
	v_add3_u32 v16, v32, v16, 0x7fff
                                        ; implicit-def: $vgpr32
; %bb.1484:                             ;   in Loop: Header=BB8_1058 Depth=1
	s_and_not1_saveexec_b32 s10, s10
; %bb.1485:                             ;   in Loop: Header=BB8_1058 Depth=1
	v_and_b32_e32 v16, 0xffff, v32
	v_or_b32_e32 v34, 0x10000, v32
	s_delay_alu instid0(VALU_DEP_2) | instskip(NEXT) | instid1(VALU_DEP_2)
	v_cmp_eq_u32_e32 vcc_lo, 0, v16
	v_cndmask_b32_e32 v16, v34, v32, vcc_lo
; %bb.1486:                             ;   in Loop: Header=BB8_1058 Depth=1
	s_or_b32 exec_lo, exec_lo, s10
	v_and_b32_e32 v32, 0xffff0000, v33
	v_lshlrev_b32_e32 v33, 16, v17
	s_delay_alu instid0(VALU_DEP_1) | instskip(NEXT) | instid1(VALU_DEP_1)
	v_add_f32_e32 v33, v33, v32
	v_and_b32_e32 v32, 0x7f800000, v33
	s_delay_alu instid0(VALU_DEP_1) | instskip(SKIP_1) | instid1(SALU_CYCLE_1)
	v_cmp_ne_u32_e32 vcc_lo, 0x7f800000, v32
                                        ; implicit-def: $vgpr32
	s_and_saveexec_b32 s10, vcc_lo
	s_xor_b32 s10, exec_lo, s10
; %bb.1487:                             ;   in Loop: Header=BB8_1058 Depth=1
	v_bfe_u32 v32, v33, 16, 1
	s_delay_alu instid0(VALU_DEP_1)
	v_add3_u32 v32, v33, v32, 0x7fff
                                        ; implicit-def: $vgpr33
; %bb.1488:                             ;   in Loop: Header=BB8_1058 Depth=1
	s_and_not1_saveexec_b32 s10, s10
; %bb.1489:                             ;   in Loop: Header=BB8_1058 Depth=1
	v_and_b32_e32 v32, 0xffff, v33
	v_or_b32_e32 v34, 0x10000, v33
	s_delay_alu instid0(VALU_DEP_2) | instskip(NEXT) | instid1(VALU_DEP_2)
	v_cmp_eq_u32_e32 vcc_lo, 0, v32
	v_cndmask_b32_e32 v32, v34, v33, vcc_lo
; %bb.1490:                             ;   in Loop: Header=BB8_1058 Depth=1
	s_or_b32 exec_lo, exec_lo, s10
	v_and_b32_e32 v17, 0xffff0000, v17
	v_and_b32_e32 v28, 0xffff0000, v28
	s_delay_alu instid0(VALU_DEP_1) | instskip(NEXT) | instid1(VALU_DEP_1)
	v_add_f32_e32 v28, v17, v28
	v_and_b32_e32 v17, 0x7f800000, v28
	s_delay_alu instid0(VALU_DEP_1) | instskip(SKIP_1) | instid1(SALU_CYCLE_1)
	v_cmp_ne_u32_e32 vcc_lo, 0x7f800000, v17
                                        ; implicit-def: $vgpr17
	s_and_saveexec_b32 s10, vcc_lo
	s_xor_b32 s10, exec_lo, s10
; %bb.1491:                             ;   in Loop: Header=BB8_1058 Depth=1
	v_bfe_u32 v17, v28, 16, 1
	s_delay_alu instid0(VALU_DEP_1)
	v_add3_u32 v17, v28, v17, 0x7fff
                                        ; implicit-def: $vgpr28
; %bb.1492:                             ;   in Loop: Header=BB8_1058 Depth=1
	s_and_not1_saveexec_b32 s10, s10
; %bb.1493:                             ;   in Loop: Header=BB8_1058 Depth=1
	v_and_b32_e32 v17, 0xffff, v28
	v_or_b32_e32 v33, 0x10000, v28
	s_delay_alu instid0(VALU_DEP_2) | instskip(NEXT) | instid1(VALU_DEP_2)
	v_cmp_eq_u32_e32 vcc_lo, 0, v17
	v_cndmask_b32_e32 v17, v33, v28, vcc_lo
; %bb.1494:                             ;   in Loop: Header=BB8_1058 Depth=1
	s_or_b32 exec_lo, exec_lo, s10
	v_and_b32_e32 v28, 0xffff0000, v29
	v_lshlrev_b32_e32 v29, 16, v10
	s_delay_alu instid0(VALU_DEP_1) | instskip(NEXT) | instid1(VALU_DEP_1)
	v_add_f32_e32 v29, v29, v28
	v_and_b32_e32 v28, 0x7f800000, v29
	s_delay_alu instid0(VALU_DEP_1) | instskip(SKIP_1) | instid1(SALU_CYCLE_1)
	v_cmp_ne_u32_e32 vcc_lo, 0x7f800000, v28
                                        ; implicit-def: $vgpr28
	s_and_saveexec_b32 s10, vcc_lo
	s_xor_b32 s10, exec_lo, s10
; %bb.1495:                             ;   in Loop: Header=BB8_1058 Depth=1
	v_bfe_u32 v28, v29, 16, 1
	s_delay_alu instid0(VALU_DEP_1)
	v_add3_u32 v28, v29, v28, 0x7fff
                                        ; implicit-def: $vgpr29
; %bb.1496:                             ;   in Loop: Header=BB8_1058 Depth=1
	s_and_not1_saveexec_b32 s10, s10
; %bb.1497:                             ;   in Loop: Header=BB8_1058 Depth=1
	v_and_b32_e32 v28, 0xffff, v29
	v_or_b32_e32 v33, 0x10000, v29
	s_delay_alu instid0(VALU_DEP_2) | instskip(NEXT) | instid1(VALU_DEP_2)
	v_cmp_eq_u32_e32 vcc_lo, 0, v28
	v_cndmask_b32_e32 v28, v33, v29, vcc_lo
; %bb.1498:                             ;   in Loop: Header=BB8_1058 Depth=1
	s_or_b32 exec_lo, exec_lo, s10
	v_and_b32_e32 v10, 0xffff0000, v10
	v_and_b32_e32 v26, 0xffff0000, v26
	s_delay_alu instid0(VALU_DEP_1) | instskip(NEXT) | instid1(VALU_DEP_1)
	v_add_f32_e32 v26, v10, v26
	v_and_b32_e32 v10, 0x7f800000, v26
	s_delay_alu instid0(VALU_DEP_1) | instskip(SKIP_1) | instid1(SALU_CYCLE_1)
	v_cmp_ne_u32_e32 vcc_lo, 0x7f800000, v10
                                        ; implicit-def: $vgpr10
	s_and_saveexec_b32 s10, vcc_lo
	s_xor_b32 s10, exec_lo, s10
; %bb.1499:                             ;   in Loop: Header=BB8_1058 Depth=1
	v_bfe_u32 v10, v26, 16, 1
	s_delay_alu instid0(VALU_DEP_1)
	v_add3_u32 v10, v26, v10, 0x7fff
                                        ; implicit-def: $vgpr26
; %bb.1500:                             ;   in Loop: Header=BB8_1058 Depth=1
	s_and_not1_saveexec_b32 s10, s10
; %bb.1501:                             ;   in Loop: Header=BB8_1058 Depth=1
	v_and_b32_e32 v10, 0xffff, v26
	v_or_b32_e32 v29, 0x10000, v26
	s_delay_alu instid0(VALU_DEP_2) | instskip(NEXT) | instid1(VALU_DEP_2)
	v_cmp_eq_u32_e32 vcc_lo, 0, v10
	v_cndmask_b32_e32 v10, v29, v26, vcc_lo
; %bb.1502:                             ;   in Loop: Header=BB8_1058 Depth=1
	s_or_b32 exec_lo, exec_lo, s10
	v_and_b32_e32 v26, 0xffff0000, v27
	v_lshlrev_b32_e32 v27, 16, v11
	s_delay_alu instid0(VALU_DEP_1) | instskip(NEXT) | instid1(VALU_DEP_1)
	v_add_f32_e32 v27, v27, v26
	v_and_b32_e32 v26, 0x7f800000, v27
	s_delay_alu instid0(VALU_DEP_1) | instskip(SKIP_1) | instid1(SALU_CYCLE_1)
	v_cmp_ne_u32_e32 vcc_lo, 0x7f800000, v26
                                        ; implicit-def: $vgpr26
	s_and_saveexec_b32 s10, vcc_lo
	s_xor_b32 s10, exec_lo, s10
; %bb.1503:                             ;   in Loop: Header=BB8_1058 Depth=1
	v_bfe_u32 v26, v27, 16, 1
	s_delay_alu instid0(VALU_DEP_1)
	v_add3_u32 v26, v27, v26, 0x7fff
                                        ; implicit-def: $vgpr27
; %bb.1504:                             ;   in Loop: Header=BB8_1058 Depth=1
	s_and_not1_saveexec_b32 s10, s10
; %bb.1505:                             ;   in Loop: Header=BB8_1058 Depth=1
	v_and_b32_e32 v26, 0xffff, v27
	v_or_b32_e32 v29, 0x10000, v27
	s_delay_alu instid0(VALU_DEP_2) | instskip(NEXT) | instid1(VALU_DEP_2)
	v_cmp_eq_u32_e32 vcc_lo, 0, v26
	v_cndmask_b32_e32 v26, v29, v27, vcc_lo
; %bb.1506:                             ;   in Loop: Header=BB8_1058 Depth=1
	s_or_b32 exec_lo, exec_lo, s10
	v_and_b32_e32 v11, 0xffff0000, v11
	v_and_b32_e32 v24, 0xffff0000, v24
	s_delay_alu instid0(VALU_DEP_1) | instskip(NEXT) | instid1(VALU_DEP_1)
	v_add_f32_e32 v24, v11, v24
	v_and_b32_e32 v11, 0x7f800000, v24
	s_delay_alu instid0(VALU_DEP_1) | instskip(SKIP_1) | instid1(SALU_CYCLE_1)
	v_cmp_ne_u32_e32 vcc_lo, 0x7f800000, v11
                                        ; implicit-def: $vgpr11
	s_and_saveexec_b32 s10, vcc_lo
	s_xor_b32 s10, exec_lo, s10
; %bb.1507:                             ;   in Loop: Header=BB8_1058 Depth=1
	v_bfe_u32 v11, v24, 16, 1
	s_delay_alu instid0(VALU_DEP_1)
	v_add3_u32 v11, v24, v11, 0x7fff
                                        ; implicit-def: $vgpr24
; %bb.1508:                             ;   in Loop: Header=BB8_1058 Depth=1
	s_and_not1_saveexec_b32 s10, s10
; %bb.1509:                             ;   in Loop: Header=BB8_1058 Depth=1
	v_and_b32_e32 v11, 0xffff, v24
	v_or_b32_e32 v27, 0x10000, v24
	s_delay_alu instid0(VALU_DEP_2) | instskip(NEXT) | instid1(VALU_DEP_2)
	v_cmp_eq_u32_e32 vcc_lo, 0, v11
	v_cndmask_b32_e32 v11, v27, v24, vcc_lo
; %bb.1510:                             ;   in Loop: Header=BB8_1058 Depth=1
	s_or_b32 exec_lo, exec_lo, s10
	v_and_b32_e32 v24, 0xffff0000, v25
	v_lshlrev_b32_e32 v25, 16, v12
	s_delay_alu instid0(VALU_DEP_1) | instskip(NEXT) | instid1(VALU_DEP_1)
	v_add_f32_e32 v25, v25, v24
	v_and_b32_e32 v24, 0x7f800000, v25
	s_delay_alu instid0(VALU_DEP_1) | instskip(SKIP_1) | instid1(SALU_CYCLE_1)
	v_cmp_ne_u32_e32 vcc_lo, 0x7f800000, v24
                                        ; implicit-def: $vgpr24
	s_and_saveexec_b32 s10, vcc_lo
	s_xor_b32 s10, exec_lo, s10
; %bb.1511:                             ;   in Loop: Header=BB8_1058 Depth=1
	v_bfe_u32 v24, v25, 16, 1
	s_delay_alu instid0(VALU_DEP_1)
	v_add3_u32 v24, v25, v24, 0x7fff
                                        ; implicit-def: $vgpr25
; %bb.1512:                             ;   in Loop: Header=BB8_1058 Depth=1
	s_and_not1_saveexec_b32 s10, s10
; %bb.1513:                             ;   in Loop: Header=BB8_1058 Depth=1
	v_and_b32_e32 v24, 0xffff, v25
	v_or_b32_e32 v27, 0x10000, v25
	s_delay_alu instid0(VALU_DEP_2) | instskip(NEXT) | instid1(VALU_DEP_2)
	v_cmp_eq_u32_e32 vcc_lo, 0, v24
	v_cndmask_b32_e32 v24, v27, v25, vcc_lo
; %bb.1514:                             ;   in Loop: Header=BB8_1058 Depth=1
	s_or_b32 exec_lo, exec_lo, s10
	v_and_b32_e32 v12, 0xffff0000, v12
	v_and_b32_e32 v20, 0xffff0000, v20
	s_delay_alu instid0(VALU_DEP_1) | instskip(NEXT) | instid1(VALU_DEP_1)
	v_add_f32_e32 v20, v12, v20
	v_and_b32_e32 v12, 0x7f800000, v20
	s_delay_alu instid0(VALU_DEP_1) | instskip(SKIP_1) | instid1(SALU_CYCLE_1)
	v_cmp_ne_u32_e32 vcc_lo, 0x7f800000, v12
                                        ; implicit-def: $vgpr12
	s_and_saveexec_b32 s10, vcc_lo
	s_xor_b32 s10, exec_lo, s10
; %bb.1515:                             ;   in Loop: Header=BB8_1058 Depth=1
	v_bfe_u32 v12, v20, 16, 1
	s_delay_alu instid0(VALU_DEP_1)
	v_add3_u32 v12, v20, v12, 0x7fff
                                        ; implicit-def: $vgpr20
; %bb.1516:                             ;   in Loop: Header=BB8_1058 Depth=1
	s_and_not1_saveexec_b32 s10, s10
; %bb.1517:                             ;   in Loop: Header=BB8_1058 Depth=1
	v_and_b32_e32 v12, 0xffff, v20
	v_or_b32_e32 v25, 0x10000, v20
	s_delay_alu instid0(VALU_DEP_2) | instskip(NEXT) | instid1(VALU_DEP_2)
	v_cmp_eq_u32_e32 vcc_lo, 0, v12
	v_cndmask_b32_e32 v12, v25, v20, vcc_lo
; %bb.1518:                             ;   in Loop: Header=BB8_1058 Depth=1
	s_or_b32 exec_lo, exec_lo, s10
	v_and_b32_e32 v20, 0xffff0000, v22
	v_lshlrev_b32_e32 v22, 16, v13
	s_delay_alu instid0(VALU_DEP_1) | instskip(NEXT) | instid1(VALU_DEP_1)
	v_add_f32_e32 v22, v22, v20
	v_and_b32_e32 v20, 0x7f800000, v22
	s_delay_alu instid0(VALU_DEP_1) | instskip(SKIP_1) | instid1(SALU_CYCLE_1)
	v_cmp_ne_u32_e32 vcc_lo, 0x7f800000, v20
                                        ; implicit-def: $vgpr20
	s_and_saveexec_b32 s10, vcc_lo
	s_xor_b32 s10, exec_lo, s10
; %bb.1519:                             ;   in Loop: Header=BB8_1058 Depth=1
	v_bfe_u32 v20, v22, 16, 1
	s_delay_alu instid0(VALU_DEP_1)
	v_add3_u32 v20, v22, v20, 0x7fff
                                        ; implicit-def: $vgpr22
; %bb.1520:                             ;   in Loop: Header=BB8_1058 Depth=1
	s_and_not1_saveexec_b32 s10, s10
; %bb.1521:                             ;   in Loop: Header=BB8_1058 Depth=1
	v_and_b32_e32 v20, 0xffff, v22
	v_or_b32_e32 v25, 0x10000, v22
	s_delay_alu instid0(VALU_DEP_2) | instskip(NEXT) | instid1(VALU_DEP_2)
	v_cmp_eq_u32_e32 vcc_lo, 0, v20
	v_cndmask_b32_e32 v20, v25, v22, vcc_lo
; %bb.1522:                             ;   in Loop: Header=BB8_1058 Depth=1
	s_or_b32 exec_lo, exec_lo, s10
	v_and_b32_e32 v13, 0xffff0000, v13
	v_and_b32_e32 v19, 0xffff0000, v19
	s_delay_alu instid0(VALU_DEP_1) | instskip(NEXT) | instid1(VALU_DEP_1)
	v_add_f32_e32 v19, v13, v19
	v_and_b32_e32 v13, 0x7f800000, v19
	s_delay_alu instid0(VALU_DEP_1) | instskip(SKIP_1) | instid1(SALU_CYCLE_1)
	v_cmp_ne_u32_e32 vcc_lo, 0x7f800000, v13
                                        ; implicit-def: $vgpr13
	s_and_saveexec_b32 s10, vcc_lo
	s_xor_b32 s10, exec_lo, s10
; %bb.1523:                             ;   in Loop: Header=BB8_1058 Depth=1
	v_bfe_u32 v13, v19, 16, 1
	s_delay_alu instid0(VALU_DEP_1)
	v_add3_u32 v13, v19, v13, 0x7fff
                                        ; implicit-def: $vgpr19
; %bb.1524:                             ;   in Loop: Header=BB8_1058 Depth=1
	s_and_not1_saveexec_b32 s10, s10
; %bb.1525:                             ;   in Loop: Header=BB8_1058 Depth=1
	v_and_b32_e32 v13, 0xffff, v19
	v_or_b32_e32 v22, 0x10000, v19
	s_delay_alu instid0(VALU_DEP_2) | instskip(NEXT) | instid1(VALU_DEP_2)
	v_cmp_eq_u32_e32 vcc_lo, 0, v13
	v_cndmask_b32_e32 v13, v22, v19, vcc_lo
; %bb.1526:                             ;   in Loop: Header=BB8_1058 Depth=1
	s_or_b32 exec_lo, exec_lo, s10
	v_dual_lshrrev_b32 v19, 16, v21 :: v_dual_lshrrev_b32 v18, 16, v18
	v_dual_lshrrev_b32 v21, 16, v23 :: v_dual_lshrrev_b32 v22, 16, v24
	v_lshrrev_b32_e32 v20, 16, v20
	s_delay_alu instid0(VALU_DEP_3) | instskip(NEXT) | instid1(VALU_DEP_4)
	v_and_or_b32 v15, 0xffff0000, v15, v19
	v_and_or_b32 v14, 0xffff0000, v14, v18
	v_lshrrev_b32_e32 v18, 16, v32
	v_and_or_b32 v16, 0xffff0000, v16, v21
	v_dual_lshrrev_b32 v19, 16, v26 :: v_dual_lshrrev_b32 v21, 16, v28
	v_and_or_b32 v12, 0xffff0000, v12, v22
	s_delay_alu instid0(VALU_DEP_4) | instskip(SKIP_1) | instid1(VALU_DEP_4)
	v_and_or_b32 v17, 0xffff0000, v17, v18
	v_and_or_b32 v13, 0xffff0000, v13, v20
	v_and_or_b32 v11, 0xffff0000, v11, v19
	v_and_or_b32 v10, 0xffff0000, v10, v21
	s_clause 0x1
	global_store_b128 v[46:47], v[14:17], off th:TH_STORE_NT
	global_store_b128 v[46:47], v[10:13], off offset:512 th:TH_STORE_NT
.LBB8_1527:                             ;   in Loop: Header=BB8_1058 Depth=1
	s_wait_xcnt 0x0
	s_or_b32 exec_lo, exec_lo, s7
	v_lshlrev_b32_e32 v22, 10, v75
	s_mov_b32 s27, exec_lo
                                        ; implicit-def: $vgpr20
                                        ; implicit-def: $vgpr10
                                        ; implicit-def: $vgpr21
	s_delay_alu instid0(VALU_DEP_1)
	v_cmpx_ne_u32_e64 v74, v22
	s_cbranch_execz .LBB8_1738
; %bb.1528:                             ;   in Loop: Header=BB8_1058 Depth=1
	v_dual_lshlrev_b32 v10, 5, v77 :: v_dual_sub_nc_u32 v12, v74, v22
	s_mov_b32 s11, 0
	s_mov_b32 s28, exec_lo
	s_delay_alu instid0(VALU_DEP_1) | instskip(NEXT) | instid1(VALU_DEP_1)
	v_dual_sub_nc_u32 v10, v60, v10 :: v_dual_ashrrev_i32 v14, 31, v12
	v_ashrrev_i32_e32 v11, 31, v10
	s_delay_alu instid0(VALU_DEP_1) | instskip(NEXT) | instid1(VALU_DEP_1)
	v_lshrrev_b32_e32 v11, 27, v11
	v_add_nc_u32_e32 v11, v10, v11
	s_delay_alu instid0(VALU_DEP_1) | instskip(NEXT) | instid1(VALU_DEP_1)
	v_and_b32_e32 v13, 0xffffffe0, v11
	v_dual_sub_nc_u32 v23, v10, v13 :: v_dual_lshrrev_b32 v10, 23, v14
	v_ashrrev_i32_e32 v13, 5, v11
	s_delay_alu instid0(VALU_DEP_2) | instskip(NEXT) | instid1(VALU_DEP_1)
	v_dual_lshlrev_b32 v11, 4, v23 :: v_dual_add_nc_u32 v14, v12, v10
	v_lshl_add_u32 v15, v13, 9, v11
	s_delay_alu instid0(VALU_DEP_2) | instskip(NEXT) | instid1(VALU_DEP_2)
	v_and_b32_e32 v24, 0xfffffe00, v14
	v_dual_ashrrev_i32 v14, 9, v14 :: v_dual_sub_nc_u32 v27, v12, v15
	s_delay_alu instid0(VALU_DEP_2) | instskip(NEXT) | instid1(VALU_DEP_1)
	v_dual_add_nc_u32 v10, v15, v22 :: v_dual_sub_nc_u32 v25, v12, v24
	v_cmp_lt_i32_e64 s7, 15, v25
	s_delay_alu instid0(VALU_DEP_1) | instskip(NEXT) | instid1(VALU_DEP_1)
	v_add_co_ci_u32_e64 v16, null, 0, v14, s7
	v_dual_ashrrev_i32 v11, 31, v10 :: v_dual_sub_nc_u32 v26, v16, v13
	s_delay_alu instid0(VALU_DEP_1)
	v_add_nc_u64_e32 v[14:15], v[10:11], v[44:45]
	v_cmpx_lt_i32_e32 15, v27
	s_cbranch_execz .LBB8_1669
; %bb.1529:                             ;   in Loop: Header=BB8_1058 Depth=1
	s_trap 2
	ds_load_b64 v[12:13], v0
	ds_load_b32 v20, v0
	v_add_nc_u64_e32 v[16:17], v[10:11], v[42:43]
	s_mov_b32 s41, 0
	s_mov_b32 s29, 0
                                        ; implicit-def: $sgpr40
	s_wait_dscnt 0x1
	v_add_nc_u64_e32 v[18:19], v[12:13], v[10:11]
	s_wait_dscnt 0x0
	v_lshlrev_b32_e32 v28, 16, v20
	s_branch .LBB8_1531
.LBB8_1530:                             ;   in Loop: Header=BB8_1531 Depth=2
	s_or_b32 exec_lo, exec_lo, s10
	s_delay_alu instid0(VALU_DEP_1) | instskip(SKIP_3) | instid1(SALU_CYCLE_1)
	v_cmp_gt_i32_e32 vcc_lo, 16, v27
	s_or_b32 s29, vcc_lo, s29
	s_and_not1_b32 s10, s40, exec_lo
	s_and_b32 s11, s41, exec_lo
	s_or_b32 s40, s10, s11
	s_and_not1_b32 exec_lo, exec_lo, s29
	s_cbranch_execz .LBB8_1668
.LBB8_1531:                             ;   Parent Loop BB8_1058 Depth=1
                                        ; =>  This Loop Header: Depth=2
                                        ;       Child Loop BB8_1532 Depth 3
                                        ;       Child Loop BB8_1601 Depth 3
	s_add_co_i32 s10, s33, 0xb0
	s_mov_b64 s[12:13], 0
	s_mov_b32 s42, s10
	s_mov_b32 s43, -1
.LBB8_1532:                             ;   Parent Loop BB8_1058 Depth=1
                                        ;     Parent Loop BB8_1531 Depth=2
                                        ; =>    This Inner Loop Header: Depth=3
	s_cmp_eq_u32 s12, 1
	s_cselect_b32 vcc_lo, -1, 0
	s_cmp_eq_u32 s12, 0
	v_dual_cndmask_b32 v21, v17, v19 :: v_dual_cndmask_b32 v20, v16, v18
	s_cselect_b32 s10, -1, 0
	s_and_b32 s11, exec_lo, s43
	s_mov_b64 s[12:13], 1
	s_mov_b32 s43, 0
	global_load_b128 v[10:13], v[20:21], off th:TH_LOAD_NT
	s_wait_xcnt 0x0
	v_add_nc_u64_e32 v[20:21], 0x200, v[20:21]
	s_delay_alu instid0(VALU_DEP_1)
	v_dual_cndmask_b32 v17, v17, v21, s10 :: v_dual_cndmask_b32 v16, v16, v20, s10
	v_dual_cndmask_b32 v19, v19, v21 :: v_dual_cndmask_b32 v18, v18, v20
	s_mov_b32 vcc_lo, s11
	s_wait_loadcnt 0x0
	scratch_store_b128 off, v[10:13], s42
	s_wait_xcnt 0x0
	s_mov_b32 s42, s22
	s_cbranch_vccnz .LBB8_1532
; %bb.1533:                             ;   in Loop: Header=BB8_1531 Depth=2
	s_and_saveexec_b32 s10, s41
	s_cbranch_execz .LBB8_1599
; %bb.1534:                             ;   in Loop: Header=BB8_1531 Depth=2
	scratch_load_b128 v[10:13], off, s33 offset:208
	s_wait_loadcnt 0x0
	v_lshlrev_b32_e32 v20, 16, v10
	s_delay_alu instid0(VALU_DEP_1) | instskip(NEXT) | instid1(VALU_DEP_1)
	v_mul_f32_e32 v20, v28, v20
	v_and_b32_e32 v21, 0x7f800000, v20
	s_delay_alu instid0(VALU_DEP_1) | instskip(SKIP_2) | instid1(SALU_CYCLE_1)
	v_cmp_ne_u32_e32 vcc_lo, 0x7f800000, v21
                                        ; implicit-def: $vgpr21
	s_wait_xcnt 0x0
	s_and_saveexec_b32 s11, vcc_lo
	s_xor_b32 s11, exec_lo, s11
; %bb.1535:                             ;   in Loop: Header=BB8_1531 Depth=2
	v_bfe_u32 v21, v20, 16, 1
	s_delay_alu instid0(VALU_DEP_1)
	v_add3_u32 v21, v20, v21, 0x7fff
                                        ; implicit-def: $vgpr20
; %bb.1536:                             ;   in Loop: Header=BB8_1531 Depth=2
	s_and_not1_saveexec_b32 s11, s11
; %bb.1537:                             ;   in Loop: Header=BB8_1531 Depth=2
	v_and_b32_e32 v21, 0xffff, v20
	v_or_b32_e32 v29, 0x10000, v20
	s_delay_alu instid0(VALU_DEP_2) | instskip(NEXT) | instid1(VALU_DEP_2)
	v_cmp_eq_u32_e32 vcc_lo, 0, v21
	v_cndmask_b32_e32 v21, v29, v20, vcc_lo
; %bb.1538:                             ;   in Loop: Header=BB8_1531 Depth=2
	s_or_b32 exec_lo, exec_lo, s11
	v_and_b32_e32 v10, 0xffff0000, v10
	s_delay_alu instid0(VALU_DEP_1) | instskip(NEXT) | instid1(VALU_DEP_1)
	v_mul_f32_e32 v10, v28, v10
	v_and_b32_e32 v20, 0x7f800000, v10
	s_delay_alu instid0(VALU_DEP_1) | instskip(SKIP_1) | instid1(SALU_CYCLE_1)
	v_cmp_ne_u32_e32 vcc_lo, 0x7f800000, v20
                                        ; implicit-def: $vgpr20
	s_and_saveexec_b32 s11, vcc_lo
	s_xor_b32 s11, exec_lo, s11
; %bb.1539:                             ;   in Loop: Header=BB8_1531 Depth=2
	v_bfe_u32 v20, v10, 16, 1
	s_delay_alu instid0(VALU_DEP_1)
	v_add3_u32 v20, v10, v20, 0x7fff
                                        ; implicit-def: $vgpr10
; %bb.1540:                             ;   in Loop: Header=BB8_1531 Depth=2
	s_and_not1_saveexec_b32 s11, s11
; %bb.1541:                             ;   in Loop: Header=BB8_1531 Depth=2
	v_and_b32_e32 v20, 0xffff, v10
	v_or_b32_e32 v29, 0x10000, v10
	s_delay_alu instid0(VALU_DEP_2) | instskip(NEXT) | instid1(VALU_DEP_2)
	v_cmp_eq_u32_e32 vcc_lo, 0, v20
	v_cndmask_b32_e32 v20, v29, v10, vcc_lo
; %bb.1542:                             ;   in Loop: Header=BB8_1531 Depth=2
	s_or_b32 exec_lo, exec_lo, s11
	v_lshlrev_b32_e32 v10, 16, v11
	s_mov_b32 s11, exec_lo
                                        ; implicit-def: $vgpr37
	s_delay_alu instid0(VALU_DEP_1) | instskip(NEXT) | instid1(VALU_DEP_1)
	v_mul_f32_e32 v10, v28, v10
	v_and_b32_e32 v29, 0x7f800000, v10
	s_delay_alu instid0(VALU_DEP_1)
	v_cmpx_ne_u32_e32 0x7f800000, v29
	s_xor_b32 s11, exec_lo, s11
; %bb.1543:                             ;   in Loop: Header=BB8_1531 Depth=2
	v_bfe_u32 v29, v10, 16, 1
	s_delay_alu instid0(VALU_DEP_1)
	v_add3_u32 v37, v10, v29, 0x7fff
                                        ; implicit-def: $vgpr10
; %bb.1544:                             ;   in Loop: Header=BB8_1531 Depth=2
	s_and_not1_saveexec_b32 s11, s11
; %bb.1545:                             ;   in Loop: Header=BB8_1531 Depth=2
	v_and_b32_e32 v29, 0xffff, v10
	v_or_b32_e32 v32, 0x10000, v10
	s_delay_alu instid0(VALU_DEP_2) | instskip(NEXT) | instid1(VALU_DEP_2)
	v_cmp_eq_u32_e32 vcc_lo, 0, v29
	v_cndmask_b32_e32 v37, v32, v10, vcc_lo
; %bb.1546:                             ;   in Loop: Header=BB8_1531 Depth=2
	s_or_b32 exec_lo, exec_lo, s11
	v_and_b32_e32 v10, 0xffff0000, v11
	s_mov_b32 s11, exec_lo
                                        ; implicit-def: $vgpr35
	s_delay_alu instid0(VALU_DEP_1) | instskip(NEXT) | instid1(VALU_DEP_1)
	v_mul_f32_e32 v10, v28, v10
	v_and_b32_e32 v11, 0x7f800000, v10
	s_delay_alu instid0(VALU_DEP_1)
	v_cmpx_ne_u32_e32 0x7f800000, v11
	s_xor_b32 s11, exec_lo, s11
; %bb.1547:                             ;   in Loop: Header=BB8_1531 Depth=2
	v_bfe_u32 v11, v10, 16, 1
	s_delay_alu instid0(VALU_DEP_1)
	v_add3_u32 v35, v10, v11, 0x7fff
                                        ; implicit-def: $vgpr10
; %bb.1548:                             ;   in Loop: Header=BB8_1531 Depth=2
	s_and_not1_saveexec_b32 s11, s11
; %bb.1549:                             ;   in Loop: Header=BB8_1531 Depth=2
	v_and_b32_e32 v11, 0xffff, v10
	v_or_b32_e32 v29, 0x10000, v10
	s_delay_alu instid0(VALU_DEP_2) | instskip(NEXT) | instid1(VALU_DEP_2)
	v_cmp_eq_u32_e32 vcc_lo, 0, v11
	v_cndmask_b32_e32 v35, v29, v10, vcc_lo
; %bb.1550:                             ;   in Loop: Header=BB8_1531 Depth=2
	s_or_b32 exec_lo, exec_lo, s11
	v_lshlrev_b32_e32 v10, 16, v12
	s_mov_b32 s11, exec_lo
                                        ; implicit-def: $vgpr36
	s_delay_alu instid0(VALU_DEP_1) | instskip(NEXT) | instid1(VALU_DEP_1)
	v_mul_f32_e32 v10, v28, v10
	v_and_b32_e32 v11, 0x7f800000, v10
	s_delay_alu instid0(VALU_DEP_1)
	v_cmpx_ne_u32_e32 0x7f800000, v11
	s_xor_b32 s11, exec_lo, s11
; %bb.1551:                             ;   in Loop: Header=BB8_1531 Depth=2
	v_bfe_u32 v11, v10, 16, 1
	s_delay_alu instid0(VALU_DEP_1)
	v_add3_u32 v36, v10, v11, 0x7fff
                                        ; implicit-def: $vgpr10
; %bb.1552:                             ;   in Loop: Header=BB8_1531 Depth=2
	s_and_not1_saveexec_b32 s11, s11
; %bb.1553:                             ;   in Loop: Header=BB8_1531 Depth=2
	v_and_b32_e32 v11, 0xffff, v10
	v_or_b32_e32 v29, 0x10000, v10
	s_delay_alu instid0(VALU_DEP_2) | instskip(NEXT) | instid1(VALU_DEP_2)
	v_cmp_eq_u32_e32 vcc_lo, 0, v11
	v_cndmask_b32_e32 v36, v29, v10, vcc_lo
; %bb.1554:                             ;   in Loop: Header=BB8_1531 Depth=2
	s_or_b32 exec_lo, exec_lo, s11
	v_and_b32_e32 v10, 0xffff0000, v12
	s_mov_b32 s11, exec_lo
                                        ; implicit-def: $vgpr33
	s_delay_alu instid0(VALU_DEP_1) | instskip(NEXT) | instid1(VALU_DEP_1)
	v_mul_f32_e32 v10, v28, v10
	v_and_b32_e32 v11, 0x7f800000, v10
	s_delay_alu instid0(VALU_DEP_1)
	v_cmpx_ne_u32_e32 0x7f800000, v11
	s_xor_b32 s11, exec_lo, s11
; %bb.1555:                             ;   in Loop: Header=BB8_1531 Depth=2
	v_bfe_u32 v11, v10, 16, 1
	s_delay_alu instid0(VALU_DEP_1)
	v_add3_u32 v33, v10, v11, 0x7fff
                                        ; implicit-def: $vgpr10
; %bb.1556:                             ;   in Loop: Header=BB8_1531 Depth=2
	s_and_not1_saveexec_b32 s11, s11
; %bb.1557:                             ;   in Loop: Header=BB8_1531 Depth=2
	v_and_b32_e32 v11, 0xffff, v10
	v_or_b32_e32 v12, 0x10000, v10
	s_delay_alu instid0(VALU_DEP_2) | instskip(NEXT) | instid1(VALU_DEP_2)
	v_cmp_eq_u32_e32 vcc_lo, 0, v11
	v_cndmask_b32_e32 v33, v12, v10, vcc_lo
; %bb.1558:                             ;   in Loop: Header=BB8_1531 Depth=2
	s_or_b32 exec_lo, exec_lo, s11
	v_lshlrev_b32_e32 v10, 16, v13
	s_mov_b32 s11, exec_lo
                                        ; implicit-def: $vgpr34
	s_delay_alu instid0(VALU_DEP_1) | instskip(NEXT) | instid1(VALU_DEP_1)
	v_mul_f32_e32 v10, v28, v10
	v_and_b32_e32 v11, 0x7f800000, v10
	s_delay_alu instid0(VALU_DEP_1)
	v_cmpx_ne_u32_e32 0x7f800000, v11
	s_xor_b32 s11, exec_lo, s11
; %bb.1559:                             ;   in Loop: Header=BB8_1531 Depth=2
	v_bfe_u32 v11, v10, 16, 1
	s_delay_alu instid0(VALU_DEP_1)
	v_add3_u32 v34, v10, v11, 0x7fff
                                        ; implicit-def: $vgpr10
; %bb.1560:                             ;   in Loop: Header=BB8_1531 Depth=2
	s_and_not1_saveexec_b32 s11, s11
; %bb.1561:                             ;   in Loop: Header=BB8_1531 Depth=2
	v_and_b32_e32 v11, 0xffff, v10
	v_or_b32_e32 v12, 0x10000, v10
	s_delay_alu instid0(VALU_DEP_2) | instskip(NEXT) | instid1(VALU_DEP_2)
	v_cmp_eq_u32_e32 vcc_lo, 0, v11
	v_cndmask_b32_e32 v34, v12, v10, vcc_lo
; %bb.1562:                             ;   in Loop: Header=BB8_1531 Depth=2
	s_or_b32 exec_lo, exec_lo, s11
	v_and_b32_e32 v10, 0xffff0000, v13
	s_mov_b32 s11, exec_lo
                                        ; implicit-def: $vgpr29
	s_delay_alu instid0(VALU_DEP_1) | instskip(NEXT) | instid1(VALU_DEP_1)
	v_mul_f32_e32 v10, v28, v10
	v_and_b32_e32 v11, 0x7f800000, v10
	s_delay_alu instid0(VALU_DEP_1)
	v_cmpx_ne_u32_e32 0x7f800000, v11
	s_xor_b32 s11, exec_lo, s11
; %bb.1563:                             ;   in Loop: Header=BB8_1531 Depth=2
	v_bfe_u32 v11, v10, 16, 1
	s_delay_alu instid0(VALU_DEP_1)
	v_add3_u32 v29, v10, v11, 0x7fff
                                        ; implicit-def: $vgpr10
; %bb.1564:                             ;   in Loop: Header=BB8_1531 Depth=2
	s_and_not1_saveexec_b32 s11, s11
; %bb.1565:                             ;   in Loop: Header=BB8_1531 Depth=2
	v_and_b32_e32 v11, 0xffff, v10
	v_or_b32_e32 v12, 0x10000, v10
	s_delay_alu instid0(VALU_DEP_2) | instskip(NEXT) | instid1(VALU_DEP_2)
	v_cmp_eq_u32_e32 vcc_lo, 0, v11
	v_cndmask_b32_e32 v29, v12, v10, vcc_lo
; %bb.1566:                             ;   in Loop: Header=BB8_1531 Depth=2
	s_or_b32 exec_lo, exec_lo, s11
	scratch_load_b128 v[10:13], off, s33 offset:224
	v_and_b32_e32 v21, 0xffff0000, v21
	s_wait_loadcnt 0x0
	v_lshlrev_b32_e32 v32, 16, v10
	s_delay_alu instid0(VALU_DEP_1) | instskip(NEXT) | instid1(VALU_DEP_1)
	v_add_f32_e32 v21, v21, v32
	v_and_b32_e32 v32, 0x7f800000, v21
	s_delay_alu instid0(VALU_DEP_1) | instskip(SKIP_2) | instid1(SALU_CYCLE_1)
	v_cmp_ne_u32_e32 vcc_lo, 0x7f800000, v32
                                        ; implicit-def: $vgpr32
	s_wait_xcnt 0x0
	s_and_saveexec_b32 s11, vcc_lo
	s_xor_b32 s11, exec_lo, s11
; %bb.1567:                             ;   in Loop: Header=BB8_1531 Depth=2
	v_bfe_u32 v32, v21, 16, 1
	s_delay_alu instid0(VALU_DEP_1)
	v_add3_u32 v32, v21, v32, 0x7fff
                                        ; implicit-def: $vgpr21
; %bb.1568:                             ;   in Loop: Header=BB8_1531 Depth=2
	s_and_not1_saveexec_b32 s11, s11
; %bb.1569:                             ;   in Loop: Header=BB8_1531 Depth=2
	v_and_b32_e32 v32, 0xffff, v21
	v_or_b32_e32 v38, 0x10000, v21
	s_delay_alu instid0(VALU_DEP_2) | instskip(NEXT) | instid1(VALU_DEP_2)
	v_cmp_eq_u32_e32 vcc_lo, 0, v32
	v_cndmask_b32_e32 v32, v38, v21, vcc_lo
; %bb.1570:                             ;   in Loop: Header=BB8_1531 Depth=2
	s_or_b32 exec_lo, exec_lo, s11
	v_and_b32_e32 v21, 0xffff0000, v10
	v_and_b32_e32 v20, 0xffff0000, v20
	s_delay_alu instid0(VALU_DEP_2) | instskip(NEXT) | instid1(VALU_DEP_1)
	v_mov_b32_e32 v10, v21
	v_pk_add_f32 v[20:21], v[10:11], v[20:21]
	s_delay_alu instid0(VALU_DEP_1) | instskip(NEXT) | instid1(VALU_DEP_1)
	v_and_b32_e32 v10, 0x7f800000, v20
	v_cmp_ne_u32_e32 vcc_lo, 0x7f800000, v10
                                        ; implicit-def: $vgpr10
	s_and_saveexec_b32 s11, vcc_lo
	s_delay_alu instid0(SALU_CYCLE_1)
	s_xor_b32 s11, exec_lo, s11
; %bb.1571:                             ;   in Loop: Header=BB8_1531 Depth=2
	v_bfe_u32 v10, v20, 16, 1
	s_delay_alu instid0(VALU_DEP_1)
	v_add3_u32 v10, v20, v10, 0x7fff
                                        ; implicit-def: $vgpr20_vgpr21
; %bb.1572:                             ;   in Loop: Header=BB8_1531 Depth=2
	s_and_not1_saveexec_b32 s11, s11
; %bb.1573:                             ;   in Loop: Header=BB8_1531 Depth=2
	v_and_b32_e32 v10, 0xffff, v20
	v_or_b32_e32 v21, 0x10000, v20
	s_delay_alu instid0(VALU_DEP_2) | instskip(NEXT) | instid1(VALU_DEP_2)
	v_cmp_eq_u32_e32 vcc_lo, 0, v10
	v_cndmask_b32_e32 v10, v21, v20, vcc_lo
; %bb.1574:                             ;   in Loop: Header=BB8_1531 Depth=2
	s_or_b32 exec_lo, exec_lo, s11
	v_and_b32_e32 v20, 0xffff0000, v37
	v_lshlrev_b32_e32 v21, 16, v11
	s_delay_alu instid0(VALU_DEP_1) | instskip(NEXT) | instid1(VALU_DEP_1)
	v_add_f32_e32 v21, v20, v21
	v_and_b32_e32 v20, 0x7f800000, v21
	s_delay_alu instid0(VALU_DEP_1) | instskip(SKIP_1) | instid1(SALU_CYCLE_1)
	v_cmp_ne_u32_e32 vcc_lo, 0x7f800000, v20
                                        ; implicit-def: $vgpr20
	s_and_saveexec_b32 s11, vcc_lo
	s_xor_b32 s11, exec_lo, s11
; %bb.1575:                             ;   in Loop: Header=BB8_1531 Depth=2
	v_bfe_u32 v20, v21, 16, 1
	s_delay_alu instid0(VALU_DEP_1)
	v_add3_u32 v20, v21, v20, 0x7fff
                                        ; implicit-def: $vgpr21
; %bb.1576:                             ;   in Loop: Header=BB8_1531 Depth=2
	s_and_not1_saveexec_b32 s11, s11
; %bb.1577:                             ;   in Loop: Header=BB8_1531 Depth=2
	v_and_b32_e32 v20, 0xffff, v21
	v_or_b32_e32 v37, 0x10000, v21
	s_delay_alu instid0(VALU_DEP_2) | instskip(NEXT) | instid1(VALU_DEP_2)
	v_cmp_eq_u32_e32 vcc_lo, 0, v20
	v_cndmask_b32_e32 v20, v37, v21, vcc_lo
; %bb.1578:                             ;   in Loop: Header=BB8_1531 Depth=2
	s_or_b32 exec_lo, exec_lo, s11
	v_and_b32_e32 v11, 0xffff0000, v11
	v_and_b32_e32 v21, 0xffff0000, v35
	s_delay_alu instid0(VALU_DEP_1) | instskip(NEXT) | instid1(VALU_DEP_1)
	v_add_f32_e32 v21, v21, v11
	v_and_b32_e32 v11, 0x7f800000, v21
	s_delay_alu instid0(VALU_DEP_1) | instskip(SKIP_1) | instid1(SALU_CYCLE_1)
	v_cmp_ne_u32_e32 vcc_lo, 0x7f800000, v11
                                        ; implicit-def: $vgpr11
	s_and_saveexec_b32 s11, vcc_lo
	s_xor_b32 s11, exec_lo, s11
; %bb.1579:                             ;   in Loop: Header=BB8_1531 Depth=2
	v_bfe_u32 v11, v21, 16, 1
	s_delay_alu instid0(VALU_DEP_1)
	v_add3_u32 v11, v21, v11, 0x7fff
                                        ; implicit-def: $vgpr21
; %bb.1580:                             ;   in Loop: Header=BB8_1531 Depth=2
	s_and_not1_saveexec_b32 s11, s11
; %bb.1581:                             ;   in Loop: Header=BB8_1531 Depth=2
	v_and_b32_e32 v11, 0xffff, v21
	v_or_b32_e32 v35, 0x10000, v21
	s_delay_alu instid0(VALU_DEP_2) | instskip(NEXT) | instid1(VALU_DEP_2)
	v_cmp_eq_u32_e32 vcc_lo, 0, v11
	v_cndmask_b32_e32 v11, v35, v21, vcc_lo
; %bb.1582:                             ;   in Loop: Header=BB8_1531 Depth=2
	s_or_b32 exec_lo, exec_lo, s11
	v_and_b32_e32 v21, 0xffff0000, v36
	v_lshlrev_b32_e32 v35, 16, v12
	s_delay_alu instid0(VALU_DEP_1) | instskip(NEXT) | instid1(VALU_DEP_1)
	v_add_f32_e32 v35, v21, v35
	v_and_b32_e32 v21, 0x7f800000, v35
	s_delay_alu instid0(VALU_DEP_1) | instskip(SKIP_1) | instid1(SALU_CYCLE_1)
	v_cmp_ne_u32_e32 vcc_lo, 0x7f800000, v21
                                        ; implicit-def: $vgpr21
	s_and_saveexec_b32 s11, vcc_lo
	s_xor_b32 s11, exec_lo, s11
; %bb.1583:                             ;   in Loop: Header=BB8_1531 Depth=2
	v_bfe_u32 v21, v35, 16, 1
	s_delay_alu instid0(VALU_DEP_1)
	v_add3_u32 v21, v35, v21, 0x7fff
                                        ; implicit-def: $vgpr35
; %bb.1584:                             ;   in Loop: Header=BB8_1531 Depth=2
	s_and_not1_saveexec_b32 s11, s11
; %bb.1585:                             ;   in Loop: Header=BB8_1531 Depth=2
	v_and_b32_e32 v21, 0xffff, v35
	v_or_b32_e32 v36, 0x10000, v35
	s_delay_alu instid0(VALU_DEP_2) | instskip(NEXT) | instid1(VALU_DEP_2)
	v_cmp_eq_u32_e32 vcc_lo, 0, v21
	v_cndmask_b32_e32 v21, v36, v35, vcc_lo
; %bb.1586:                             ;   in Loop: Header=BB8_1531 Depth=2
	s_or_b32 exec_lo, exec_lo, s11
	v_and_b32_e32 v12, 0xffff0000, v12
	v_and_b32_e32 v33, 0xffff0000, v33
	s_delay_alu instid0(VALU_DEP_1) | instskip(NEXT) | instid1(VALU_DEP_1)
	v_add_f32_e32 v33, v33, v12
	v_and_b32_e32 v12, 0x7f800000, v33
	s_delay_alu instid0(VALU_DEP_1) | instskip(SKIP_1) | instid1(SALU_CYCLE_1)
	v_cmp_ne_u32_e32 vcc_lo, 0x7f800000, v12
                                        ; implicit-def: $vgpr12
	s_and_saveexec_b32 s11, vcc_lo
	s_xor_b32 s11, exec_lo, s11
; %bb.1587:                             ;   in Loop: Header=BB8_1531 Depth=2
	v_bfe_u32 v12, v33, 16, 1
	s_delay_alu instid0(VALU_DEP_1)
	v_add3_u32 v12, v33, v12, 0x7fff
                                        ; implicit-def: $vgpr33
; %bb.1588:                             ;   in Loop: Header=BB8_1531 Depth=2
	s_and_not1_saveexec_b32 s11, s11
; %bb.1589:                             ;   in Loop: Header=BB8_1531 Depth=2
	v_and_b32_e32 v12, 0xffff, v33
	v_or_b32_e32 v35, 0x10000, v33
	s_delay_alu instid0(VALU_DEP_2) | instskip(NEXT) | instid1(VALU_DEP_2)
	v_cmp_eq_u32_e32 vcc_lo, 0, v12
	v_cndmask_b32_e32 v12, v35, v33, vcc_lo
; %bb.1590:                             ;   in Loop: Header=BB8_1531 Depth=2
	s_or_b32 exec_lo, exec_lo, s11
	v_and_b32_e32 v33, 0xffff0000, v34
	v_lshlrev_b32_e32 v34, 16, v13
	s_delay_alu instid0(VALU_DEP_1) | instskip(NEXT) | instid1(VALU_DEP_1)
	v_add_f32_e32 v34, v33, v34
	v_and_b32_e32 v33, 0x7f800000, v34
	s_delay_alu instid0(VALU_DEP_1) | instskip(SKIP_1) | instid1(SALU_CYCLE_1)
	v_cmp_ne_u32_e32 vcc_lo, 0x7f800000, v33
                                        ; implicit-def: $vgpr33
	s_and_saveexec_b32 s11, vcc_lo
	s_xor_b32 s11, exec_lo, s11
; %bb.1591:                             ;   in Loop: Header=BB8_1531 Depth=2
	v_bfe_u32 v33, v34, 16, 1
	s_delay_alu instid0(VALU_DEP_1)
	v_add3_u32 v33, v34, v33, 0x7fff
                                        ; implicit-def: $vgpr34
; %bb.1592:                             ;   in Loop: Header=BB8_1531 Depth=2
	s_and_not1_saveexec_b32 s11, s11
; %bb.1593:                             ;   in Loop: Header=BB8_1531 Depth=2
	v_and_b32_e32 v33, 0xffff, v34
	v_or_b32_e32 v35, 0x10000, v34
	s_delay_alu instid0(VALU_DEP_2) | instskip(NEXT) | instid1(VALU_DEP_2)
	v_cmp_eq_u32_e32 vcc_lo, 0, v33
	v_cndmask_b32_e32 v33, v35, v34, vcc_lo
; %bb.1594:                             ;   in Loop: Header=BB8_1531 Depth=2
	s_or_b32 exec_lo, exec_lo, s11
	v_and_b32_e32 v13, 0xffff0000, v13
	v_and_b32_e32 v29, 0xffff0000, v29
	s_delay_alu instid0(VALU_DEP_1) | instskip(NEXT) | instid1(VALU_DEP_1)
	v_add_f32_e32 v29, v29, v13
	v_and_b32_e32 v13, 0x7f800000, v29
	s_delay_alu instid0(VALU_DEP_1) | instskip(SKIP_1) | instid1(SALU_CYCLE_1)
	v_cmp_ne_u32_e32 vcc_lo, 0x7f800000, v13
                                        ; implicit-def: $vgpr13
	s_and_saveexec_b32 s11, vcc_lo
	s_xor_b32 s11, exec_lo, s11
; %bb.1595:                             ;   in Loop: Header=BB8_1531 Depth=2
	v_bfe_u32 v13, v29, 16, 1
	s_delay_alu instid0(VALU_DEP_1)
	v_add3_u32 v13, v29, v13, 0x7fff
                                        ; implicit-def: $vgpr29
; %bb.1596:                             ;   in Loop: Header=BB8_1531 Depth=2
	s_and_not1_saveexec_b32 s11, s11
; %bb.1597:                             ;   in Loop: Header=BB8_1531 Depth=2
	v_and_b32_e32 v13, 0xffff, v29
	v_or_b32_e32 v34, 0x10000, v29
	s_delay_alu instid0(VALU_DEP_2) | instskip(NEXT) | instid1(VALU_DEP_2)
	v_cmp_eq_u32_e32 vcc_lo, 0, v13
	v_cndmask_b32_e32 v13, v34, v29, vcc_lo
; %bb.1598:                             ;   in Loop: Header=BB8_1531 Depth=2
	s_or_b32 exec_lo, exec_lo, s11
	v_dual_lshrrev_b32 v20, 16, v20 :: v_dual_lshrrev_b32 v21, 16, v21
	v_dual_lshrrev_b32 v29, 16, v32 :: v_dual_lshrrev_b32 v32, 16, v33
	s_delay_alu instid0(VALU_DEP_2) | instskip(NEXT) | instid1(VALU_DEP_3)
	v_and_or_b32 v11, 0xffff0000, v11, v20
	v_and_or_b32 v12, 0xffff0000, v12, v21
	s_delay_alu instid0(VALU_DEP_3) | instskip(NEXT) | instid1(VALU_DEP_4)
	v_and_or_b32 v10, 0xffff0000, v10, v29
	v_and_or_b32 v13, 0xffff0000, v13, v32
	global_store_b128 v[14:15], v[10:13], off th:TH_STORE_NT
	s_wait_xcnt 0x0
	v_add_nc_u64_e32 v[14:15], v[114:115], v[14:15]
	scratch_store_b128 off, v[10:13], s33 offset:208
.LBB8_1599:                             ;   in Loop: Header=BB8_1531 Depth=2
	s_wait_xcnt 0x0
	s_or_b32 exec_lo, exec_lo, s10
	v_sub_nc_u32_e32 v27, v27, v61
	v_add_nc_u64_e32 v[16:17], v[16:17], v[98:99]
	v_add_nc_u64_e32 v[18:19], v[18:19], v[98:99]
	s_delay_alu instid0(VALU_DEP_3)
	v_cmp_lt_i32_e64 s41, 15, v27
	s_and_saveexec_b32 s42, s41
	s_cbranch_execz .LBB8_1602
; %bb.1600:                             ;   in Loop: Header=BB8_1531 Depth=2
	s_add_co_i32 s10, s33, 0xd0
	s_mov_b64 s[12:13], 0
	s_mov_b32 s43, s10
	s_mov_b32 s44, -1
.LBB8_1601:                             ;   Parent Loop BB8_1058 Depth=1
                                        ;     Parent Loop BB8_1531 Depth=2
                                        ; =>    This Inner Loop Header: Depth=3
	s_cmp_eq_u32 s12, 1
	s_cselect_b32 vcc_lo, -1, 0
	s_cmp_eq_u32 s12, 0
	v_dual_cndmask_b32 v21, v17, v19 :: v_dual_cndmask_b32 v20, v16, v18
	s_cselect_b32 s10, -1, 0
	s_and_b32 s11, exec_lo, s44
	s_mov_b64 s[12:13], 1
	s_mov_b32 s44, 0
	global_load_b128 v[10:13], v[20:21], off th:TH_LOAD_NT
	s_wait_xcnt 0x0
	v_add_nc_u64_e32 v[20:21], 0x200, v[20:21]
	s_delay_alu instid0(VALU_DEP_1)
	v_dual_cndmask_b32 v17, v17, v21, s10 :: v_dual_cndmask_b32 v16, v16, v20, s10
	v_dual_cndmask_b32 v19, v19, v21 :: v_dual_cndmask_b32 v18, v18, v20
	s_mov_b32 vcc_lo, s11
	s_wait_loadcnt 0x0
	scratch_store_b128 off, v[10:13], s43
	s_wait_xcnt 0x0
	s_mov_b32 s43, s21
	s_cbranch_vccnz .LBB8_1601
.LBB8_1602:                             ;   in Loop: Header=BB8_1531 Depth=2
	s_or_b32 exec_lo, exec_lo, s42
	scratch_load_b128 v[10:13], off, s33 offset:176
	s_wait_loadcnt 0x0
	v_lshlrev_b32_e32 v20, 16, v10
	s_delay_alu instid0(VALU_DEP_1) | instskip(NEXT) | instid1(VALU_DEP_1)
	v_mul_f32_e32 v20, v28, v20
	v_and_b32_e32 v21, 0x7f800000, v20
	s_delay_alu instid0(VALU_DEP_1) | instskip(SKIP_2) | instid1(SALU_CYCLE_1)
	v_cmp_ne_u32_e32 vcc_lo, 0x7f800000, v21
                                        ; implicit-def: $vgpr21
	s_wait_xcnt 0x0
	s_and_saveexec_b32 s10, vcc_lo
	s_xor_b32 s10, exec_lo, s10
; %bb.1603:                             ;   in Loop: Header=BB8_1531 Depth=2
	v_bfe_u32 v21, v20, 16, 1
	s_delay_alu instid0(VALU_DEP_1)
	v_add3_u32 v21, v20, v21, 0x7fff
                                        ; implicit-def: $vgpr20
; %bb.1604:                             ;   in Loop: Header=BB8_1531 Depth=2
	s_and_not1_saveexec_b32 s10, s10
; %bb.1605:                             ;   in Loop: Header=BB8_1531 Depth=2
	v_and_b32_e32 v21, 0xffff, v20
	v_or_b32_e32 v29, 0x10000, v20
	s_delay_alu instid0(VALU_DEP_2) | instskip(NEXT) | instid1(VALU_DEP_2)
	v_cmp_eq_u32_e32 vcc_lo, 0, v21
	v_cndmask_b32_e32 v21, v29, v20, vcc_lo
; %bb.1606:                             ;   in Loop: Header=BB8_1531 Depth=2
	s_or_b32 exec_lo, exec_lo, s10
	v_and_b32_e32 v10, 0xffff0000, v10
	s_delay_alu instid0(VALU_DEP_1) | instskip(NEXT) | instid1(VALU_DEP_1)
	v_mul_f32_e32 v10, v28, v10
	v_and_b32_e32 v20, 0x7f800000, v10
	s_delay_alu instid0(VALU_DEP_1) | instskip(SKIP_1) | instid1(SALU_CYCLE_1)
	v_cmp_ne_u32_e32 vcc_lo, 0x7f800000, v20
                                        ; implicit-def: $vgpr20
	s_and_saveexec_b32 s10, vcc_lo
	s_xor_b32 s10, exec_lo, s10
; %bb.1607:                             ;   in Loop: Header=BB8_1531 Depth=2
	v_bfe_u32 v20, v10, 16, 1
	s_delay_alu instid0(VALU_DEP_1)
	v_add3_u32 v20, v10, v20, 0x7fff
                                        ; implicit-def: $vgpr10
; %bb.1608:                             ;   in Loop: Header=BB8_1531 Depth=2
	s_and_not1_saveexec_b32 s10, s10
; %bb.1609:                             ;   in Loop: Header=BB8_1531 Depth=2
	v_and_b32_e32 v20, 0xffff, v10
	v_or_b32_e32 v29, 0x10000, v10
	s_delay_alu instid0(VALU_DEP_2) | instskip(NEXT) | instid1(VALU_DEP_2)
	v_cmp_eq_u32_e32 vcc_lo, 0, v20
	v_cndmask_b32_e32 v20, v29, v10, vcc_lo
; %bb.1610:                             ;   in Loop: Header=BB8_1531 Depth=2
	s_or_b32 exec_lo, exec_lo, s10
	v_lshlrev_b32_e32 v10, 16, v11
	s_mov_b32 s10, exec_lo
                                        ; implicit-def: $vgpr37
	s_delay_alu instid0(VALU_DEP_1) | instskip(NEXT) | instid1(VALU_DEP_1)
	v_mul_f32_e32 v10, v28, v10
	v_and_b32_e32 v29, 0x7f800000, v10
	s_delay_alu instid0(VALU_DEP_1)
	v_cmpx_ne_u32_e32 0x7f800000, v29
	s_xor_b32 s10, exec_lo, s10
; %bb.1611:                             ;   in Loop: Header=BB8_1531 Depth=2
	v_bfe_u32 v29, v10, 16, 1
	s_delay_alu instid0(VALU_DEP_1)
	v_add3_u32 v37, v10, v29, 0x7fff
                                        ; implicit-def: $vgpr10
; %bb.1612:                             ;   in Loop: Header=BB8_1531 Depth=2
	s_and_not1_saveexec_b32 s10, s10
; %bb.1613:                             ;   in Loop: Header=BB8_1531 Depth=2
	v_and_b32_e32 v29, 0xffff, v10
	v_or_b32_e32 v32, 0x10000, v10
	s_delay_alu instid0(VALU_DEP_2) | instskip(NEXT) | instid1(VALU_DEP_2)
	v_cmp_eq_u32_e32 vcc_lo, 0, v29
	v_cndmask_b32_e32 v37, v32, v10, vcc_lo
; %bb.1614:                             ;   in Loop: Header=BB8_1531 Depth=2
	s_or_b32 exec_lo, exec_lo, s10
	v_and_b32_e32 v10, 0xffff0000, v11
	s_mov_b32 s10, exec_lo
                                        ; implicit-def: $vgpr35
	s_delay_alu instid0(VALU_DEP_1) | instskip(NEXT) | instid1(VALU_DEP_1)
	v_mul_f32_e32 v10, v28, v10
	v_and_b32_e32 v11, 0x7f800000, v10
	s_delay_alu instid0(VALU_DEP_1)
	v_cmpx_ne_u32_e32 0x7f800000, v11
	s_xor_b32 s10, exec_lo, s10
; %bb.1615:                             ;   in Loop: Header=BB8_1531 Depth=2
	v_bfe_u32 v11, v10, 16, 1
	s_delay_alu instid0(VALU_DEP_1)
	v_add3_u32 v35, v10, v11, 0x7fff
                                        ; implicit-def: $vgpr10
; %bb.1616:                             ;   in Loop: Header=BB8_1531 Depth=2
	s_and_not1_saveexec_b32 s10, s10
; %bb.1617:                             ;   in Loop: Header=BB8_1531 Depth=2
	v_and_b32_e32 v11, 0xffff, v10
	v_or_b32_e32 v29, 0x10000, v10
	s_delay_alu instid0(VALU_DEP_2) | instskip(NEXT) | instid1(VALU_DEP_2)
	v_cmp_eq_u32_e32 vcc_lo, 0, v11
	v_cndmask_b32_e32 v35, v29, v10, vcc_lo
; %bb.1618:                             ;   in Loop: Header=BB8_1531 Depth=2
	s_or_b32 exec_lo, exec_lo, s10
	v_lshlrev_b32_e32 v10, 16, v12
	s_mov_b32 s10, exec_lo
                                        ; implicit-def: $vgpr36
	s_delay_alu instid0(VALU_DEP_1) | instskip(NEXT) | instid1(VALU_DEP_1)
	v_mul_f32_e32 v10, v28, v10
	v_and_b32_e32 v11, 0x7f800000, v10
	s_delay_alu instid0(VALU_DEP_1)
	v_cmpx_ne_u32_e32 0x7f800000, v11
	s_xor_b32 s10, exec_lo, s10
; %bb.1619:                             ;   in Loop: Header=BB8_1531 Depth=2
	v_bfe_u32 v11, v10, 16, 1
	s_delay_alu instid0(VALU_DEP_1)
	v_add3_u32 v36, v10, v11, 0x7fff
                                        ; implicit-def: $vgpr10
; %bb.1620:                             ;   in Loop: Header=BB8_1531 Depth=2
	s_and_not1_saveexec_b32 s10, s10
; %bb.1621:                             ;   in Loop: Header=BB8_1531 Depth=2
	v_and_b32_e32 v11, 0xffff, v10
	v_or_b32_e32 v29, 0x10000, v10
	s_delay_alu instid0(VALU_DEP_2) | instskip(NEXT) | instid1(VALU_DEP_2)
	v_cmp_eq_u32_e32 vcc_lo, 0, v11
	v_cndmask_b32_e32 v36, v29, v10, vcc_lo
; %bb.1622:                             ;   in Loop: Header=BB8_1531 Depth=2
	s_or_b32 exec_lo, exec_lo, s10
	v_and_b32_e32 v10, 0xffff0000, v12
	s_mov_b32 s10, exec_lo
                                        ; implicit-def: $vgpr33
	s_delay_alu instid0(VALU_DEP_1) | instskip(NEXT) | instid1(VALU_DEP_1)
	v_mul_f32_e32 v10, v28, v10
	v_and_b32_e32 v11, 0x7f800000, v10
	s_delay_alu instid0(VALU_DEP_1)
	v_cmpx_ne_u32_e32 0x7f800000, v11
	s_xor_b32 s10, exec_lo, s10
; %bb.1623:                             ;   in Loop: Header=BB8_1531 Depth=2
	v_bfe_u32 v11, v10, 16, 1
	s_delay_alu instid0(VALU_DEP_1)
	v_add3_u32 v33, v10, v11, 0x7fff
                                        ; implicit-def: $vgpr10
; %bb.1624:                             ;   in Loop: Header=BB8_1531 Depth=2
	s_and_not1_saveexec_b32 s10, s10
; %bb.1625:                             ;   in Loop: Header=BB8_1531 Depth=2
	v_and_b32_e32 v11, 0xffff, v10
	v_or_b32_e32 v12, 0x10000, v10
	s_delay_alu instid0(VALU_DEP_2) | instskip(NEXT) | instid1(VALU_DEP_2)
	v_cmp_eq_u32_e32 vcc_lo, 0, v11
	v_cndmask_b32_e32 v33, v12, v10, vcc_lo
; %bb.1626:                             ;   in Loop: Header=BB8_1531 Depth=2
	s_or_b32 exec_lo, exec_lo, s10
	v_lshlrev_b32_e32 v10, 16, v13
	s_mov_b32 s10, exec_lo
                                        ; implicit-def: $vgpr34
	s_delay_alu instid0(VALU_DEP_1) | instskip(NEXT) | instid1(VALU_DEP_1)
	v_mul_f32_e32 v10, v28, v10
	v_and_b32_e32 v11, 0x7f800000, v10
	s_delay_alu instid0(VALU_DEP_1)
	v_cmpx_ne_u32_e32 0x7f800000, v11
	s_xor_b32 s10, exec_lo, s10
; %bb.1627:                             ;   in Loop: Header=BB8_1531 Depth=2
	v_bfe_u32 v11, v10, 16, 1
	s_delay_alu instid0(VALU_DEP_1)
	v_add3_u32 v34, v10, v11, 0x7fff
                                        ; implicit-def: $vgpr10
; %bb.1628:                             ;   in Loop: Header=BB8_1531 Depth=2
	s_and_not1_saveexec_b32 s10, s10
; %bb.1629:                             ;   in Loop: Header=BB8_1531 Depth=2
	v_and_b32_e32 v11, 0xffff, v10
	v_or_b32_e32 v12, 0x10000, v10
	s_delay_alu instid0(VALU_DEP_2) | instskip(NEXT) | instid1(VALU_DEP_2)
	v_cmp_eq_u32_e32 vcc_lo, 0, v11
	v_cndmask_b32_e32 v34, v12, v10, vcc_lo
; %bb.1630:                             ;   in Loop: Header=BB8_1531 Depth=2
	s_or_b32 exec_lo, exec_lo, s10
	v_and_b32_e32 v10, 0xffff0000, v13
	s_mov_b32 s10, exec_lo
                                        ; implicit-def: $vgpr32
	s_delay_alu instid0(VALU_DEP_1) | instskip(NEXT) | instid1(VALU_DEP_1)
	v_mul_f32_e32 v10, v28, v10
	v_and_b32_e32 v11, 0x7f800000, v10
	s_delay_alu instid0(VALU_DEP_1)
	v_cmpx_ne_u32_e32 0x7f800000, v11
	s_xor_b32 s10, exec_lo, s10
; %bb.1631:                             ;   in Loop: Header=BB8_1531 Depth=2
	v_bfe_u32 v11, v10, 16, 1
	s_delay_alu instid0(VALU_DEP_1)
	v_add3_u32 v32, v10, v11, 0x7fff
                                        ; implicit-def: $vgpr10
; %bb.1632:                             ;   in Loop: Header=BB8_1531 Depth=2
	s_and_not1_saveexec_b32 s10, s10
; %bb.1633:                             ;   in Loop: Header=BB8_1531 Depth=2
	v_and_b32_e32 v11, 0xffff, v10
	v_or_b32_e32 v12, 0x10000, v10
	s_delay_alu instid0(VALU_DEP_2) | instskip(NEXT) | instid1(VALU_DEP_2)
	v_cmp_eq_u32_e32 vcc_lo, 0, v11
	v_cndmask_b32_e32 v32, v12, v10, vcc_lo
; %bb.1634:                             ;   in Loop: Header=BB8_1531 Depth=2
	s_or_b32 exec_lo, exec_lo, s10
	scratch_load_b128 v[10:13], off, s33 offset:192
	v_and_b32_e32 v21, 0xffff0000, v21
	s_wait_loadcnt 0x0
	v_lshlrev_b32_e32 v29, 16, v10
	s_delay_alu instid0(VALU_DEP_1) | instskip(NEXT) | instid1(VALU_DEP_1)
	v_add_f32_e32 v21, v21, v29
	v_and_b32_e32 v29, 0x7f800000, v21
	s_delay_alu instid0(VALU_DEP_1) | instskip(SKIP_2) | instid1(SALU_CYCLE_1)
	v_cmp_ne_u32_e32 vcc_lo, 0x7f800000, v29
                                        ; implicit-def: $vgpr29
	s_wait_xcnt 0x0
	s_and_saveexec_b32 s10, vcc_lo
	s_xor_b32 s10, exec_lo, s10
; %bb.1635:                             ;   in Loop: Header=BB8_1531 Depth=2
	v_bfe_u32 v29, v21, 16, 1
	s_delay_alu instid0(VALU_DEP_1)
	v_add3_u32 v29, v21, v29, 0x7fff
                                        ; implicit-def: $vgpr21
; %bb.1636:                             ;   in Loop: Header=BB8_1531 Depth=2
	s_and_not1_saveexec_b32 s10, s10
; %bb.1637:                             ;   in Loop: Header=BB8_1531 Depth=2
	v_and_b32_e32 v29, 0xffff, v21
	v_or_b32_e32 v38, 0x10000, v21
	s_delay_alu instid0(VALU_DEP_2) | instskip(NEXT) | instid1(VALU_DEP_2)
	v_cmp_eq_u32_e32 vcc_lo, 0, v29
	v_cndmask_b32_e32 v29, v38, v21, vcc_lo
; %bb.1638:                             ;   in Loop: Header=BB8_1531 Depth=2
	s_or_b32 exec_lo, exec_lo, s10
	v_and_b32_e32 v21, 0xffff0000, v10
	v_and_b32_e32 v20, 0xffff0000, v20
	s_delay_alu instid0(VALU_DEP_2) | instskip(NEXT) | instid1(VALU_DEP_1)
	v_mov_b32_e32 v10, v21
	v_pk_add_f32 v[20:21], v[10:11], v[20:21]
	s_delay_alu instid0(VALU_DEP_1) | instskip(NEXT) | instid1(VALU_DEP_1)
	v_and_b32_e32 v10, 0x7f800000, v20
	v_cmp_ne_u32_e32 vcc_lo, 0x7f800000, v10
                                        ; implicit-def: $vgpr10
	s_and_saveexec_b32 s10, vcc_lo
	s_delay_alu instid0(SALU_CYCLE_1)
	s_xor_b32 s10, exec_lo, s10
; %bb.1639:                             ;   in Loop: Header=BB8_1531 Depth=2
	v_bfe_u32 v10, v20, 16, 1
	s_delay_alu instid0(VALU_DEP_1)
	v_add3_u32 v10, v20, v10, 0x7fff
                                        ; implicit-def: $vgpr20_vgpr21
; %bb.1640:                             ;   in Loop: Header=BB8_1531 Depth=2
	s_and_not1_saveexec_b32 s10, s10
; %bb.1641:                             ;   in Loop: Header=BB8_1531 Depth=2
	v_and_b32_e32 v10, 0xffff, v20
	v_or_b32_e32 v21, 0x10000, v20
	s_delay_alu instid0(VALU_DEP_2) | instskip(NEXT) | instid1(VALU_DEP_2)
	v_cmp_eq_u32_e32 vcc_lo, 0, v10
	v_cndmask_b32_e32 v10, v21, v20, vcc_lo
; %bb.1642:                             ;   in Loop: Header=BB8_1531 Depth=2
	s_or_b32 exec_lo, exec_lo, s10
	v_and_b32_e32 v20, 0xffff0000, v37
	v_lshlrev_b32_e32 v21, 16, v11
	s_delay_alu instid0(VALU_DEP_1) | instskip(NEXT) | instid1(VALU_DEP_1)
	v_add_f32_e32 v21, v20, v21
	v_and_b32_e32 v20, 0x7f800000, v21
	s_delay_alu instid0(VALU_DEP_1) | instskip(SKIP_1) | instid1(SALU_CYCLE_1)
	v_cmp_ne_u32_e32 vcc_lo, 0x7f800000, v20
                                        ; implicit-def: $vgpr20
	s_and_saveexec_b32 s10, vcc_lo
	s_xor_b32 s10, exec_lo, s10
; %bb.1643:                             ;   in Loop: Header=BB8_1531 Depth=2
	v_bfe_u32 v20, v21, 16, 1
	s_delay_alu instid0(VALU_DEP_1)
	v_add3_u32 v20, v21, v20, 0x7fff
                                        ; implicit-def: $vgpr21
; %bb.1644:                             ;   in Loop: Header=BB8_1531 Depth=2
	s_and_not1_saveexec_b32 s10, s10
; %bb.1645:                             ;   in Loop: Header=BB8_1531 Depth=2
	v_and_b32_e32 v20, 0xffff, v21
	v_or_b32_e32 v37, 0x10000, v21
	s_delay_alu instid0(VALU_DEP_2) | instskip(NEXT) | instid1(VALU_DEP_2)
	v_cmp_eq_u32_e32 vcc_lo, 0, v20
	v_cndmask_b32_e32 v20, v37, v21, vcc_lo
; %bb.1646:                             ;   in Loop: Header=BB8_1531 Depth=2
	s_or_b32 exec_lo, exec_lo, s10
	v_and_b32_e32 v11, 0xffff0000, v11
	v_and_b32_e32 v21, 0xffff0000, v35
	s_delay_alu instid0(VALU_DEP_1) | instskip(NEXT) | instid1(VALU_DEP_1)
	v_add_f32_e32 v21, v21, v11
	v_and_b32_e32 v11, 0x7f800000, v21
	s_delay_alu instid0(VALU_DEP_1) | instskip(SKIP_1) | instid1(SALU_CYCLE_1)
	v_cmp_ne_u32_e32 vcc_lo, 0x7f800000, v11
                                        ; implicit-def: $vgpr11
	s_and_saveexec_b32 s10, vcc_lo
	s_xor_b32 s10, exec_lo, s10
; %bb.1647:                             ;   in Loop: Header=BB8_1531 Depth=2
	v_bfe_u32 v11, v21, 16, 1
	s_delay_alu instid0(VALU_DEP_1)
	v_add3_u32 v11, v21, v11, 0x7fff
                                        ; implicit-def: $vgpr21
; %bb.1648:                             ;   in Loop: Header=BB8_1531 Depth=2
	s_and_not1_saveexec_b32 s10, s10
; %bb.1649:                             ;   in Loop: Header=BB8_1531 Depth=2
	v_and_b32_e32 v11, 0xffff, v21
	v_or_b32_e32 v35, 0x10000, v21
	s_delay_alu instid0(VALU_DEP_2) | instskip(NEXT) | instid1(VALU_DEP_2)
	v_cmp_eq_u32_e32 vcc_lo, 0, v11
	v_cndmask_b32_e32 v11, v35, v21, vcc_lo
; %bb.1650:                             ;   in Loop: Header=BB8_1531 Depth=2
	s_or_b32 exec_lo, exec_lo, s10
	v_and_b32_e32 v21, 0xffff0000, v36
	v_lshlrev_b32_e32 v35, 16, v12
	s_delay_alu instid0(VALU_DEP_1) | instskip(NEXT) | instid1(VALU_DEP_1)
	v_add_f32_e32 v35, v21, v35
	v_and_b32_e32 v21, 0x7f800000, v35
	s_delay_alu instid0(VALU_DEP_1) | instskip(SKIP_1) | instid1(SALU_CYCLE_1)
	v_cmp_ne_u32_e32 vcc_lo, 0x7f800000, v21
                                        ; implicit-def: $vgpr21
	s_and_saveexec_b32 s10, vcc_lo
	s_xor_b32 s10, exec_lo, s10
; %bb.1651:                             ;   in Loop: Header=BB8_1531 Depth=2
	v_bfe_u32 v21, v35, 16, 1
	s_delay_alu instid0(VALU_DEP_1)
	v_add3_u32 v21, v35, v21, 0x7fff
                                        ; implicit-def: $vgpr35
; %bb.1652:                             ;   in Loop: Header=BB8_1531 Depth=2
	s_and_not1_saveexec_b32 s10, s10
; %bb.1653:                             ;   in Loop: Header=BB8_1531 Depth=2
	v_and_b32_e32 v21, 0xffff, v35
	v_or_b32_e32 v36, 0x10000, v35
	s_delay_alu instid0(VALU_DEP_2) | instskip(NEXT) | instid1(VALU_DEP_2)
	v_cmp_eq_u32_e32 vcc_lo, 0, v21
	v_cndmask_b32_e32 v21, v36, v35, vcc_lo
; %bb.1654:                             ;   in Loop: Header=BB8_1531 Depth=2
	s_or_b32 exec_lo, exec_lo, s10
	v_and_b32_e32 v12, 0xffff0000, v12
	v_and_b32_e32 v33, 0xffff0000, v33
	s_delay_alu instid0(VALU_DEP_1) | instskip(NEXT) | instid1(VALU_DEP_1)
	v_add_f32_e32 v33, v33, v12
	v_and_b32_e32 v12, 0x7f800000, v33
	s_delay_alu instid0(VALU_DEP_1) | instskip(SKIP_1) | instid1(SALU_CYCLE_1)
	v_cmp_ne_u32_e32 vcc_lo, 0x7f800000, v12
                                        ; implicit-def: $vgpr12
	s_and_saveexec_b32 s10, vcc_lo
	s_xor_b32 s10, exec_lo, s10
; %bb.1655:                             ;   in Loop: Header=BB8_1531 Depth=2
	v_bfe_u32 v12, v33, 16, 1
	s_delay_alu instid0(VALU_DEP_1)
	v_add3_u32 v12, v33, v12, 0x7fff
                                        ; implicit-def: $vgpr33
; %bb.1656:                             ;   in Loop: Header=BB8_1531 Depth=2
	s_and_not1_saveexec_b32 s10, s10
; %bb.1657:                             ;   in Loop: Header=BB8_1531 Depth=2
	v_and_b32_e32 v12, 0xffff, v33
	v_or_b32_e32 v35, 0x10000, v33
	s_delay_alu instid0(VALU_DEP_2) | instskip(NEXT) | instid1(VALU_DEP_2)
	v_cmp_eq_u32_e32 vcc_lo, 0, v12
	v_cndmask_b32_e32 v12, v35, v33, vcc_lo
; %bb.1658:                             ;   in Loop: Header=BB8_1531 Depth=2
	s_or_b32 exec_lo, exec_lo, s10
	v_and_b32_e32 v33, 0xffff0000, v34
	v_lshlrev_b32_e32 v34, 16, v13
	s_delay_alu instid0(VALU_DEP_1) | instskip(NEXT) | instid1(VALU_DEP_1)
	v_add_f32_e32 v34, v33, v34
	v_and_b32_e32 v33, 0x7f800000, v34
	s_delay_alu instid0(VALU_DEP_1) | instskip(SKIP_1) | instid1(SALU_CYCLE_1)
	v_cmp_ne_u32_e32 vcc_lo, 0x7f800000, v33
                                        ; implicit-def: $vgpr33
	s_and_saveexec_b32 s10, vcc_lo
	s_xor_b32 s10, exec_lo, s10
; %bb.1659:                             ;   in Loop: Header=BB8_1531 Depth=2
	v_bfe_u32 v33, v34, 16, 1
	s_delay_alu instid0(VALU_DEP_1)
	v_add3_u32 v33, v34, v33, 0x7fff
                                        ; implicit-def: $vgpr34
; %bb.1660:                             ;   in Loop: Header=BB8_1531 Depth=2
	s_and_not1_saveexec_b32 s10, s10
; %bb.1661:                             ;   in Loop: Header=BB8_1531 Depth=2
	v_and_b32_e32 v33, 0xffff, v34
	v_or_b32_e32 v35, 0x10000, v34
	s_delay_alu instid0(VALU_DEP_2) | instskip(NEXT) | instid1(VALU_DEP_2)
	v_cmp_eq_u32_e32 vcc_lo, 0, v33
	v_cndmask_b32_e32 v33, v35, v34, vcc_lo
; %bb.1662:                             ;   in Loop: Header=BB8_1531 Depth=2
	s_or_b32 exec_lo, exec_lo, s10
	v_and_b32_e32 v13, 0xffff0000, v13
	v_and_b32_e32 v32, 0xffff0000, v32
	s_delay_alu instid0(VALU_DEP_1) | instskip(NEXT) | instid1(VALU_DEP_1)
	v_add_f32_e32 v32, v32, v13
	v_and_b32_e32 v13, 0x7f800000, v32
	s_delay_alu instid0(VALU_DEP_1) | instskip(SKIP_1) | instid1(SALU_CYCLE_1)
	v_cmp_ne_u32_e32 vcc_lo, 0x7f800000, v13
                                        ; implicit-def: $vgpr13
	s_and_saveexec_b32 s10, vcc_lo
	s_xor_b32 s10, exec_lo, s10
; %bb.1663:                             ;   in Loop: Header=BB8_1531 Depth=2
	v_bfe_u32 v13, v32, 16, 1
	s_delay_alu instid0(VALU_DEP_1)
	v_add3_u32 v13, v32, v13, 0x7fff
                                        ; implicit-def: $vgpr32
; %bb.1664:                             ;   in Loop: Header=BB8_1531 Depth=2
	s_and_not1_saveexec_b32 s10, s10
; %bb.1665:                             ;   in Loop: Header=BB8_1531 Depth=2
	v_and_b32_e32 v13, 0xffff, v32
	v_or_b32_e32 v34, 0x10000, v32
	s_delay_alu instid0(VALU_DEP_2) | instskip(NEXT) | instid1(VALU_DEP_2)
	v_cmp_eq_u32_e32 vcc_lo, 0, v13
	v_cndmask_b32_e32 v13, v34, v32, vcc_lo
; %bb.1666:                             ;   in Loop: Header=BB8_1531 Depth=2
	s_or_b32 exec_lo, exec_lo, s10
	v_dual_lshrrev_b32 v20, 16, v20 :: v_dual_lshrrev_b32 v29, 16, v29
	v_dual_lshrrev_b32 v21, 16, v21 :: v_dual_sub_nc_u32 v26, v26, v84
	v_lshrrev_b32_e32 v32, 16, v33
	s_delay_alu instid0(VALU_DEP_3) | instskip(NEXT) | instid1(VALU_DEP_4)
	v_and_or_b32 v11, 0xffff0000, v11, v20
	v_and_or_b32 v10, 0xffff0000, v10, v29
	s_delay_alu instid0(VALU_DEP_4) | instskip(NEXT) | instid1(VALU_DEP_4)
	v_and_or_b32 v12, 0xffff0000, v12, v21
	v_and_or_b32 v13, 0xffff0000, v13, v32
	global_store_b128 v[14:15], v[10:13], off th:TH_STORE_NT
	s_wait_xcnt 0x0
	v_add_nc_u64_e32 v[14:15], 0x200, v[14:15]
	scratch_store_b128 off, v[10:13], s33 offset:176
	s_wait_xcnt 0x0
	s_and_saveexec_b32 s10, s41
	s_cbranch_execz .LBB8_1530
; %bb.1667:                             ;   in Loop: Header=BB8_1531 Depth=2
	v_add_nc_u64_e32 v[16:17], v[16:17], v[98:99]
	v_add_nc_u64_e32 v[18:19], v[18:19], v[98:99]
	;; [unrolled: 1-line block ×3, first 2 shown]
	v_dual_sub_nc_u32 v27, v27, v61 :: v_dual_sub_nc_u32 v26, v26, v84
	s_branch .LBB8_1530
.LBB8_1668:                             ;   in Loop: Header=BB8_1058 Depth=1
	s_or_b32 exec_lo, exec_lo, s29
	s_delay_alu instid0(SALU_CYCLE_1)
	s_and_b32 s11, s40, exec_lo
.LBB8_1669:                             ;   in Loop: Header=BB8_1058 Depth=1
	s_or_b32 exec_lo, exec_lo, s28
	s_and_saveexec_b32 s10, s11
	s_cbranch_execz .LBB8_1735
; %bb.1670:                             ;   in Loop: Header=BB8_1058 Depth=1
	s_trap 2
	scratch_load_b128 v[10:13], off, s33 offset:208
	ds_load_b32 v16, v0
	s_wait_loadcnt_dscnt 0x0
	v_dual_lshlrev_b32 v18, 16, v16 :: v_dual_lshlrev_b32 v16, 16, v10
	s_delay_alu instid0(VALU_DEP_1) | instskip(NEXT) | instid1(VALU_DEP_1)
	v_mul_f32_e32 v16, v18, v16
	v_and_b32_e32 v17, 0x7f800000, v16
	s_delay_alu instid0(VALU_DEP_1) | instskip(SKIP_2) | instid1(SALU_CYCLE_1)
	v_cmp_ne_u32_e32 vcc_lo, 0x7f800000, v17
                                        ; implicit-def: $vgpr17
	s_wait_xcnt 0x0
	s_and_saveexec_b32 s11, vcc_lo
	s_xor_b32 s11, exec_lo, s11
; %bb.1671:                             ;   in Loop: Header=BB8_1058 Depth=1
	v_bfe_u32 v17, v16, 16, 1
	s_delay_alu instid0(VALU_DEP_1)
	v_add3_u32 v17, v16, v17, 0x7fff
                                        ; implicit-def: $vgpr16
; %bb.1672:                             ;   in Loop: Header=BB8_1058 Depth=1
	s_and_not1_saveexec_b32 s11, s11
; %bb.1673:                             ;   in Loop: Header=BB8_1058 Depth=1
	v_and_b32_e32 v17, 0xffff, v16
	v_or_b32_e32 v19, 0x10000, v16
	s_delay_alu instid0(VALU_DEP_2) | instskip(NEXT) | instid1(VALU_DEP_2)
	v_cmp_eq_u32_e32 vcc_lo, 0, v17
	v_cndmask_b32_e32 v17, v19, v16, vcc_lo
; %bb.1674:                             ;   in Loop: Header=BB8_1058 Depth=1
	s_or_b32 exec_lo, exec_lo, s11
	v_and_b32_e32 v10, 0xffff0000, v10
	s_delay_alu instid0(VALU_DEP_1) | instskip(NEXT) | instid1(VALU_DEP_1)
	v_mul_f32_e32 v10, v18, v10
	v_and_b32_e32 v16, 0x7f800000, v10
	s_delay_alu instid0(VALU_DEP_1) | instskip(SKIP_1) | instid1(SALU_CYCLE_1)
	v_cmp_ne_u32_e32 vcc_lo, 0x7f800000, v16
                                        ; implicit-def: $vgpr16
	s_and_saveexec_b32 s11, vcc_lo
	s_xor_b32 s11, exec_lo, s11
; %bb.1675:                             ;   in Loop: Header=BB8_1058 Depth=1
	v_bfe_u32 v16, v10, 16, 1
	s_delay_alu instid0(VALU_DEP_1)
	v_add3_u32 v16, v10, v16, 0x7fff
                                        ; implicit-def: $vgpr10
; %bb.1676:                             ;   in Loop: Header=BB8_1058 Depth=1
	s_and_not1_saveexec_b32 s11, s11
; %bb.1677:                             ;   in Loop: Header=BB8_1058 Depth=1
	v_and_b32_e32 v16, 0xffff, v10
	v_or_b32_e32 v19, 0x10000, v10
	s_delay_alu instid0(VALU_DEP_2) | instskip(NEXT) | instid1(VALU_DEP_2)
	v_cmp_eq_u32_e32 vcc_lo, 0, v16
	v_cndmask_b32_e32 v16, v19, v10, vcc_lo
; %bb.1678:                             ;   in Loop: Header=BB8_1058 Depth=1
	s_or_b32 exec_lo, exec_lo, s11
	v_lshlrev_b32_e32 v10, 16, v11
	s_mov_b32 s11, exec_lo
                                        ; implicit-def: $vgpr29
	s_delay_alu instid0(VALU_DEP_1) | instskip(NEXT) | instid1(VALU_DEP_1)
	v_mul_f32_e32 v10, v18, v10
	v_and_b32_e32 v19, 0x7f800000, v10
	s_delay_alu instid0(VALU_DEP_1)
	v_cmpx_ne_u32_e32 0x7f800000, v19
	s_xor_b32 s11, exec_lo, s11
; %bb.1679:                             ;   in Loop: Header=BB8_1058 Depth=1
	v_bfe_u32 v19, v10, 16, 1
	s_delay_alu instid0(VALU_DEP_1)
	v_add3_u32 v29, v10, v19, 0x7fff
                                        ; implicit-def: $vgpr10
; %bb.1680:                             ;   in Loop: Header=BB8_1058 Depth=1
	s_and_not1_saveexec_b32 s11, s11
; %bb.1681:                             ;   in Loop: Header=BB8_1058 Depth=1
	v_and_b32_e32 v19, 0xffff, v10
	v_or_b32_e32 v20, 0x10000, v10
	s_delay_alu instid0(VALU_DEP_2) | instskip(NEXT) | instid1(VALU_DEP_2)
	v_cmp_eq_u32_e32 vcc_lo, 0, v19
	v_cndmask_b32_e32 v29, v20, v10, vcc_lo
; %bb.1682:                             ;   in Loop: Header=BB8_1058 Depth=1
	s_or_b32 exec_lo, exec_lo, s11
	v_and_b32_e32 v10, 0xffff0000, v11
	s_mov_b32 s11, exec_lo
                                        ; implicit-def: $vgpr27
	s_delay_alu instid0(VALU_DEP_1) | instskip(NEXT) | instid1(VALU_DEP_1)
	v_mul_f32_e32 v10, v18, v10
	v_and_b32_e32 v11, 0x7f800000, v10
	s_delay_alu instid0(VALU_DEP_1)
	v_cmpx_ne_u32_e32 0x7f800000, v11
	s_xor_b32 s11, exec_lo, s11
; %bb.1683:                             ;   in Loop: Header=BB8_1058 Depth=1
	v_bfe_u32 v11, v10, 16, 1
	s_delay_alu instid0(VALU_DEP_1)
	v_add3_u32 v27, v10, v11, 0x7fff
                                        ; implicit-def: $vgpr10
; %bb.1684:                             ;   in Loop: Header=BB8_1058 Depth=1
	s_and_not1_saveexec_b32 s11, s11
; %bb.1685:                             ;   in Loop: Header=BB8_1058 Depth=1
	v_and_b32_e32 v11, 0xffff, v10
	v_or_b32_e32 v19, 0x10000, v10
	s_delay_alu instid0(VALU_DEP_2) | instskip(NEXT) | instid1(VALU_DEP_2)
	v_cmp_eq_u32_e32 vcc_lo, 0, v11
	v_cndmask_b32_e32 v27, v19, v10, vcc_lo
; %bb.1686:                             ;   in Loop: Header=BB8_1058 Depth=1
	s_or_b32 exec_lo, exec_lo, s11
	v_lshlrev_b32_e32 v10, 16, v12
	s_mov_b32 s11, exec_lo
                                        ; implicit-def: $vgpr28
	s_delay_alu instid0(VALU_DEP_1) | instskip(NEXT) | instid1(VALU_DEP_1)
	v_mul_f32_e32 v10, v18, v10
	v_and_b32_e32 v11, 0x7f800000, v10
	s_delay_alu instid0(VALU_DEP_1)
	v_cmpx_ne_u32_e32 0x7f800000, v11
	s_xor_b32 s11, exec_lo, s11
; %bb.1687:                             ;   in Loop: Header=BB8_1058 Depth=1
	v_bfe_u32 v11, v10, 16, 1
	s_delay_alu instid0(VALU_DEP_1)
	v_add3_u32 v28, v10, v11, 0x7fff
                                        ; implicit-def: $vgpr10
; %bb.1688:                             ;   in Loop: Header=BB8_1058 Depth=1
	s_and_not1_saveexec_b32 s11, s11
; %bb.1689:                             ;   in Loop: Header=BB8_1058 Depth=1
	v_and_b32_e32 v11, 0xffff, v10
	v_or_b32_e32 v19, 0x10000, v10
	s_delay_alu instid0(VALU_DEP_2) | instskip(NEXT) | instid1(VALU_DEP_2)
	v_cmp_eq_u32_e32 vcc_lo, 0, v11
	v_cndmask_b32_e32 v28, v19, v10, vcc_lo
; %bb.1690:                             ;   in Loop: Header=BB8_1058 Depth=1
	s_or_b32 exec_lo, exec_lo, s11
	v_and_b32_e32 v10, 0xffff0000, v12
	s_mov_b32 s11, exec_lo
                                        ; implicit-def: $vgpr20
	s_delay_alu instid0(VALU_DEP_1) | instskip(NEXT) | instid1(VALU_DEP_1)
	v_mul_f32_e32 v10, v18, v10
	v_and_b32_e32 v11, 0x7f800000, v10
	s_delay_alu instid0(VALU_DEP_1)
	v_cmpx_ne_u32_e32 0x7f800000, v11
	s_xor_b32 s11, exec_lo, s11
; %bb.1691:                             ;   in Loop: Header=BB8_1058 Depth=1
	v_bfe_u32 v11, v10, 16, 1
	s_delay_alu instid0(VALU_DEP_1)
	v_add3_u32 v20, v10, v11, 0x7fff
                                        ; implicit-def: $vgpr10
; %bb.1692:                             ;   in Loop: Header=BB8_1058 Depth=1
	s_and_not1_saveexec_b32 s11, s11
; %bb.1693:                             ;   in Loop: Header=BB8_1058 Depth=1
	v_and_b32_e32 v11, 0xffff, v10
	v_or_b32_e32 v12, 0x10000, v10
	s_delay_alu instid0(VALU_DEP_2) | instskip(NEXT) | instid1(VALU_DEP_2)
	v_cmp_eq_u32_e32 vcc_lo, 0, v11
	v_cndmask_b32_e32 v20, v12, v10, vcc_lo
; %bb.1694:                             ;   in Loop: Header=BB8_1058 Depth=1
	s_or_b32 exec_lo, exec_lo, s11
	v_lshlrev_b32_e32 v10, 16, v13
	s_mov_b32 s11, exec_lo
                                        ; implicit-def: $vgpr21
	s_delay_alu instid0(VALU_DEP_1) | instskip(NEXT) | instid1(VALU_DEP_1)
	v_mul_f32_e32 v10, v18, v10
	v_and_b32_e32 v11, 0x7f800000, v10
	s_delay_alu instid0(VALU_DEP_1)
	v_cmpx_ne_u32_e32 0x7f800000, v11
	s_xor_b32 s11, exec_lo, s11
; %bb.1695:                             ;   in Loop: Header=BB8_1058 Depth=1
	v_bfe_u32 v11, v10, 16, 1
	s_delay_alu instid0(VALU_DEP_1)
	v_add3_u32 v21, v10, v11, 0x7fff
                                        ; implicit-def: $vgpr10
; %bb.1696:                             ;   in Loop: Header=BB8_1058 Depth=1
	s_and_not1_saveexec_b32 s11, s11
; %bb.1697:                             ;   in Loop: Header=BB8_1058 Depth=1
	v_and_b32_e32 v11, 0xffff, v10
	v_or_b32_e32 v12, 0x10000, v10
	s_delay_alu instid0(VALU_DEP_2) | instskip(NEXT) | instid1(VALU_DEP_2)
	v_cmp_eq_u32_e32 vcc_lo, 0, v11
	v_cndmask_b32_e32 v21, v12, v10, vcc_lo
; %bb.1698:                             ;   in Loop: Header=BB8_1058 Depth=1
	s_or_b32 exec_lo, exec_lo, s11
	v_and_b32_e32 v10, 0xffff0000, v13
	s_mov_b32 s11, exec_lo
	s_delay_alu instid0(VALU_DEP_1) | instskip(NEXT) | instid1(VALU_DEP_1)
	v_mul_f32_e32 v10, v18, v10
                                        ; implicit-def: $vgpr18
	v_and_b32_e32 v11, 0x7f800000, v10
	s_delay_alu instid0(VALU_DEP_1)
	v_cmpx_ne_u32_e32 0x7f800000, v11
	s_xor_b32 s11, exec_lo, s11
; %bb.1699:                             ;   in Loop: Header=BB8_1058 Depth=1
	v_bfe_u32 v11, v10, 16, 1
	s_delay_alu instid0(VALU_DEP_1)
	v_add3_u32 v18, v10, v11, 0x7fff
                                        ; implicit-def: $vgpr10
; %bb.1700:                             ;   in Loop: Header=BB8_1058 Depth=1
	s_and_not1_saveexec_b32 s11, s11
; %bb.1701:                             ;   in Loop: Header=BB8_1058 Depth=1
	v_and_b32_e32 v11, 0xffff, v10
	v_or_b32_e32 v12, 0x10000, v10
	s_delay_alu instid0(VALU_DEP_2) | instskip(NEXT) | instid1(VALU_DEP_2)
	v_cmp_eq_u32_e32 vcc_lo, 0, v11
	v_cndmask_b32_e32 v18, v12, v10, vcc_lo
; %bb.1702:                             ;   in Loop: Header=BB8_1058 Depth=1
	s_or_b32 exec_lo, exec_lo, s11
	scratch_load_b128 v[10:13], off, s33 offset:224
	v_and_b32_e32 v17, 0xffff0000, v17
	s_wait_loadcnt 0x0
	v_lshlrev_b32_e32 v19, 16, v10
	s_delay_alu instid0(VALU_DEP_1) | instskip(NEXT) | instid1(VALU_DEP_1)
	v_add_f32_e32 v17, v17, v19
	v_and_b32_e32 v19, 0x7f800000, v17
	s_delay_alu instid0(VALU_DEP_1) | instskip(SKIP_2) | instid1(SALU_CYCLE_1)
	v_cmp_ne_u32_e32 vcc_lo, 0x7f800000, v19
                                        ; implicit-def: $vgpr19
	s_wait_xcnt 0x0
	s_and_saveexec_b32 s11, vcc_lo
	s_xor_b32 s11, exec_lo, s11
; %bb.1703:                             ;   in Loop: Header=BB8_1058 Depth=1
	v_bfe_u32 v19, v17, 16, 1
	s_delay_alu instid0(VALU_DEP_1)
	v_add3_u32 v19, v17, v19, 0x7fff
                                        ; implicit-def: $vgpr17
; %bb.1704:                             ;   in Loop: Header=BB8_1058 Depth=1
	s_and_not1_saveexec_b32 s11, s11
; %bb.1705:                             ;   in Loop: Header=BB8_1058 Depth=1
	v_and_b32_e32 v19, 0xffff, v17
	v_or_b32_e32 v32, 0x10000, v17
	s_delay_alu instid0(VALU_DEP_2) | instskip(NEXT) | instid1(VALU_DEP_2)
	v_cmp_eq_u32_e32 vcc_lo, 0, v19
	v_cndmask_b32_e32 v19, v32, v17, vcc_lo
; %bb.1706:                             ;   in Loop: Header=BB8_1058 Depth=1
	s_or_b32 exec_lo, exec_lo, s11
	v_and_b32_e32 v17, 0xffff0000, v10
	v_and_b32_e32 v16, 0xffff0000, v16
	s_delay_alu instid0(VALU_DEP_2) | instskip(NEXT) | instid1(VALU_DEP_1)
	v_mov_b32_e32 v10, v17
	v_pk_add_f32 v[16:17], v[10:11], v[16:17]
	s_delay_alu instid0(VALU_DEP_1) | instskip(NEXT) | instid1(VALU_DEP_1)
	v_and_b32_e32 v10, 0x7f800000, v16
	v_cmp_ne_u32_e32 vcc_lo, 0x7f800000, v10
                                        ; implicit-def: $vgpr10
	s_and_saveexec_b32 s11, vcc_lo
	s_delay_alu instid0(SALU_CYCLE_1)
	s_xor_b32 s11, exec_lo, s11
; %bb.1707:                             ;   in Loop: Header=BB8_1058 Depth=1
	v_bfe_u32 v10, v16, 16, 1
	s_delay_alu instid0(VALU_DEP_1)
	v_add3_u32 v10, v16, v10, 0x7fff
                                        ; implicit-def: $vgpr16_vgpr17
; %bb.1708:                             ;   in Loop: Header=BB8_1058 Depth=1
	s_and_not1_saveexec_b32 s11, s11
; %bb.1709:                             ;   in Loop: Header=BB8_1058 Depth=1
	v_and_b32_e32 v10, 0xffff, v16
	v_or_b32_e32 v17, 0x10000, v16
	s_delay_alu instid0(VALU_DEP_2) | instskip(NEXT) | instid1(VALU_DEP_2)
	v_cmp_eq_u32_e32 vcc_lo, 0, v10
	v_cndmask_b32_e32 v10, v17, v16, vcc_lo
; %bb.1710:                             ;   in Loop: Header=BB8_1058 Depth=1
	s_or_b32 exec_lo, exec_lo, s11
	v_and_b32_e32 v16, 0xffff0000, v29
	v_lshlrev_b32_e32 v17, 16, v11
	s_delay_alu instid0(VALU_DEP_1) | instskip(NEXT) | instid1(VALU_DEP_1)
	v_add_f32_e32 v17, v16, v17
	v_and_b32_e32 v16, 0x7f800000, v17
	s_delay_alu instid0(VALU_DEP_1) | instskip(SKIP_1) | instid1(SALU_CYCLE_1)
	v_cmp_ne_u32_e32 vcc_lo, 0x7f800000, v16
                                        ; implicit-def: $vgpr16
	s_and_saveexec_b32 s11, vcc_lo
	s_xor_b32 s11, exec_lo, s11
; %bb.1711:                             ;   in Loop: Header=BB8_1058 Depth=1
	v_bfe_u32 v16, v17, 16, 1
	s_delay_alu instid0(VALU_DEP_1)
	v_add3_u32 v16, v17, v16, 0x7fff
                                        ; implicit-def: $vgpr17
; %bb.1712:                             ;   in Loop: Header=BB8_1058 Depth=1
	s_and_not1_saveexec_b32 s11, s11
; %bb.1713:                             ;   in Loop: Header=BB8_1058 Depth=1
	v_and_b32_e32 v16, 0xffff, v17
	v_or_b32_e32 v29, 0x10000, v17
	s_delay_alu instid0(VALU_DEP_2) | instskip(NEXT) | instid1(VALU_DEP_2)
	v_cmp_eq_u32_e32 vcc_lo, 0, v16
	v_cndmask_b32_e32 v16, v29, v17, vcc_lo
; %bb.1714:                             ;   in Loop: Header=BB8_1058 Depth=1
	s_or_b32 exec_lo, exec_lo, s11
	v_and_b32_e32 v11, 0xffff0000, v11
	v_and_b32_e32 v17, 0xffff0000, v27
	s_delay_alu instid0(VALU_DEP_1) | instskip(NEXT) | instid1(VALU_DEP_1)
	v_add_f32_e32 v17, v17, v11
	v_and_b32_e32 v11, 0x7f800000, v17
	s_delay_alu instid0(VALU_DEP_1) | instskip(SKIP_1) | instid1(SALU_CYCLE_1)
	v_cmp_ne_u32_e32 vcc_lo, 0x7f800000, v11
                                        ; implicit-def: $vgpr11
	s_and_saveexec_b32 s11, vcc_lo
	s_xor_b32 s11, exec_lo, s11
; %bb.1715:                             ;   in Loop: Header=BB8_1058 Depth=1
	v_bfe_u32 v11, v17, 16, 1
	s_delay_alu instid0(VALU_DEP_1)
	v_add3_u32 v11, v17, v11, 0x7fff
                                        ; implicit-def: $vgpr17
; %bb.1716:                             ;   in Loop: Header=BB8_1058 Depth=1
	s_and_not1_saveexec_b32 s11, s11
; %bb.1717:                             ;   in Loop: Header=BB8_1058 Depth=1
	v_and_b32_e32 v11, 0xffff, v17
	v_or_b32_e32 v27, 0x10000, v17
	s_delay_alu instid0(VALU_DEP_2) | instskip(NEXT) | instid1(VALU_DEP_2)
	v_cmp_eq_u32_e32 vcc_lo, 0, v11
	v_cndmask_b32_e32 v11, v27, v17, vcc_lo
; %bb.1718:                             ;   in Loop: Header=BB8_1058 Depth=1
	s_or_b32 exec_lo, exec_lo, s11
	v_and_b32_e32 v17, 0xffff0000, v28
	v_lshlrev_b32_e32 v27, 16, v12
	s_delay_alu instid0(VALU_DEP_1) | instskip(NEXT) | instid1(VALU_DEP_1)
	v_add_f32_e32 v27, v17, v27
	v_and_b32_e32 v17, 0x7f800000, v27
	s_delay_alu instid0(VALU_DEP_1) | instskip(SKIP_1) | instid1(SALU_CYCLE_1)
	v_cmp_ne_u32_e32 vcc_lo, 0x7f800000, v17
                                        ; implicit-def: $vgpr17
	s_and_saveexec_b32 s11, vcc_lo
	s_xor_b32 s11, exec_lo, s11
; %bb.1719:                             ;   in Loop: Header=BB8_1058 Depth=1
	v_bfe_u32 v17, v27, 16, 1
	s_delay_alu instid0(VALU_DEP_1)
	v_add3_u32 v17, v27, v17, 0x7fff
                                        ; implicit-def: $vgpr27
; %bb.1720:                             ;   in Loop: Header=BB8_1058 Depth=1
	s_and_not1_saveexec_b32 s11, s11
; %bb.1721:                             ;   in Loop: Header=BB8_1058 Depth=1
	v_and_b32_e32 v17, 0xffff, v27
	v_or_b32_e32 v28, 0x10000, v27
	s_delay_alu instid0(VALU_DEP_2) | instskip(NEXT) | instid1(VALU_DEP_2)
	v_cmp_eq_u32_e32 vcc_lo, 0, v17
	v_cndmask_b32_e32 v17, v28, v27, vcc_lo
; %bb.1722:                             ;   in Loop: Header=BB8_1058 Depth=1
	s_or_b32 exec_lo, exec_lo, s11
	v_and_b32_e32 v12, 0xffff0000, v12
	v_and_b32_e32 v20, 0xffff0000, v20
	s_delay_alu instid0(VALU_DEP_1) | instskip(NEXT) | instid1(VALU_DEP_1)
	v_add_f32_e32 v20, v20, v12
	v_and_b32_e32 v12, 0x7f800000, v20
	s_delay_alu instid0(VALU_DEP_1) | instskip(SKIP_1) | instid1(SALU_CYCLE_1)
	v_cmp_ne_u32_e32 vcc_lo, 0x7f800000, v12
                                        ; implicit-def: $vgpr12
	s_and_saveexec_b32 s11, vcc_lo
	s_xor_b32 s11, exec_lo, s11
; %bb.1723:                             ;   in Loop: Header=BB8_1058 Depth=1
	v_bfe_u32 v12, v20, 16, 1
	s_delay_alu instid0(VALU_DEP_1)
	v_add3_u32 v12, v20, v12, 0x7fff
                                        ; implicit-def: $vgpr20
; %bb.1724:                             ;   in Loop: Header=BB8_1058 Depth=1
	s_and_not1_saveexec_b32 s11, s11
; %bb.1725:                             ;   in Loop: Header=BB8_1058 Depth=1
	v_and_b32_e32 v12, 0xffff, v20
	v_or_b32_e32 v27, 0x10000, v20
	s_delay_alu instid0(VALU_DEP_2) | instskip(NEXT) | instid1(VALU_DEP_2)
	v_cmp_eq_u32_e32 vcc_lo, 0, v12
	v_cndmask_b32_e32 v12, v27, v20, vcc_lo
; %bb.1726:                             ;   in Loop: Header=BB8_1058 Depth=1
	s_or_b32 exec_lo, exec_lo, s11
	v_and_b32_e32 v20, 0xffff0000, v21
	v_lshlrev_b32_e32 v21, 16, v13
	s_delay_alu instid0(VALU_DEP_1) | instskip(NEXT) | instid1(VALU_DEP_1)
	v_add_f32_e32 v21, v20, v21
	v_and_b32_e32 v20, 0x7f800000, v21
	s_delay_alu instid0(VALU_DEP_1) | instskip(SKIP_1) | instid1(SALU_CYCLE_1)
	v_cmp_ne_u32_e32 vcc_lo, 0x7f800000, v20
                                        ; implicit-def: $vgpr20
	s_and_saveexec_b32 s11, vcc_lo
	s_xor_b32 s11, exec_lo, s11
; %bb.1727:                             ;   in Loop: Header=BB8_1058 Depth=1
	v_bfe_u32 v20, v21, 16, 1
	s_delay_alu instid0(VALU_DEP_1)
	v_add3_u32 v20, v21, v20, 0x7fff
                                        ; implicit-def: $vgpr21
; %bb.1728:                             ;   in Loop: Header=BB8_1058 Depth=1
	s_and_not1_saveexec_b32 s11, s11
; %bb.1729:                             ;   in Loop: Header=BB8_1058 Depth=1
	v_and_b32_e32 v20, 0xffff, v21
	v_or_b32_e32 v27, 0x10000, v21
	s_delay_alu instid0(VALU_DEP_2) | instskip(NEXT) | instid1(VALU_DEP_2)
	v_cmp_eq_u32_e32 vcc_lo, 0, v20
	v_cndmask_b32_e32 v20, v27, v21, vcc_lo
; %bb.1730:                             ;   in Loop: Header=BB8_1058 Depth=1
	s_or_b32 exec_lo, exec_lo, s11
	v_and_b32_e32 v13, 0xffff0000, v13
	v_and_b32_e32 v18, 0xffff0000, v18
	s_delay_alu instid0(VALU_DEP_1) | instskip(NEXT) | instid1(VALU_DEP_1)
	v_add_f32_e32 v18, v18, v13
	v_and_b32_e32 v13, 0x7f800000, v18
	s_delay_alu instid0(VALU_DEP_1) | instskip(SKIP_1) | instid1(SALU_CYCLE_1)
	v_cmp_ne_u32_e32 vcc_lo, 0x7f800000, v13
                                        ; implicit-def: $vgpr13
	s_and_saveexec_b32 s11, vcc_lo
	s_xor_b32 s11, exec_lo, s11
; %bb.1731:                             ;   in Loop: Header=BB8_1058 Depth=1
	v_bfe_u32 v13, v18, 16, 1
	s_delay_alu instid0(VALU_DEP_1)
	v_add3_u32 v13, v18, v13, 0x7fff
                                        ; implicit-def: $vgpr18
; %bb.1732:                             ;   in Loop: Header=BB8_1058 Depth=1
	s_and_not1_saveexec_b32 s11, s11
; %bb.1733:                             ;   in Loop: Header=BB8_1058 Depth=1
	v_and_b32_e32 v13, 0xffff, v18
	v_or_b32_e32 v21, 0x10000, v18
	s_delay_alu instid0(VALU_DEP_2) | instskip(NEXT) | instid1(VALU_DEP_2)
	v_cmp_eq_u32_e32 vcc_lo, 0, v13
	v_cndmask_b32_e32 v13, v21, v18, vcc_lo
; %bb.1734:                             ;   in Loop: Header=BB8_1058 Depth=1
	s_or_b32 exec_lo, exec_lo, s11
	v_dual_lshrrev_b32 v16, 16, v16 :: v_dual_lshrrev_b32 v18, 16, v19
	v_dual_lshrrev_b32 v17, 16, v17 :: v_dual_lshrrev_b32 v19, 16, v20
	s_delay_alu instid0(VALU_DEP_2) | instskip(NEXT) | instid1(VALU_DEP_3)
	v_and_or_b32 v11, 0xffff0000, v11, v16
	v_and_or_b32 v10, 0xffff0000, v10, v18
	s_delay_alu instid0(VALU_DEP_3) | instskip(NEXT) | instid1(VALU_DEP_4)
	v_and_or_b32 v12, 0xffff0000, v12, v17
	v_and_or_b32 v13, 0xffff0000, v13, v19
	global_store_b128 v[14:15], v[10:13], off th:TH_STORE_NT
.LBB8_1735:                             ;   in Loop: Header=BB8_1058 Depth=1
	s_wait_xcnt 0x0
	s_or_b32 exec_lo, exec_lo, s10
	v_and_b32_e32 v11, 14, v74
	s_mov_b32 s11, s26
	s_mov_b32 s10, exec_lo
                                        ; implicit-def: $vgpr20
                                        ; implicit-def: $vgpr10
                                        ; implicit-def: $vgpr21
	s_delay_alu instid0(VALU_DEP_1) | instskip(NEXT) | instid1(VALU_DEP_1)
	v_cndmask_b32_e64 v74, v25, v11, s7
	v_cmpx_ne_u32_e32 0, v74
	s_cbranch_execz .LBB8_1737
; %bb.1736:                             ;   in Loop: Header=BB8_1058 Depth=1
	v_cmp_lt_i32_e32 vcc_lo, 0, v26
	s_or_b32 s11, s26, exec_lo
	v_dual_cndmask_b32 v10, 0, v84 :: v_dual_sub_nc_u32 v11, v25, v11
	s_delay_alu instid0(VALU_DEP_1) | instskip(NEXT) | instid1(VALU_DEP_1)
	v_dual_cndmask_b32 v11, 0, v11, s7 :: v_dual_sub_nc_u32 v10, v10, v26
	v_add3_u32 v20, v24, v22, v11
	s_delay_alu instid0(VALU_DEP_2) | instskip(NEXT) | instid1(VALU_DEP_1)
	v_lshl_add_u32 v10, v10, 5, v23
	v_ashrrev_i32_e32 v12, 31, v10
	s_delay_alu instid0(VALU_DEP_1) | instskip(NEXT) | instid1(VALU_DEP_1)
	v_lshrrev_b32_e32 v12, 27, v12
	v_add_nc_u32_e32 v12, v10, v12
	s_delay_alu instid0(VALU_DEP_1) | instskip(NEXT) | instid1(VALU_DEP_1)
	v_and_b32_e32 v12, 0xffffffe0, v12
	v_sub_nc_u32_e32 v21, v10, v12
.LBB8_1737:                             ;   in Loop: Header=BB8_1058 Depth=1
	s_or_b32 exec_lo, exec_lo, s10
	s_delay_alu instid0(SALU_CYCLE_1) | instskip(SKIP_1) | instid1(SALU_CYCLE_1)
	s_and_not1_b32 s7, s26, exec_lo
	s_and_b32 s10, s11, exec_lo
	s_or_b32 s26, s7, s10
.LBB8_1738:                             ;   in Loop: Header=BB8_1058 Depth=1
	s_or_b32 exec_lo, exec_lo, s27
	s_and_saveexec_b32 s11, s26
	s_cbranch_execz .LBB8_1978
.LBB8_1739:                             ;   in Loop: Header=BB8_1058 Depth=1
	s_delay_alu instid0(VALU_DEP_1) | instskip(SKIP_2) | instid1(VALU_DEP_3)
	v_dual_mov_b32 v56, 0 :: v_dual_ashrrev_i32 v11, 31, v10
	v_dual_mov_b32 v46, 0 :: v_dual_mov_b32 v50, 0
	v_dual_mov_b32 v37, 0 :: v_dual_mov_b32 v36, 0
	v_dual_lshrrev_b32 v11, 27, v11 :: v_dual_ashrrev_i32 v12, 31, v74
	v_dual_mov_b32 v34, 0 :: v_dual_mov_b32 v23, 0
	v_dual_mov_b32 v17, 0 :: v_dual_mov_b32 v16, 0
	s_delay_alu instid0(VALU_DEP_3) | instskip(NEXT) | instid1(VALU_DEP_4)
	v_dual_add_nc_u32 v10, v10, v11 :: v_dual_lshlrev_b32 v11, 1, v21
	v_lshrrev_b32_e32 v12, 23, v12
	s_mov_b32 s10, 0
	s_mov_b32 s7, exec_lo
	s_delay_alu instid0(VALU_DEP_2) | instskip(NEXT) | instid1(VALU_DEP_2)
	v_dual_mov_b32 v39, 0 :: v_dual_ashrrev_i32 v10, 5, v10
	v_dual_add_nc_u32 v12, v74, v12 :: v_dual_mov_b32 v38, 0
	s_delay_alu instid0(VALU_DEP_2) | instskip(NEXT) | instid1(VALU_DEP_2)
	v_dual_mov_b32 v35, 0 :: v_dual_lshlrev_b32 v13, 9, v10
	v_dual_mov_b32 v19, 0 :: v_dual_ashrrev_i32 v22, 9, v12
	v_dual_mov_b32 v12, 0 :: v_dual_mov_b32 v18, 0
	s_delay_alu instid0(VALU_DEP_3) | instskip(NEXT) | instid1(VALU_DEP_3)
	v_add3_u32 v14, v20, v11, v13
	v_dual_mov_b32 v13, 0 :: v_dual_sub_nc_u32 v33, v22, v10
	s_delay_alu instid0(VALU_DEP_2) | instskip(NEXT) | instid1(VALU_DEP_1)
	v_ashrrev_i32_e32 v15, 31, v14
	v_add_nc_u64_e32 v[10:11], v[44:45], v[14:15]
	s_delay_alu instid0(VALU_DEP_3)
	v_cmpx_lt_i32_e32 0, v33
	s_cbranch_execz .LBB8_1875
; %bb.1740:                             ;   in Loop: Header=BB8_1058 Depth=1
	s_trap 2
	ds_load_b64 v[16:17], v0
	v_add_nc_u64_e32 v[12:13], v[14:15], v[42:43]
	s_mov_b32 s13, 0
	s_mov_b32 s12, 0
                                        ; implicit-def: $sgpr10
                                        ; implicit-def: $vgpr79
                                        ; implicit-def: $vgpr77
                                        ; implicit-def: $vgpr75
                                        ; implicit-def: $vgpr58
                                        ; implicit-def: $vgpr47
                                        ; implicit-def: $vgpr51
                                        ; implicit-def: $vgpr49
                                        ; implicit-def: $vgpr48
                                        ; implicit-def: $vgpr23
                                        ; implicit-def: $vgpr24
                                        ; implicit-def: $vgpr25
                                        ; implicit-def: $vgpr26
                                        ; implicit-def: $vgpr27
                                        ; implicit-def: $vgpr28
                                        ; implicit-def: $vgpr29
                                        ; implicit-def: $vgpr32
	s_wait_dscnt 0x0
	v_add_nc_u64_e32 v[14:15], v[16:17], v[14:15]
	s_branch .LBB8_1742
.LBB8_1741:                             ;   in Loop: Header=BB8_1742 Depth=2
	s_or_b32 exec_lo, exec_lo, s26
	v_dual_cndmask_b32 v36, 0, v84, s13 :: v_dual_cndmask_b32 v89, 0, v115, s13
	v_add_nc_u64_e32 v[34:35], v[12:13], v[98:99]
	v_add_nc_u64_e32 v[56:57], v[14:15], v[98:99]
	v_cndmask_b32_e64 v88, 0x200, v114, s13
	s_delay_alu instid0(VALU_DEP_4)
	v_sub_nc_u32_e32 v33, v33, v36
	s_clause 0x7
	flat_store_d16_hi_b16 v[10:11], v16 th:TH_STORE_NT
	flat_store_d16_hi_b16 v[10:11], v50 offset:64 th:TH_STORE_NT
	flat_store_d16_hi_b16 v[10:11], v39 offset:128 th:TH_STORE_NT
	;; [unrolled: 1-line block ×7, first 2 shown]
	v_cndmask_b32_e64 v12, v12, v34, s13
	v_cmp_gt_i32_e32 vcc_lo, 1, v33
	s_wait_xcnt 0x0
	v_add_nc_u64_e32 v[10:11], v[10:11], v[88:89]
	v_dual_cndmask_b32 v13, v13, v35, s13 :: v_dual_cndmask_b32 v15, v15, v57, s13
	v_cndmask_b32_e64 v14, v14, v56, s13
	s_or_b32 s12, vcc_lo, s12
	s_and_not1_b32 s10, s10, exec_lo
	s_and_b32 s26, s13, exec_lo
	s_delay_alu instid0(SALU_CYCLE_1)
	s_or_b32 s10, s10, s26
	s_and_not1_b32 exec_lo, exec_lo, s12
	s_cbranch_execz .LBB8_1874
.LBB8_1742:                             ;   Parent Loop BB8_1058 Depth=1
                                        ; =>  This Inner Loop Header: Depth=2
	s_clause 0x7
	flat_load_u16 v90, v[12:13] th:TH_LOAD_NT
	flat_load_u16 v89, v[12:13] offset:64 th:TH_LOAD_NT
	flat_load_u16 v88, v[12:13] offset:128 th:TH_LOAD_NT
	;; [unrolled: 1-line block ×7, first 2 shown]
	s_clause 0x7
	flat_load_u16 v46, v[14:15] th:TH_LOAD_NT
	flat_load_u16 v50, v[14:15] offset:64 th:TH_LOAD_NT
	flat_load_u16 v39, v[14:15] offset:128 th:TH_LOAD_NT
	;; [unrolled: 1-line block ×7, first 2 shown]
	s_wait_xcnt 0x0
	s_and_saveexec_b32 s26, s13
	s_cbranch_execz .LBB8_1808
; %bb.1743:                             ;   in Loop: Header=BB8_1742 Depth=2
	s_trap 2
	ds_load_b32 v16, v0
	s_wait_dscnt 0x0
	v_dual_lshlrev_b32 v17, 16, v16 :: v_dual_lshlrev_b32 v16, 16, v79
	s_delay_alu instid0(VALU_DEP_1) | instskip(NEXT) | instid1(VALU_DEP_1)
	v_mov_b32_e32 v18, v17
	v_pk_mul_f32 v[18:19], v[18:19], v[16:17]
	s_delay_alu instid0(VALU_DEP_1) | instskip(NEXT) | instid1(VALU_DEP_1)
	v_and_b32_e32 v16, 0x7f800000, v18
	v_cmp_ne_u32_e32 vcc_lo, 0x7f800000, v16
                                        ; implicit-def: $vgpr16
	s_and_saveexec_b32 s13, vcc_lo
	s_delay_alu instid0(SALU_CYCLE_1)
	s_xor_b32 s13, exec_lo, s13
; %bb.1744:                             ;   in Loop: Header=BB8_1742 Depth=2
	v_bfe_u32 v16, v18, 16, 1
	s_delay_alu instid0(VALU_DEP_1)
	v_add3_u32 v16, v18, v16, 0x7fff
                                        ; implicit-def: $vgpr18_vgpr19
; %bb.1745:                             ;   in Loop: Header=BB8_1742 Depth=2
	s_and_not1_saveexec_b32 s13, s13
; %bb.1746:                             ;   in Loop: Header=BB8_1742 Depth=2
	v_and_b32_e32 v16, 0xffff, v18
	v_or_b32_e32 v19, 0x10000, v18
	s_delay_alu instid0(VALU_DEP_2) | instskip(NEXT) | instid1(VALU_DEP_2)
	v_cmp_eq_u32_e32 vcc_lo, 0, v16
	v_cndmask_b32_e32 v16, v19, v18, vcc_lo
; %bb.1747:                             ;   in Loop: Header=BB8_1742 Depth=2
	s_or_b32 exec_lo, exec_lo, s13
	v_lshlrev_b32_e32 v18, 16, v77
	s_mov_b32 s13, exec_lo
                                        ; implicit-def: $vgpr77
	s_delay_alu instid0(VALU_DEP_1) | instskip(NEXT) | instid1(VALU_DEP_1)
	v_mul_f32_e32 v18, v17, v18
	v_and_b32_e32 v19, 0x7f800000, v18
	s_delay_alu instid0(VALU_DEP_1)
	v_cmpx_ne_u32_e32 0x7f800000, v19
	s_xor_b32 s13, exec_lo, s13
; %bb.1748:                             ;   in Loop: Header=BB8_1742 Depth=2
	v_bfe_u32 v19, v18, 16, 1
	s_delay_alu instid0(VALU_DEP_1)
	v_add3_u32 v77, v18, v19, 0x7fff
                                        ; implicit-def: $vgpr18
; %bb.1749:                             ;   in Loop: Header=BB8_1742 Depth=2
	s_and_not1_saveexec_b32 s13, s13
; %bb.1750:                             ;   in Loop: Header=BB8_1742 Depth=2
	v_and_b32_e32 v19, 0xffff, v18
	v_or_b32_e32 v77, 0x10000, v18
	s_delay_alu instid0(VALU_DEP_2) | instskip(NEXT) | instid1(VALU_DEP_2)
	v_cmp_eq_u32_e32 vcc_lo, 0, v19
	v_cndmask_b32_e32 v77, v77, v18, vcc_lo
; %bb.1751:                             ;   in Loop: Header=BB8_1742 Depth=2
	s_or_b32 exec_lo, exec_lo, s13
	v_lshlrev_b32_e32 v18, 16, v75
	s_mov_b32 s13, exec_lo
                                        ; implicit-def: $vgpr75
	s_delay_alu instid0(VALU_DEP_1) | instskip(NEXT) | instid1(VALU_DEP_1)
	v_mul_f32_e32 v18, v17, v18
	v_and_b32_e32 v19, 0x7f800000, v18
	s_delay_alu instid0(VALU_DEP_1)
	v_cmpx_ne_u32_e32 0x7f800000, v19
	s_xor_b32 s13, exec_lo, s13
; %bb.1752:                             ;   in Loop: Header=BB8_1742 Depth=2
	v_bfe_u32 v19, v18, 16, 1
	s_delay_alu instid0(VALU_DEP_1)
	v_add3_u32 v75, v18, v19, 0x7fff
                                        ; implicit-def: $vgpr18
; %bb.1753:                             ;   in Loop: Header=BB8_1742 Depth=2
	s_and_not1_saveexec_b32 s13, s13
; %bb.1754:                             ;   in Loop: Header=BB8_1742 Depth=2
	v_and_b32_e32 v19, 0xffff, v18
	v_or_b32_e32 v75, 0x10000, v18
	s_delay_alu instid0(VALU_DEP_2) | instskip(NEXT) | instid1(VALU_DEP_2)
	v_cmp_eq_u32_e32 vcc_lo, 0, v19
	v_cndmask_b32_e32 v75, v75, v18, vcc_lo
; %bb.1755:                             ;   in Loop: Header=BB8_1742 Depth=2
	s_or_b32 exec_lo, exec_lo, s13
	v_lshlrev_b32_e32 v18, 16, v58
	s_mov_b32 s13, exec_lo
                                        ; implicit-def: $vgpr58
	s_delay_alu instid0(VALU_DEP_1) | instskip(NEXT) | instid1(VALU_DEP_1)
	v_mul_f32_e32 v18, v17, v18
	v_and_b32_e32 v19, 0x7f800000, v18
	s_delay_alu instid0(VALU_DEP_1)
	v_cmpx_ne_u32_e32 0x7f800000, v19
	s_xor_b32 s13, exec_lo, s13
; %bb.1756:                             ;   in Loop: Header=BB8_1742 Depth=2
	v_bfe_u32 v19, v18, 16, 1
	s_delay_alu instid0(VALU_DEP_1)
	v_add3_u32 v58, v18, v19, 0x7fff
                                        ; implicit-def: $vgpr18
; %bb.1757:                             ;   in Loop: Header=BB8_1742 Depth=2
	s_and_not1_saveexec_b32 s13, s13
; %bb.1758:                             ;   in Loop: Header=BB8_1742 Depth=2
	v_and_b32_e32 v19, 0xffff, v18
	v_or_b32_e32 v58, 0x10000, v18
	s_delay_alu instid0(VALU_DEP_2) | instskip(NEXT) | instid1(VALU_DEP_2)
	v_cmp_eq_u32_e32 vcc_lo, 0, v19
	v_cndmask_b32_e32 v58, v58, v18, vcc_lo
; %bb.1759:                             ;   in Loop: Header=BB8_1742 Depth=2
	s_or_b32 exec_lo, exec_lo, s13
	v_lshlrev_b32_e32 v18, 16, v47
	s_mov_b32 s13, exec_lo
                                        ; implicit-def: $vgpr47
	s_delay_alu instid0(VALU_DEP_1) | instskip(NEXT) | instid1(VALU_DEP_1)
	v_mul_f32_e32 v18, v17, v18
	v_and_b32_e32 v19, 0x7f800000, v18
	s_delay_alu instid0(VALU_DEP_1)
	v_cmpx_ne_u32_e32 0x7f800000, v19
	s_xor_b32 s13, exec_lo, s13
; %bb.1760:                             ;   in Loop: Header=BB8_1742 Depth=2
	v_bfe_u32 v19, v18, 16, 1
	s_delay_alu instid0(VALU_DEP_1)
	v_add3_u32 v47, v18, v19, 0x7fff
                                        ; implicit-def: $vgpr18
; %bb.1761:                             ;   in Loop: Header=BB8_1742 Depth=2
	s_and_not1_saveexec_b32 s13, s13
; %bb.1762:                             ;   in Loop: Header=BB8_1742 Depth=2
	v_and_b32_e32 v19, 0xffff, v18
	v_or_b32_e32 v47, 0x10000, v18
	s_delay_alu instid0(VALU_DEP_2) | instskip(NEXT) | instid1(VALU_DEP_2)
	v_cmp_eq_u32_e32 vcc_lo, 0, v19
	v_cndmask_b32_e32 v47, v47, v18, vcc_lo
; %bb.1763:                             ;   in Loop: Header=BB8_1742 Depth=2
	s_or_b32 exec_lo, exec_lo, s13
	v_lshlrev_b32_e32 v18, 16, v51
	s_delay_alu instid0(VALU_DEP_1) | instskip(NEXT) | instid1(VALU_DEP_1)
	v_mul_f32_e32 v18, v17, v18
	v_and_b32_e32 v19, 0x7f800000, v18
	s_delay_alu instid0(VALU_DEP_1) | instskip(SKIP_1) | instid1(SALU_CYCLE_1)
	v_cmp_ne_u32_e32 vcc_lo, 0x7f800000, v19
                                        ; implicit-def: $vgpr19
	s_and_saveexec_b32 s13, vcc_lo
	s_xor_b32 s13, exec_lo, s13
; %bb.1764:                             ;   in Loop: Header=BB8_1742 Depth=2
	v_bfe_u32 v19, v18, 16, 1
	s_delay_alu instid0(VALU_DEP_1)
	v_add3_u32 v19, v18, v19, 0x7fff
                                        ; implicit-def: $vgpr18
; %bb.1765:                             ;   in Loop: Header=BB8_1742 Depth=2
	s_and_not1_saveexec_b32 s13, s13
; %bb.1766:                             ;   in Loop: Header=BB8_1742 Depth=2
	v_and_b32_e32 v19, 0xffff, v18
	v_or_b32_e32 v51, 0x10000, v18
	s_delay_alu instid0(VALU_DEP_2) | instskip(NEXT) | instid1(VALU_DEP_2)
	v_cmp_eq_u32_e32 vcc_lo, 0, v19
	v_cndmask_b32_e32 v19, v51, v18, vcc_lo
; %bb.1767:                             ;   in Loop: Header=BB8_1742 Depth=2
	s_or_b32 exec_lo, exec_lo, s13
	v_lshlrev_b32_e32 v18, 16, v49
	s_delay_alu instid0(VALU_DEP_1) | instskip(NEXT) | instid1(VALU_DEP_1)
	v_mul_f32_e32 v49, v17, v18
	v_and_b32_e32 v18, 0x7f800000, v49
	s_delay_alu instid0(VALU_DEP_1) | instskip(SKIP_1) | instid1(SALU_CYCLE_1)
	v_cmp_ne_u32_e32 vcc_lo, 0x7f800000, v18
                                        ; implicit-def: $vgpr18
	s_and_saveexec_b32 s13, vcc_lo
	s_xor_b32 s13, exec_lo, s13
; %bb.1768:                             ;   in Loop: Header=BB8_1742 Depth=2
	v_bfe_u32 v18, v49, 16, 1
	s_delay_alu instid0(VALU_DEP_1)
	v_add3_u32 v18, v49, v18, 0x7fff
                                        ; implicit-def: $vgpr49
; %bb.1769:                             ;   in Loop: Header=BB8_1742 Depth=2
	s_and_not1_saveexec_b32 s13, s13
; %bb.1770:                             ;   in Loop: Header=BB8_1742 Depth=2
	v_and_b32_e32 v18, 0xffff, v49
	v_or_b32_e32 v51, 0x10000, v49
	s_delay_alu instid0(VALU_DEP_2) | instskip(NEXT) | instid1(VALU_DEP_2)
	v_cmp_eq_u32_e32 vcc_lo, 0, v18
	v_cndmask_b32_e32 v18, v51, v49, vcc_lo
; %bb.1771:                             ;   in Loop: Header=BB8_1742 Depth=2
	s_or_b32 exec_lo, exec_lo, s13
	v_lshlrev_b32_e32 v48, 16, v48
	s_delay_alu instid0(VALU_DEP_1) | instskip(NEXT) | instid1(VALU_DEP_1)
	v_mul_f32_e32 v48, v17, v48
	v_and_b32_e32 v17, 0x7f800000, v48
	s_delay_alu instid0(VALU_DEP_1) | instskip(SKIP_1) | instid1(SALU_CYCLE_1)
	v_cmp_ne_u32_e32 vcc_lo, 0x7f800000, v17
                                        ; implicit-def: $vgpr17
	s_and_saveexec_b32 s13, vcc_lo
	s_xor_b32 s13, exec_lo, s13
; %bb.1772:                             ;   in Loop: Header=BB8_1742 Depth=2
	v_bfe_u32 v17, v48, 16, 1
	s_delay_alu instid0(VALU_DEP_1)
	v_add3_u32 v17, v48, v17, 0x7fff
                                        ; implicit-def: $vgpr48
; %bb.1773:                             ;   in Loop: Header=BB8_1742 Depth=2
	s_and_not1_saveexec_b32 s13, s13
; %bb.1774:                             ;   in Loop: Header=BB8_1742 Depth=2
	v_and_b32_e32 v17, 0xffff, v48
	v_or_b32_e32 v49, 0x10000, v48
	s_delay_alu instid0(VALU_DEP_2) | instskip(NEXT) | instid1(VALU_DEP_2)
	v_cmp_eq_u32_e32 vcc_lo, 0, v17
	v_cndmask_b32_e32 v17, v49, v48, vcc_lo
; %bb.1775:                             ;   in Loop: Header=BB8_1742 Depth=2
	s_or_b32 exec_lo, exec_lo, s13
	v_and_b32_e32 v16, 0xffff0000, v16
	v_lshlrev_b32_e32 v48, 16, v23
	s_delay_alu instid0(VALU_DEP_1) | instskip(NEXT) | instid1(VALU_DEP_1)
	v_add_f32_e32 v48, v48, v16
	v_and_b32_e32 v16, 0x7f800000, v48
	s_delay_alu instid0(VALU_DEP_1) | instskip(SKIP_1) | instid1(SALU_CYCLE_1)
	v_cmp_ne_u32_e32 vcc_lo, 0x7f800000, v16
                                        ; implicit-def: $vgpr16
	s_and_saveexec_b32 s13, vcc_lo
	s_xor_b32 s13, exec_lo, s13
; %bb.1776:                             ;   in Loop: Header=BB8_1742 Depth=2
	v_bfe_u32 v16, v48, 16, 1
	s_delay_alu instid0(VALU_DEP_1)
	v_add3_u32 v16, v48, v16, 0x7fff
                                        ; implicit-def: $vgpr48
; %bb.1777:                             ;   in Loop: Header=BB8_1742 Depth=2
	s_and_not1_saveexec_b32 s13, s13
; %bb.1778:                             ;   in Loop: Header=BB8_1742 Depth=2
	v_and_b32_e32 v16, 0xffff, v48
	v_or_b32_e32 v49, 0x10000, v48
	s_delay_alu instid0(VALU_DEP_2) | instskip(NEXT) | instid1(VALU_DEP_2)
	v_cmp_eq_u32_e32 vcc_lo, 0, v16
	v_cndmask_b32_e32 v16, v49, v48, vcc_lo
; %bb.1779:                             ;   in Loop: Header=BB8_1742 Depth=2
	s_or_b32 exec_lo, exec_lo, s13
	v_and_b32_e32 v48, 0xffff0000, v77
	v_lshlrev_b32_e32 v49, 16, v24
	s_delay_alu instid0(VALU_DEP_1) | instskip(NEXT) | instid1(VALU_DEP_1)
	v_add_f32_e32 v49, v49, v48
	v_and_b32_e32 v48, 0x7f800000, v49
	s_delay_alu instid0(VALU_DEP_1) | instskip(SKIP_1) | instid1(SALU_CYCLE_1)
	v_cmp_ne_u32_e32 vcc_lo, 0x7f800000, v48
                                        ; implicit-def: $vgpr48
	s_and_saveexec_b32 s13, vcc_lo
	s_xor_b32 s13, exec_lo, s13
; %bb.1780:                             ;   in Loop: Header=BB8_1742 Depth=2
	v_bfe_u32 v48, v49, 16, 1
	s_delay_alu instid0(VALU_DEP_1)
	v_add3_u32 v48, v49, v48, 0x7fff
                                        ; implicit-def: $vgpr49
; %bb.1781:                             ;   in Loop: Header=BB8_1742 Depth=2
	s_and_not1_saveexec_b32 s13, s13
; %bb.1782:                             ;   in Loop: Header=BB8_1742 Depth=2
	v_and_b32_e32 v48, 0xffff, v49
	v_or_b32_e32 v51, 0x10000, v49
	s_delay_alu instid0(VALU_DEP_2) | instskip(NEXT) | instid1(VALU_DEP_2)
	v_cmp_eq_u32_e32 vcc_lo, 0, v48
	v_cndmask_b32_e32 v48, v51, v49, vcc_lo
; %bb.1783:                             ;   in Loop: Header=BB8_1742 Depth=2
	s_or_b32 exec_lo, exec_lo, s13
	v_and_b32_e32 v49, 0xffff0000, v75
	v_lshlrev_b32_e32 v51, 16, v25
	s_mov_b32 s13, exec_lo
                                        ; implicit-def: $vgpr75
	s_delay_alu instid0(VALU_DEP_1) | instskip(NEXT) | instid1(VALU_DEP_1)
	v_add_f32_e32 v49, v51, v49
	v_and_b32_e32 v51, 0x7f800000, v49
	s_delay_alu instid0(VALU_DEP_1)
	v_cmpx_ne_u32_e32 0x7f800000, v51
	s_xor_b32 s13, exec_lo, s13
; %bb.1784:                             ;   in Loop: Header=BB8_1742 Depth=2
	v_bfe_u32 v51, v49, 16, 1
	s_delay_alu instid0(VALU_DEP_1)
	v_add3_u32 v75, v49, v51, 0x7fff
                                        ; implicit-def: $vgpr49
; %bb.1785:                             ;   in Loop: Header=BB8_1742 Depth=2
	s_and_not1_saveexec_b32 s13, s13
; %bb.1786:                             ;   in Loop: Header=BB8_1742 Depth=2
	v_and_b32_e32 v51, 0xffff, v49
	v_or_b32_e32 v75, 0x10000, v49
	s_delay_alu instid0(VALU_DEP_2) | instskip(NEXT) | instid1(VALU_DEP_2)
	v_cmp_eq_u32_e32 vcc_lo, 0, v51
	v_cndmask_b32_e32 v75, v75, v49, vcc_lo
; %bb.1787:                             ;   in Loop: Header=BB8_1742 Depth=2
	s_or_b32 exec_lo, exec_lo, s13
	v_and_b32_e32 v49, 0xffff0000, v58
	v_lshlrev_b32_e32 v51, 16, v26
	s_mov_b32 s13, exec_lo
                                        ; implicit-def: $vgpr58
	s_delay_alu instid0(VALU_DEP_1) | instskip(NEXT) | instid1(VALU_DEP_1)
	v_add_f32_e32 v49, v51, v49
	v_and_b32_e32 v51, 0x7f800000, v49
	s_delay_alu instid0(VALU_DEP_1)
	v_cmpx_ne_u32_e32 0x7f800000, v51
	s_xor_b32 s13, exec_lo, s13
; %bb.1788:                             ;   in Loop: Header=BB8_1742 Depth=2
	v_bfe_u32 v51, v49, 16, 1
	s_delay_alu instid0(VALU_DEP_1)
	v_add3_u32 v58, v49, v51, 0x7fff
                                        ; implicit-def: $vgpr49
; %bb.1789:                             ;   in Loop: Header=BB8_1742 Depth=2
	s_and_not1_saveexec_b32 s13, s13
; %bb.1790:                             ;   in Loop: Header=BB8_1742 Depth=2
	v_and_b32_e32 v51, 0xffff, v49
	v_or_b32_e32 v58, 0x10000, v49
	s_delay_alu instid0(VALU_DEP_2) | instskip(NEXT) | instid1(VALU_DEP_2)
	v_cmp_eq_u32_e32 vcc_lo, 0, v51
	v_cndmask_b32_e32 v58, v58, v49, vcc_lo
; %bb.1791:                             ;   in Loop: Header=BB8_1742 Depth=2
	s_or_b32 exec_lo, exec_lo, s13
	v_and_b32_e32 v49, 0xffff0000, v47
	v_lshlrev_b32_e32 v51, 16, v27
	s_mov_b32 s13, exec_lo
                                        ; implicit-def: $vgpr47
	s_delay_alu instid0(VALU_DEP_1) | instskip(NEXT) | instid1(VALU_DEP_1)
	v_add_f32_e32 v49, v51, v49
	v_and_b32_e32 v51, 0x7f800000, v49
	s_delay_alu instid0(VALU_DEP_1)
	v_cmpx_ne_u32_e32 0x7f800000, v51
	s_xor_b32 s13, exec_lo, s13
; %bb.1792:                             ;   in Loop: Header=BB8_1742 Depth=2
	v_bfe_u32 v51, v49, 16, 1
	s_delay_alu instid0(VALU_DEP_1)
	v_add3_u32 v47, v49, v51, 0x7fff
                                        ; implicit-def: $vgpr49
; %bb.1793:                             ;   in Loop: Header=BB8_1742 Depth=2
	s_and_not1_saveexec_b32 s13, s13
; %bb.1794:                             ;   in Loop: Header=BB8_1742 Depth=2
	v_and_b32_e32 v51, 0xffff, v49
	v_or_b32_e32 v47, 0x10000, v49
	s_delay_alu instid0(VALU_DEP_2) | instskip(NEXT) | instid1(VALU_DEP_2)
	v_cmp_eq_u32_e32 vcc_lo, 0, v51
	v_cndmask_b32_e32 v47, v47, v49, vcc_lo
; %bb.1795:                             ;   in Loop: Header=BB8_1742 Depth=2
	s_or_b32 exec_lo, exec_lo, s13
	v_and_b32_e32 v19, 0xffff0000, v19
	v_lshlrev_b32_e32 v49, 16, v28
	s_delay_alu instid0(VALU_DEP_1) | instskip(NEXT) | instid1(VALU_DEP_1)
	v_add_f32_e32 v49, v49, v19
	v_and_b32_e32 v19, 0x7f800000, v49
	s_delay_alu instid0(VALU_DEP_1) | instskip(SKIP_1) | instid1(SALU_CYCLE_1)
	v_cmp_ne_u32_e32 vcc_lo, 0x7f800000, v19
                                        ; implicit-def: $vgpr19
	s_and_saveexec_b32 s13, vcc_lo
	s_xor_b32 s13, exec_lo, s13
; %bb.1796:                             ;   in Loop: Header=BB8_1742 Depth=2
	v_bfe_u32 v19, v49, 16, 1
	s_delay_alu instid0(VALU_DEP_1)
	v_add3_u32 v19, v49, v19, 0x7fff
                                        ; implicit-def: $vgpr49
; %bb.1797:                             ;   in Loop: Header=BB8_1742 Depth=2
	s_and_not1_saveexec_b32 s13, s13
; %bb.1798:                             ;   in Loop: Header=BB8_1742 Depth=2
	v_and_b32_e32 v19, 0xffff, v49
	v_or_b32_e32 v51, 0x10000, v49
	s_delay_alu instid0(VALU_DEP_2) | instskip(NEXT) | instid1(VALU_DEP_2)
	v_cmp_eq_u32_e32 vcc_lo, 0, v19
	v_cndmask_b32_e32 v19, v51, v49, vcc_lo
; %bb.1799:                             ;   in Loop: Header=BB8_1742 Depth=2
	s_or_b32 exec_lo, exec_lo, s13
	v_and_b32_e32 v18, 0xffff0000, v18
	v_lshlrev_b32_e32 v49, 16, v29
	s_delay_alu instid0(VALU_DEP_1) | instskip(NEXT) | instid1(VALU_DEP_1)
	v_add_f32_e32 v49, v49, v18
	v_and_b32_e32 v18, 0x7f800000, v49
	s_delay_alu instid0(VALU_DEP_1) | instskip(SKIP_1) | instid1(SALU_CYCLE_1)
	v_cmp_ne_u32_e32 vcc_lo, 0x7f800000, v18
                                        ; implicit-def: $vgpr18
	s_and_saveexec_b32 s13, vcc_lo
	s_xor_b32 s13, exec_lo, s13
; %bb.1800:                             ;   in Loop: Header=BB8_1742 Depth=2
	v_bfe_u32 v18, v49, 16, 1
	s_delay_alu instid0(VALU_DEP_1)
	v_add3_u32 v18, v49, v18, 0x7fff
                                        ; implicit-def: $vgpr49
; %bb.1801:                             ;   in Loop: Header=BB8_1742 Depth=2
	s_and_not1_saveexec_b32 s13, s13
; %bb.1802:                             ;   in Loop: Header=BB8_1742 Depth=2
	v_and_b32_e32 v18, 0xffff, v49
	v_or_b32_e32 v51, 0x10000, v49
	s_delay_alu instid0(VALU_DEP_2) | instskip(NEXT) | instid1(VALU_DEP_2)
	v_cmp_eq_u32_e32 vcc_lo, 0, v18
	v_cndmask_b32_e32 v18, v51, v49, vcc_lo
; %bb.1803:                             ;   in Loop: Header=BB8_1742 Depth=2
	s_or_b32 exec_lo, exec_lo, s13
	v_and_b32_e32 v17, 0xffff0000, v17
	v_lshlrev_b32_e32 v49, 16, v32
	s_delay_alu instid0(VALU_DEP_1) | instskip(NEXT) | instid1(VALU_DEP_1)
	v_add_f32_e32 v49, v49, v17
	v_and_b32_e32 v17, 0x7f800000, v49
	s_delay_alu instid0(VALU_DEP_1) | instskip(SKIP_1) | instid1(SALU_CYCLE_1)
	v_cmp_ne_u32_e32 vcc_lo, 0x7f800000, v17
                                        ; implicit-def: $vgpr17
	s_and_saveexec_b32 s13, vcc_lo
	s_xor_b32 s13, exec_lo, s13
; %bb.1804:                             ;   in Loop: Header=BB8_1742 Depth=2
	v_bfe_u32 v17, v49, 16, 1
	s_delay_alu instid0(VALU_DEP_1)
	v_add3_u32 v17, v49, v17, 0x7fff
                                        ; implicit-def: $vgpr49
; %bb.1805:                             ;   in Loop: Header=BB8_1742 Depth=2
	s_and_not1_saveexec_b32 s13, s13
; %bb.1806:                             ;   in Loop: Header=BB8_1742 Depth=2
	v_and_b32_e32 v17, 0xffff, v49
	v_or_b32_e32 v51, 0x10000, v49
	s_delay_alu instid0(VALU_DEP_2) | instskip(NEXT) | instid1(VALU_DEP_2)
	v_cmp_eq_u32_e32 vcc_lo, 0, v17
	v_cndmask_b32_e32 v17, v51, v49, vcc_lo
; %bb.1807:                             ;   in Loop: Header=BB8_1742 Depth=2
	s_or_b32 exec_lo, exec_lo, s13
	v_dual_lshrrev_b32 v47, 16, v47 :: v_dual_lshrrev_b32 v79, 16, v16
	v_dual_lshrrev_b32 v77, 16, v48 :: v_dual_lshrrev_b32 v75, 16, v75
	s_delay_alu instid0(VALU_DEP_3)
	v_dual_lshrrev_b32 v58, 16, v58 :: v_dual_lshrrev_b32 v48, 16, v17
	v_dual_lshrrev_b32 v49, 16, v18 :: v_dual_lshrrev_b32 v51, 16, v19
	s_clause 0x7
	flat_store_b16 v[10:11], v79 th:TH_STORE_NT
	flat_store_b16 v[10:11], v77 offset:64 th:TH_STORE_NT
	flat_store_b16 v[10:11], v75 offset:128 th:TH_STORE_NT
	;; [unrolled: 1-line block ×7, first 2 shown]
	s_wait_xcnt 0x0
	v_add_nc_u64_e32 v[10:11], v[10:11], v[114:115]
.LBB8_1808:                             ;   in Loop: Header=BB8_1742 Depth=2
	s_or_b32 exec_lo, exec_lo, s26
	v_sub_nc_u32_e32 v33, v33, v84
	v_add_nc_u64_e32 v[12:13], v[12:13], v[114:115]
	v_add_nc_u64_e32 v[14:15], v[14:15], v[114:115]
	s_delay_alu instid0(VALU_DEP_3)
	v_cmp_lt_i32_e64 s13, 0, v33
	s_and_saveexec_b32 s26, s13
	s_cbranch_execz .LBB8_1810
; %bb.1809:                             ;   in Loop: Header=BB8_1742 Depth=2
	s_clause 0x7
	flat_load_u16 v79, v[12:13] th:TH_LOAD_NT
	flat_load_u16 v77, v[12:13] offset:64 th:TH_LOAD_NT
	flat_load_u16 v75, v[12:13] offset:128 th:TH_LOAD_NT
	;; [unrolled: 1-line block ×7, first 2 shown]
	s_clause 0x7
	flat_load_u16 v23, v[14:15] th:TH_LOAD_NT
	flat_load_u16 v24, v[14:15] offset:64 th:TH_LOAD_NT
	flat_load_u16 v25, v[14:15] offset:128 th:TH_LOAD_NT
	;; [unrolled: 1-line block ×7, first 2 shown]
	s_wait_xcnt 0x8
	v_add_nc_u64_e32 v[12:13], 0x200, v[12:13]
	s_wait_xcnt 0x0
	v_add_nc_u64_e32 v[14:15], 0x200, v[14:15]
.LBB8_1810:                             ;   in Loop: Header=BB8_1742 Depth=2
	s_or_b32 exec_lo, exec_lo, s26
	s_trap 2
	ds_load_b32 v16, v0
	s_wait_loadcnt_dscnt 0xf00
	v_dual_lshlrev_b32 v17, 16, v16 :: v_dual_lshlrev_b32 v16, 16, v90
	s_delay_alu instid0(VALU_DEP_1) | instskip(NEXT) | instid1(VALU_DEP_1)
	v_mov_b32_e32 v18, v17
	v_pk_mul_f32 v[18:19], v[18:19], v[16:17]
	s_delay_alu instid0(VALU_DEP_1) | instskip(NEXT) | instid1(VALU_DEP_1)
	v_and_b32_e32 v16, 0x7f800000, v18
	v_cmp_ne_u32_e32 vcc_lo, 0x7f800000, v16
                                        ; implicit-def: $vgpr16
	s_and_saveexec_b32 s26, vcc_lo
	s_delay_alu instid0(SALU_CYCLE_1)
	s_xor_b32 s26, exec_lo, s26
; %bb.1811:                             ;   in Loop: Header=BB8_1742 Depth=2
	v_bfe_u32 v16, v18, 16, 1
	s_delay_alu instid0(VALU_DEP_1)
	v_add3_u32 v16, v18, v16, 0x7fff
                                        ; implicit-def: $vgpr18_vgpr19
; %bb.1812:                             ;   in Loop: Header=BB8_1742 Depth=2
	s_and_not1_saveexec_b32 s26, s26
; %bb.1813:                             ;   in Loop: Header=BB8_1742 Depth=2
	v_and_b32_e32 v16, 0xffff, v18
	v_or_b32_e32 v19, 0x10000, v18
	s_delay_alu instid0(VALU_DEP_2) | instskip(NEXT) | instid1(VALU_DEP_2)
	v_cmp_eq_u32_e32 vcc_lo, 0, v16
	v_cndmask_b32_e32 v16, v19, v18, vcc_lo
; %bb.1814:                             ;   in Loop: Header=BB8_1742 Depth=2
	s_or_b32 exec_lo, exec_lo, s26
	s_wait_loadcnt 0xe
	v_lshlrev_b32_e32 v18, 16, v89
	s_mov_b32 s26, exec_lo
                                        ; implicit-def: $vgpr89
	s_delay_alu instid0(VALU_DEP_1) | instskip(NEXT) | instid1(VALU_DEP_1)
	v_mul_f32_e32 v18, v17, v18
	v_and_b32_e32 v19, 0x7f800000, v18
	s_delay_alu instid0(VALU_DEP_1)
	v_cmpx_ne_u32_e32 0x7f800000, v19
	s_xor_b32 s26, exec_lo, s26
; %bb.1815:                             ;   in Loop: Header=BB8_1742 Depth=2
	v_bfe_u32 v19, v18, 16, 1
	s_delay_alu instid0(VALU_DEP_1)
	v_add3_u32 v89, v18, v19, 0x7fff
                                        ; implicit-def: $vgpr18
; %bb.1816:                             ;   in Loop: Header=BB8_1742 Depth=2
	s_and_not1_saveexec_b32 s26, s26
; %bb.1817:                             ;   in Loop: Header=BB8_1742 Depth=2
	v_and_b32_e32 v19, 0xffff, v18
	v_or_b32_e32 v89, 0x10000, v18
	s_delay_alu instid0(VALU_DEP_2) | instskip(NEXT) | instid1(VALU_DEP_2)
	v_cmp_eq_u32_e32 vcc_lo, 0, v19
	v_cndmask_b32_e32 v89, v89, v18, vcc_lo
; %bb.1818:                             ;   in Loop: Header=BB8_1742 Depth=2
	s_or_b32 exec_lo, exec_lo, s26
	s_wait_loadcnt 0xd
	v_lshlrev_b32_e32 v18, 16, v88
	s_mov_b32 s26, exec_lo
                                        ; implicit-def: $vgpr88
	s_delay_alu instid0(VALU_DEP_1) | instskip(NEXT) | instid1(VALU_DEP_1)
	v_mul_f32_e32 v18, v17, v18
	v_and_b32_e32 v19, 0x7f800000, v18
	s_delay_alu instid0(VALU_DEP_1)
	v_cmpx_ne_u32_e32 0x7f800000, v19
	s_xor_b32 s26, exec_lo, s26
; %bb.1819:                             ;   in Loop: Header=BB8_1742 Depth=2
	v_bfe_u32 v19, v18, 16, 1
	s_delay_alu instid0(VALU_DEP_1)
	v_add3_u32 v88, v18, v19, 0x7fff
                                        ; implicit-def: $vgpr18
; %bb.1820:                             ;   in Loop: Header=BB8_1742 Depth=2
	s_and_not1_saveexec_b32 s26, s26
; %bb.1821:                             ;   in Loop: Header=BB8_1742 Depth=2
	v_and_b32_e32 v19, 0xffff, v18
	v_or_b32_e32 v88, 0x10000, v18
	s_delay_alu instid0(VALU_DEP_2) | instskip(NEXT) | instid1(VALU_DEP_2)
	v_cmp_eq_u32_e32 vcc_lo, 0, v19
	v_cndmask_b32_e32 v88, v88, v18, vcc_lo
; %bb.1822:                             ;   in Loop: Header=BB8_1742 Depth=2
	s_or_b32 exec_lo, exec_lo, s26
	s_wait_loadcnt 0xc
	v_lshlrev_b32_e32 v18, 16, v78
	s_mov_b32 s26, exec_lo
                                        ; implicit-def: $vgpr78
	s_delay_alu instid0(VALU_DEP_1) | instskip(NEXT) | instid1(VALU_DEP_1)
	v_mul_f32_e32 v18, v17, v18
	v_and_b32_e32 v19, 0x7f800000, v18
	s_delay_alu instid0(VALU_DEP_1)
	v_cmpx_ne_u32_e32 0x7f800000, v19
	s_xor_b32 s26, exec_lo, s26
; %bb.1823:                             ;   in Loop: Header=BB8_1742 Depth=2
	v_bfe_u32 v19, v18, 16, 1
	s_delay_alu instid0(VALU_DEP_1)
	v_add3_u32 v78, v18, v19, 0x7fff
                                        ; implicit-def: $vgpr18
; %bb.1824:                             ;   in Loop: Header=BB8_1742 Depth=2
	s_and_not1_saveexec_b32 s26, s26
; %bb.1825:                             ;   in Loop: Header=BB8_1742 Depth=2
	v_and_b32_e32 v19, 0xffff, v18
	v_or_b32_e32 v78, 0x10000, v18
	s_delay_alu instid0(VALU_DEP_2) | instskip(NEXT) | instid1(VALU_DEP_2)
	v_cmp_eq_u32_e32 vcc_lo, 0, v19
	v_cndmask_b32_e32 v78, v78, v18, vcc_lo
; %bb.1826:                             ;   in Loop: Header=BB8_1742 Depth=2
	s_or_b32 exec_lo, exec_lo, s26
	s_wait_loadcnt 0xb
	v_lshlrev_b32_e32 v18, 16, v76
	s_mov_b32 s26, exec_lo
                                        ; implicit-def: $vgpr76
	s_delay_alu instid0(VALU_DEP_1) | instskip(NEXT) | instid1(VALU_DEP_1)
	v_mul_f32_e32 v18, v17, v18
	v_and_b32_e32 v19, 0x7f800000, v18
	s_delay_alu instid0(VALU_DEP_1)
	v_cmpx_ne_u32_e32 0x7f800000, v19
	s_xor_b32 s26, exec_lo, s26
; %bb.1827:                             ;   in Loop: Header=BB8_1742 Depth=2
	v_bfe_u32 v19, v18, 16, 1
	s_delay_alu instid0(VALU_DEP_1)
	v_add3_u32 v76, v18, v19, 0x7fff
                                        ; implicit-def: $vgpr18
; %bb.1828:                             ;   in Loop: Header=BB8_1742 Depth=2
	s_and_not1_saveexec_b32 s26, s26
; %bb.1829:                             ;   in Loop: Header=BB8_1742 Depth=2
	v_and_b32_e32 v19, 0xffff, v18
	v_or_b32_e32 v76, 0x10000, v18
	s_delay_alu instid0(VALU_DEP_2) | instskip(NEXT) | instid1(VALU_DEP_2)
	v_cmp_eq_u32_e32 vcc_lo, 0, v19
	v_cndmask_b32_e32 v76, v76, v18, vcc_lo
; %bb.1830:                             ;   in Loop: Header=BB8_1742 Depth=2
	s_or_b32 exec_lo, exec_lo, s26
	s_wait_loadcnt 0xa
	v_lshlrev_b32_e32 v18, 16, v59
	s_delay_alu instid0(VALU_DEP_1) | instskip(NEXT) | instid1(VALU_DEP_1)
	v_mul_f32_e32 v18, v17, v18
	v_and_b32_e32 v19, 0x7f800000, v18
	s_delay_alu instid0(VALU_DEP_1) | instskip(SKIP_1) | instid1(SALU_CYCLE_1)
	v_cmp_ne_u32_e32 vcc_lo, 0x7f800000, v19
                                        ; implicit-def: $vgpr19
	s_and_saveexec_b32 s26, vcc_lo
	s_xor_b32 s26, exec_lo, s26
; %bb.1831:                             ;   in Loop: Header=BB8_1742 Depth=2
	v_bfe_u32 v19, v18, 16, 1
	s_delay_alu instid0(VALU_DEP_1)
	v_add3_u32 v19, v18, v19, 0x7fff
                                        ; implicit-def: $vgpr18
; %bb.1832:                             ;   in Loop: Header=BB8_1742 Depth=2
	s_and_not1_saveexec_b32 s26, s26
; %bb.1833:                             ;   in Loop: Header=BB8_1742 Depth=2
	v_and_b32_e32 v19, 0xffff, v18
	v_or_b32_e32 v59, 0x10000, v18
	s_delay_alu instid0(VALU_DEP_2) | instskip(NEXT) | instid1(VALU_DEP_2)
	v_cmp_eq_u32_e32 vcc_lo, 0, v19
	v_cndmask_b32_e32 v19, v59, v18, vcc_lo
; %bb.1834:                             ;   in Loop: Header=BB8_1742 Depth=2
	s_or_b32 exec_lo, exec_lo, s26
	s_wait_loadcnt 0x9
	v_lshlrev_b32_e32 v18, 16, v57
	s_delay_alu instid0(VALU_DEP_1) | instskip(NEXT) | instid1(VALU_DEP_1)
	v_mul_f32_e32 v57, v17, v18
	v_and_b32_e32 v18, 0x7f800000, v57
	s_delay_alu instid0(VALU_DEP_1) | instskip(SKIP_1) | instid1(SALU_CYCLE_1)
	v_cmp_ne_u32_e32 vcc_lo, 0x7f800000, v18
                                        ; implicit-def: $vgpr18
	s_and_saveexec_b32 s26, vcc_lo
	s_xor_b32 s26, exec_lo, s26
; %bb.1835:                             ;   in Loop: Header=BB8_1742 Depth=2
	v_bfe_u32 v18, v57, 16, 1
	s_delay_alu instid0(VALU_DEP_1)
	v_add3_u32 v18, v57, v18, 0x7fff
                                        ; implicit-def: $vgpr57
; %bb.1836:                             ;   in Loop: Header=BB8_1742 Depth=2
	s_and_not1_saveexec_b32 s26, s26
; %bb.1837:                             ;   in Loop: Header=BB8_1742 Depth=2
	v_and_b32_e32 v18, 0xffff, v57
	v_or_b32_e32 v59, 0x10000, v57
	s_delay_alu instid0(VALU_DEP_2) | instskip(NEXT) | instid1(VALU_DEP_2)
	v_cmp_eq_u32_e32 vcc_lo, 0, v18
	v_cndmask_b32_e32 v18, v59, v57, vcc_lo
; %bb.1838:                             ;   in Loop: Header=BB8_1742 Depth=2
	s_or_b32 exec_lo, exec_lo, s26
	s_wait_loadcnt 0x8
	v_lshlrev_b32_e32 v56, 16, v56
	s_delay_alu instid0(VALU_DEP_1) | instskip(NEXT) | instid1(VALU_DEP_1)
	v_mul_f32_e32 v56, v17, v56
	v_and_b32_e32 v17, 0x7f800000, v56
	s_delay_alu instid0(VALU_DEP_1) | instskip(SKIP_1) | instid1(SALU_CYCLE_1)
	v_cmp_ne_u32_e32 vcc_lo, 0x7f800000, v17
                                        ; implicit-def: $vgpr17
	s_and_saveexec_b32 s26, vcc_lo
	s_xor_b32 s26, exec_lo, s26
; %bb.1839:                             ;   in Loop: Header=BB8_1742 Depth=2
	v_bfe_u32 v17, v56, 16, 1
	s_delay_alu instid0(VALU_DEP_1)
	v_add3_u32 v17, v56, v17, 0x7fff
                                        ; implicit-def: $vgpr56
; %bb.1840:                             ;   in Loop: Header=BB8_1742 Depth=2
	s_and_not1_saveexec_b32 s26, s26
; %bb.1841:                             ;   in Loop: Header=BB8_1742 Depth=2
	v_and_b32_e32 v17, 0xffff, v56
	v_or_b32_e32 v57, 0x10000, v56
	s_delay_alu instid0(VALU_DEP_2) | instskip(NEXT) | instid1(VALU_DEP_2)
	v_cmp_eq_u32_e32 vcc_lo, 0, v17
	v_cndmask_b32_e32 v17, v57, v56, vcc_lo
; %bb.1842:                             ;   in Loop: Header=BB8_1742 Depth=2
	s_or_b32 exec_lo, exec_lo, s26
	v_and_b32_e32 v16, 0xffff0000, v16
	s_wait_loadcnt 0x7
	v_lshlrev_b32_e32 v46, 16, v46
	s_delay_alu instid0(VALU_DEP_1) | instskip(NEXT) | instid1(VALU_DEP_1)
	v_add_f32_e32 v46, v46, v16
	v_and_b32_e32 v16, 0x7f800000, v46
	s_delay_alu instid0(VALU_DEP_1) | instskip(SKIP_1) | instid1(SALU_CYCLE_1)
	v_cmp_ne_u32_e32 vcc_lo, 0x7f800000, v16
                                        ; implicit-def: $vgpr16
	s_and_saveexec_b32 s26, vcc_lo
	s_xor_b32 s26, exec_lo, s26
; %bb.1843:                             ;   in Loop: Header=BB8_1742 Depth=2
	v_bfe_u32 v16, v46, 16, 1
	s_delay_alu instid0(VALU_DEP_1)
	v_add3_u32 v16, v46, v16, 0x7fff
                                        ; implicit-def: $vgpr46
; %bb.1844:                             ;   in Loop: Header=BB8_1742 Depth=2
	s_and_not1_saveexec_b32 s26, s26
; %bb.1845:                             ;   in Loop: Header=BB8_1742 Depth=2
	v_and_b32_e32 v16, 0xffff, v46
	v_or_b32_e32 v56, 0x10000, v46
	s_delay_alu instid0(VALU_DEP_2) | instskip(NEXT) | instid1(VALU_DEP_2)
	v_cmp_eq_u32_e32 vcc_lo, 0, v16
	v_cndmask_b32_e32 v16, v56, v46, vcc_lo
; %bb.1846:                             ;   in Loop: Header=BB8_1742 Depth=2
	s_or_b32 exec_lo, exec_lo, s26
	v_and_b32_e32 v46, 0xffff0000, v89
	s_wait_loadcnt 0x6
	v_lshlrev_b32_e32 v50, 16, v50
	s_delay_alu instid0(VALU_DEP_1) | instskip(NEXT) | instid1(VALU_DEP_1)
	v_add_f32_e32 v46, v50, v46
	v_and_b32_e32 v50, 0x7f800000, v46
	s_delay_alu instid0(VALU_DEP_1) | instskip(SKIP_1) | instid1(SALU_CYCLE_1)
	v_cmp_ne_u32_e32 vcc_lo, 0x7f800000, v50
                                        ; implicit-def: $vgpr50
	s_and_saveexec_b32 s26, vcc_lo
	s_xor_b32 s26, exec_lo, s26
; %bb.1847:                             ;   in Loop: Header=BB8_1742 Depth=2
	v_bfe_u32 v50, v46, 16, 1
	s_delay_alu instid0(VALU_DEP_1)
	v_add3_u32 v50, v46, v50, 0x7fff
                                        ; implicit-def: $vgpr46
; %bb.1848:                             ;   in Loop: Header=BB8_1742 Depth=2
	s_and_not1_saveexec_b32 s26, s26
; %bb.1849:                             ;   in Loop: Header=BB8_1742 Depth=2
	v_and_b32_e32 v50, 0xffff, v46
	v_or_b32_e32 v56, 0x10000, v46
	s_delay_alu instid0(VALU_DEP_2) | instskip(NEXT) | instid1(VALU_DEP_2)
	v_cmp_eq_u32_e32 vcc_lo, 0, v50
	v_cndmask_b32_e32 v50, v56, v46, vcc_lo
; %bb.1850:                             ;   in Loop: Header=BB8_1742 Depth=2
	s_or_b32 exec_lo, exec_lo, s26
	v_and_b32_e32 v46, 0xffff0000, v88
	s_wait_loadcnt 0x5
	v_lshlrev_b32_e32 v39, 16, v39
	s_delay_alu instid0(VALU_DEP_1) | instskip(NEXT) | instid1(VALU_DEP_1)
	v_add_f32_e32 v46, v39, v46
	v_and_b32_e32 v39, 0x7f800000, v46
	s_delay_alu instid0(VALU_DEP_1) | instskip(SKIP_1) | instid1(SALU_CYCLE_1)
	v_cmp_ne_u32_e32 vcc_lo, 0x7f800000, v39
                                        ; implicit-def: $vgpr39
	s_and_saveexec_b32 s26, vcc_lo
	s_xor_b32 s26, exec_lo, s26
; %bb.1851:                             ;   in Loop: Header=BB8_1742 Depth=2
	v_bfe_u32 v39, v46, 16, 1
	s_delay_alu instid0(VALU_DEP_1)
	v_add3_u32 v39, v46, v39, 0x7fff
                                        ; implicit-def: $vgpr46
; %bb.1852:                             ;   in Loop: Header=BB8_1742 Depth=2
	s_and_not1_saveexec_b32 s26, s26
; %bb.1853:                             ;   in Loop: Header=BB8_1742 Depth=2
	v_and_b32_e32 v39, 0xffff, v46
	v_or_b32_e32 v56, 0x10000, v46
	s_delay_alu instid0(VALU_DEP_2) | instskip(NEXT) | instid1(VALU_DEP_2)
	v_cmp_eq_u32_e32 vcc_lo, 0, v39
	v_cndmask_b32_e32 v39, v56, v46, vcc_lo
; %bb.1854:                             ;   in Loop: Header=BB8_1742 Depth=2
	s_or_b32 exec_lo, exec_lo, s26
	v_and_b32_e32 v46, 0xffff0000, v78
	s_wait_loadcnt 0x4
	v_lshlrev_b32_e32 v38, 16, v38
	s_delay_alu instid0(VALU_DEP_1) | instskip(NEXT) | instid1(VALU_DEP_1)
	v_add_f32_e32 v46, v38, v46
	v_and_b32_e32 v38, 0x7f800000, v46
	s_delay_alu instid0(VALU_DEP_1) | instskip(SKIP_1) | instid1(SALU_CYCLE_1)
	v_cmp_ne_u32_e32 vcc_lo, 0x7f800000, v38
                                        ; implicit-def: $vgpr38
	s_and_saveexec_b32 s26, vcc_lo
	s_xor_b32 s26, exec_lo, s26
; %bb.1855:                             ;   in Loop: Header=BB8_1742 Depth=2
	v_bfe_u32 v38, v46, 16, 1
	s_delay_alu instid0(VALU_DEP_1)
	v_add3_u32 v38, v46, v38, 0x7fff
                                        ; implicit-def: $vgpr46
; %bb.1856:                             ;   in Loop: Header=BB8_1742 Depth=2
	s_and_not1_saveexec_b32 s26, s26
; %bb.1857:                             ;   in Loop: Header=BB8_1742 Depth=2
	v_and_b32_e32 v38, 0xffff, v46
	v_or_b32_e32 v56, 0x10000, v46
	s_delay_alu instid0(VALU_DEP_2) | instskip(NEXT) | instid1(VALU_DEP_2)
	v_cmp_eq_u32_e32 vcc_lo, 0, v38
	v_cndmask_b32_e32 v38, v56, v46, vcc_lo
; %bb.1858:                             ;   in Loop: Header=BB8_1742 Depth=2
	s_or_b32 exec_lo, exec_lo, s26
	v_and_b32_e32 v46, 0xffff0000, v76
	s_wait_loadcnt 0x3
	v_lshlrev_b32_e32 v37, 16, v37
	s_delay_alu instid0(VALU_DEP_1) | instskip(NEXT) | instid1(VALU_DEP_1)
	v_add_f32_e32 v46, v37, v46
	v_and_b32_e32 v37, 0x7f800000, v46
	s_delay_alu instid0(VALU_DEP_1) | instskip(SKIP_1) | instid1(SALU_CYCLE_1)
	v_cmp_ne_u32_e32 vcc_lo, 0x7f800000, v37
                                        ; implicit-def: $vgpr37
	s_and_saveexec_b32 s26, vcc_lo
	s_xor_b32 s26, exec_lo, s26
; %bb.1859:                             ;   in Loop: Header=BB8_1742 Depth=2
	v_bfe_u32 v37, v46, 16, 1
	s_delay_alu instid0(VALU_DEP_1)
	v_add3_u32 v37, v46, v37, 0x7fff
                                        ; implicit-def: $vgpr46
; %bb.1860:                             ;   in Loop: Header=BB8_1742 Depth=2
	s_and_not1_saveexec_b32 s26, s26
; %bb.1861:                             ;   in Loop: Header=BB8_1742 Depth=2
	v_and_b32_e32 v37, 0xffff, v46
	v_or_b32_e32 v56, 0x10000, v46
	s_delay_alu instid0(VALU_DEP_2) | instskip(NEXT) | instid1(VALU_DEP_2)
	v_cmp_eq_u32_e32 vcc_lo, 0, v37
	v_cndmask_b32_e32 v37, v56, v46, vcc_lo
; %bb.1862:                             ;   in Loop: Header=BB8_1742 Depth=2
	s_or_b32 exec_lo, exec_lo, s26
	v_and_b32_e32 v19, 0xffff0000, v19
	s_wait_loadcnt 0x2
	v_lshlrev_b32_e32 v36, 16, v36
	s_delay_alu instid0(VALU_DEP_1) | instskip(NEXT) | instid1(VALU_DEP_1)
	v_add_f32_e32 v36, v36, v19
	v_and_b32_e32 v19, 0x7f800000, v36
	s_delay_alu instid0(VALU_DEP_1) | instskip(SKIP_1) | instid1(SALU_CYCLE_1)
	v_cmp_ne_u32_e32 vcc_lo, 0x7f800000, v19
                                        ; implicit-def: $vgpr19
	s_and_saveexec_b32 s26, vcc_lo
	s_xor_b32 s26, exec_lo, s26
; %bb.1863:                             ;   in Loop: Header=BB8_1742 Depth=2
	v_bfe_u32 v19, v36, 16, 1
	s_delay_alu instid0(VALU_DEP_1)
	v_add3_u32 v19, v36, v19, 0x7fff
                                        ; implicit-def: $vgpr36
; %bb.1864:                             ;   in Loop: Header=BB8_1742 Depth=2
	s_and_not1_saveexec_b32 s26, s26
; %bb.1865:                             ;   in Loop: Header=BB8_1742 Depth=2
	v_and_b32_e32 v19, 0xffff, v36
	v_or_b32_e32 v46, 0x10000, v36
	s_delay_alu instid0(VALU_DEP_2) | instskip(NEXT) | instid1(VALU_DEP_2)
	v_cmp_eq_u32_e32 vcc_lo, 0, v19
	v_cndmask_b32_e32 v19, v46, v36, vcc_lo
; %bb.1866:                             ;   in Loop: Header=BB8_1742 Depth=2
	s_or_b32 exec_lo, exec_lo, s26
	v_and_b32_e32 v18, 0xffff0000, v18
	s_wait_loadcnt 0x1
	v_lshlrev_b32_e32 v35, 16, v35
	s_delay_alu instid0(VALU_DEP_1) | instskip(NEXT) | instid1(VALU_DEP_1)
	v_add_f32_e32 v35, v35, v18
	v_and_b32_e32 v18, 0x7f800000, v35
	s_delay_alu instid0(VALU_DEP_1) | instskip(SKIP_1) | instid1(SALU_CYCLE_1)
	v_cmp_ne_u32_e32 vcc_lo, 0x7f800000, v18
                                        ; implicit-def: $vgpr18
	s_and_saveexec_b32 s26, vcc_lo
	s_xor_b32 s26, exec_lo, s26
; %bb.1867:                             ;   in Loop: Header=BB8_1742 Depth=2
	v_bfe_u32 v18, v35, 16, 1
	s_delay_alu instid0(VALU_DEP_1)
	v_add3_u32 v18, v35, v18, 0x7fff
                                        ; implicit-def: $vgpr35
; %bb.1868:                             ;   in Loop: Header=BB8_1742 Depth=2
	s_and_not1_saveexec_b32 s26, s26
; %bb.1869:                             ;   in Loop: Header=BB8_1742 Depth=2
	v_and_b32_e32 v18, 0xffff, v35
	v_or_b32_e32 v36, 0x10000, v35
	s_delay_alu instid0(VALU_DEP_2) | instskip(NEXT) | instid1(VALU_DEP_2)
	v_cmp_eq_u32_e32 vcc_lo, 0, v18
	v_cndmask_b32_e32 v18, v36, v35, vcc_lo
; %bb.1870:                             ;   in Loop: Header=BB8_1742 Depth=2
	s_or_b32 exec_lo, exec_lo, s26
	v_and_b32_e32 v17, 0xffff0000, v17
	s_wait_loadcnt 0x0
	v_lshlrev_b32_e32 v34, 16, v34
	s_delay_alu instid0(VALU_DEP_1) | instskip(NEXT) | instid1(VALU_DEP_1)
	v_add_f32_e32 v34, v34, v17
	v_and_b32_e32 v17, 0x7f800000, v34
	s_delay_alu instid0(VALU_DEP_1) | instskip(SKIP_1) | instid1(SALU_CYCLE_1)
	v_cmp_ne_u32_e32 vcc_lo, 0x7f800000, v17
                                        ; implicit-def: $vgpr17
	s_and_saveexec_b32 s26, vcc_lo
	s_xor_b32 s26, exec_lo, s26
; %bb.1871:                             ;   in Loop: Header=BB8_1742 Depth=2
	v_bfe_u32 v17, v34, 16, 1
	s_delay_alu instid0(VALU_DEP_1)
	v_add3_u32 v17, v34, v17, 0x7fff
                                        ; implicit-def: $vgpr34
; %bb.1872:                             ;   in Loop: Header=BB8_1742 Depth=2
	s_and_not1_saveexec_b32 s26, s26
	s_cbranch_execz .LBB8_1741
; %bb.1873:                             ;   in Loop: Header=BB8_1742 Depth=2
	v_and_b32_e32 v17, 0xffff, v34
	v_or_b32_e32 v35, 0x10000, v34
	s_delay_alu instid0(VALU_DEP_2) | instskip(NEXT) | instid1(VALU_DEP_2)
	v_cmp_eq_u32_e32 vcc_lo, 0, v17
	v_cndmask_b32_e32 v17, v35, v34, vcc_lo
	s_branch .LBB8_1741
.LBB8_1874:                             ;   in Loop: Header=BB8_1058 Depth=1
	s_or_b32 exec_lo, exec_lo, s12
	v_dual_lshlrev_b32 v56, 16, v79 :: v_dual_lshlrev_b32 v46, 16, v77
	v_dual_lshlrev_b32 v50, 16, v75 :: v_dual_lshlrev_b32 v39, 16, v58
	;; [unrolled: 1-line block ×8, first 2 shown]
	s_and_b32 s10, s10, exec_lo
.LBB8_1875:                             ;   in Loop: Header=BB8_1058 Depth=1
	s_or_b32 exec_lo, exec_lo, s7
	s_and_saveexec_b32 s7, s10
	s_cbranch_execz .LBB8_1941
; %bb.1876:                             ;   in Loop: Header=BB8_1058 Depth=1
	s_trap 2
	ds_load_b32 v14, v0
	s_wait_dscnt 0x0
	v_lshlrev_b32_e32 v14, 16, v14
	s_delay_alu instid0(VALU_DEP_1) | instskip(NEXT) | instid1(VALU_DEP_1)
	v_mul_f32_e32 v24, v56, v14
	v_and_b32_e32 v15, 0x7f800000, v24
	s_delay_alu instid0(VALU_DEP_1) | instskip(SKIP_1) | instid1(SALU_CYCLE_1)
	v_cmp_ne_u32_e32 vcc_lo, 0x7f800000, v15
                                        ; implicit-def: $vgpr15
	s_and_saveexec_b32 s10, vcc_lo
	s_xor_b32 s10, exec_lo, s10
; %bb.1877:                             ;   in Loop: Header=BB8_1058 Depth=1
	v_bfe_u32 v15, v24, 16, 1
	s_delay_alu instid0(VALU_DEP_1)
	v_add3_u32 v15, v24, v15, 0x7fff
                                        ; implicit-def: $vgpr24
; %bb.1878:                             ;   in Loop: Header=BB8_1058 Depth=1
	s_and_not1_saveexec_b32 s10, s10
; %bb.1879:                             ;   in Loop: Header=BB8_1058 Depth=1
	v_and_b32_e32 v15, 0xffff, v24
	v_or_b32_e32 v25, 0x10000, v24
	s_delay_alu instid0(VALU_DEP_2) | instskip(NEXT) | instid1(VALU_DEP_2)
	v_cmp_eq_u32_e32 vcc_lo, 0, v15
	v_cndmask_b32_e32 v15, v25, v24, vcc_lo
; %bb.1880:                             ;   in Loop: Header=BB8_1058 Depth=1
	s_or_b32 exec_lo, exec_lo, s10
	v_mul_f32_e32 v24, v46, v14
	s_mov_b32 s10, exec_lo
                                        ; implicit-def: $vgpr29
	s_delay_alu instid0(VALU_DEP_1) | instskip(NEXT) | instid1(VALU_DEP_1)
	v_and_b32_e32 v25, 0x7f800000, v24
	v_cmpx_ne_u32_e32 0x7f800000, v25
	s_xor_b32 s10, exec_lo, s10
; %bb.1881:                             ;   in Loop: Header=BB8_1058 Depth=1
	v_bfe_u32 v25, v24, 16, 1
	s_delay_alu instid0(VALU_DEP_1)
	v_add3_u32 v29, v24, v25, 0x7fff
                                        ; implicit-def: $vgpr24
; %bb.1882:                             ;   in Loop: Header=BB8_1058 Depth=1
	s_and_not1_saveexec_b32 s10, s10
; %bb.1883:                             ;   in Loop: Header=BB8_1058 Depth=1
	v_and_b32_e32 v25, 0xffff, v24
	v_or_b32_e32 v26, 0x10000, v24
	s_delay_alu instid0(VALU_DEP_2) | instskip(NEXT) | instid1(VALU_DEP_2)
	v_cmp_eq_u32_e32 vcc_lo, 0, v25
	v_cndmask_b32_e32 v29, v26, v24, vcc_lo
; %bb.1884:                             ;   in Loop: Header=BB8_1058 Depth=1
	s_or_b32 exec_lo, exec_lo, s10
	v_mul_f32_e32 v24, v50, v14
	s_mov_b32 s10, exec_lo
                                        ; implicit-def: $vgpr28
	s_delay_alu instid0(VALU_DEP_1) | instskip(NEXT) | instid1(VALU_DEP_1)
	v_and_b32_e32 v25, 0x7f800000, v24
	v_cmpx_ne_u32_e32 0x7f800000, v25
	s_xor_b32 s10, exec_lo, s10
; %bb.1885:                             ;   in Loop: Header=BB8_1058 Depth=1
	v_bfe_u32 v25, v24, 16, 1
	s_delay_alu instid0(VALU_DEP_1)
	v_add3_u32 v28, v24, v25, 0x7fff
                                        ; implicit-def: $vgpr24
; %bb.1886:                             ;   in Loop: Header=BB8_1058 Depth=1
	s_and_not1_saveexec_b32 s10, s10
; %bb.1887:                             ;   in Loop: Header=BB8_1058 Depth=1
	v_and_b32_e32 v25, 0xffff, v24
	v_or_b32_e32 v26, 0x10000, v24
	s_delay_alu instid0(VALU_DEP_2) | instskip(NEXT) | instid1(VALU_DEP_2)
	v_cmp_eq_u32_e32 vcc_lo, 0, v25
	v_cndmask_b32_e32 v28, v26, v24, vcc_lo
; %bb.1888:                             ;   in Loop: Header=BB8_1058 Depth=1
	s_or_b32 exec_lo, exec_lo, s10
	v_mul_f32_e32 v24, v39, v14
	s_mov_b32 s10, exec_lo
                                        ; implicit-def: $vgpr27
	s_delay_alu instid0(VALU_DEP_1) | instskip(NEXT) | instid1(VALU_DEP_1)
	v_and_b32_e32 v25, 0x7f800000, v24
	v_cmpx_ne_u32_e32 0x7f800000, v25
	s_xor_b32 s10, exec_lo, s10
; %bb.1889:                             ;   in Loop: Header=BB8_1058 Depth=1
	v_bfe_u32 v25, v24, 16, 1
	s_delay_alu instid0(VALU_DEP_1)
	v_add3_u32 v27, v24, v25, 0x7fff
                                        ; implicit-def: $vgpr24
; %bb.1890:                             ;   in Loop: Header=BB8_1058 Depth=1
	s_and_not1_saveexec_b32 s10, s10
; %bb.1891:                             ;   in Loop: Header=BB8_1058 Depth=1
	v_and_b32_e32 v25, 0xffff, v24
	v_or_b32_e32 v26, 0x10000, v24
	s_delay_alu instid0(VALU_DEP_2) | instskip(NEXT) | instid1(VALU_DEP_2)
	v_cmp_eq_u32_e32 vcc_lo, 0, v25
	v_cndmask_b32_e32 v27, v26, v24, vcc_lo
; %bb.1892:                             ;   in Loop: Header=BB8_1058 Depth=1
	s_or_b32 exec_lo, exec_lo, s10
	v_mul_f32_e32 v24, v38, v14
	s_mov_b32 s10, exec_lo
                                        ; implicit-def: $vgpr26
	s_delay_alu instid0(VALU_DEP_1) | instskip(NEXT) | instid1(VALU_DEP_1)
	v_and_b32_e32 v25, 0x7f800000, v24
	v_cmpx_ne_u32_e32 0x7f800000, v25
	s_xor_b32 s10, exec_lo, s10
; %bb.1893:                             ;   in Loop: Header=BB8_1058 Depth=1
	v_bfe_u32 v25, v24, 16, 1
	s_delay_alu instid0(VALU_DEP_1)
	v_add3_u32 v26, v24, v25, 0x7fff
                                        ; implicit-def: $vgpr24
; %bb.1894:                             ;   in Loop: Header=BB8_1058 Depth=1
	s_and_not1_saveexec_b32 s10, s10
; %bb.1895:                             ;   in Loop: Header=BB8_1058 Depth=1
	v_and_b32_e32 v25, 0xffff, v24
	v_or_b32_e32 v26, 0x10000, v24
	s_delay_alu instid0(VALU_DEP_2) | instskip(NEXT) | instid1(VALU_DEP_2)
	v_cmp_eq_u32_e32 vcc_lo, 0, v25
	v_cndmask_b32_e32 v26, v26, v24, vcc_lo
; %bb.1896:                             ;   in Loop: Header=BB8_1058 Depth=1
	s_or_b32 exec_lo, exec_lo, s10
	v_mul_f32_e32 v24, v37, v14
	s_delay_alu instid0(VALU_DEP_1) | instskip(NEXT) | instid1(VALU_DEP_1)
	v_and_b32_e32 v25, 0x7f800000, v24
	v_cmp_ne_u32_e32 vcc_lo, 0x7f800000, v25
                                        ; implicit-def: $vgpr25
	s_and_saveexec_b32 s10, vcc_lo
	s_delay_alu instid0(SALU_CYCLE_1)
	s_xor_b32 s10, exec_lo, s10
; %bb.1897:                             ;   in Loop: Header=BB8_1058 Depth=1
	v_bfe_u32 v25, v24, 16, 1
	s_delay_alu instid0(VALU_DEP_1)
	v_add3_u32 v25, v24, v25, 0x7fff
                                        ; implicit-def: $vgpr24
; %bb.1898:                             ;   in Loop: Header=BB8_1058 Depth=1
	s_and_not1_saveexec_b32 s10, s10
; %bb.1899:                             ;   in Loop: Header=BB8_1058 Depth=1
	v_and_b32_e32 v25, 0xffff, v24
	v_or_b32_e32 v32, 0x10000, v24
	s_delay_alu instid0(VALU_DEP_2) | instskip(NEXT) | instid1(VALU_DEP_2)
	v_cmp_eq_u32_e32 vcc_lo, 0, v25
	v_cndmask_b32_e32 v25, v32, v24, vcc_lo
; %bb.1900:                             ;   in Loop: Header=BB8_1058 Depth=1
	s_or_b32 exec_lo, exec_lo, s10
	v_mul_f32_e32 v32, v36, v14
	s_delay_alu instid0(VALU_DEP_1) | instskip(NEXT) | instid1(VALU_DEP_1)
	v_and_b32_e32 v24, 0x7f800000, v32
	v_cmp_ne_u32_e32 vcc_lo, 0x7f800000, v24
                                        ; implicit-def: $vgpr24
	s_and_saveexec_b32 s10, vcc_lo
	s_delay_alu instid0(SALU_CYCLE_1)
	s_xor_b32 s10, exec_lo, s10
; %bb.1901:                             ;   in Loop: Header=BB8_1058 Depth=1
	v_bfe_u32 v24, v32, 16, 1
	s_delay_alu instid0(VALU_DEP_1)
	v_add3_u32 v24, v32, v24, 0x7fff
                                        ; implicit-def: $vgpr32
; %bb.1902:                             ;   in Loop: Header=BB8_1058 Depth=1
	s_and_not1_saveexec_b32 s10, s10
; %bb.1903:                             ;   in Loop: Header=BB8_1058 Depth=1
	v_and_b32_e32 v24, 0xffff, v32
	v_or_b32_e32 v36, 0x10000, v32
	s_delay_alu instid0(VALU_DEP_2) | instskip(NEXT) | instid1(VALU_DEP_2)
	v_cmp_eq_u32_e32 vcc_lo, 0, v24
	v_cndmask_b32_e32 v24, v36, v32, vcc_lo
; %bb.1904:                             ;   in Loop: Header=BB8_1058 Depth=1
	s_or_b32 exec_lo, exec_lo, s10
	v_mul_f32_e32 v32, v35, v14
	s_delay_alu instid0(VALU_DEP_1) | instskip(NEXT) | instid1(VALU_DEP_1)
	v_and_b32_e32 v14, 0x7f800000, v32
	v_cmp_ne_u32_e32 vcc_lo, 0x7f800000, v14
                                        ; implicit-def: $vgpr14
	s_and_saveexec_b32 s10, vcc_lo
	s_delay_alu instid0(SALU_CYCLE_1)
	s_xor_b32 s10, exec_lo, s10
; %bb.1905:                             ;   in Loop: Header=BB8_1058 Depth=1
	v_bfe_u32 v14, v32, 16, 1
	s_delay_alu instid0(VALU_DEP_1)
	v_add3_u32 v14, v32, v14, 0x7fff
                                        ; implicit-def: $vgpr32
; %bb.1906:                             ;   in Loop: Header=BB8_1058 Depth=1
	s_and_not1_saveexec_b32 s10, s10
; %bb.1907:                             ;   in Loop: Header=BB8_1058 Depth=1
	v_and_b32_e32 v14, 0xffff, v32
	v_or_b32_e32 v35, 0x10000, v32
	s_delay_alu instid0(VALU_DEP_2) | instskip(NEXT) | instid1(VALU_DEP_2)
	v_cmp_eq_u32_e32 vcc_lo, 0, v14
	v_cndmask_b32_e32 v14, v35, v32, vcc_lo
; %bb.1908:                             ;   in Loop: Header=BB8_1058 Depth=1
	s_or_b32 exec_lo, exec_lo, s10
	v_and_b32_e32 v15, 0xffff0000, v15
	s_delay_alu instid0(VALU_DEP_1) | instskip(NEXT) | instid1(VALU_DEP_1)
	v_add_f32_e32 v32, v34, v15
	v_and_b32_e32 v15, 0x7f800000, v32
	s_delay_alu instid0(VALU_DEP_1) | instskip(SKIP_1) | instid1(SALU_CYCLE_1)
	v_cmp_ne_u32_e32 vcc_lo, 0x7f800000, v15
                                        ; implicit-def: $vgpr15
	s_and_saveexec_b32 s10, vcc_lo
	s_xor_b32 s10, exec_lo, s10
; %bb.1909:                             ;   in Loop: Header=BB8_1058 Depth=1
	v_bfe_u32 v15, v32, 16, 1
	s_delay_alu instid0(VALU_DEP_1)
	v_add3_u32 v15, v32, v15, 0x7fff
                                        ; implicit-def: $vgpr32
; %bb.1910:                             ;   in Loop: Header=BB8_1058 Depth=1
	s_and_not1_saveexec_b32 s10, s10
; %bb.1911:                             ;   in Loop: Header=BB8_1058 Depth=1
	v_and_b32_e32 v15, 0xffff, v32
	v_or_b32_e32 v34, 0x10000, v32
	s_delay_alu instid0(VALU_DEP_2) | instskip(NEXT) | instid1(VALU_DEP_2)
	v_cmp_eq_u32_e32 vcc_lo, 0, v15
	v_cndmask_b32_e32 v15, v34, v32, vcc_lo
; %bb.1912:                             ;   in Loop: Header=BB8_1058 Depth=1
	s_or_b32 exec_lo, exec_lo, s10
	v_and_b32_e32 v29, 0xffff0000, v29
	s_delay_alu instid0(VALU_DEP_1) | instskip(NEXT) | instid1(VALU_DEP_1)
	v_add_f32_e32 v29, v23, v29
	v_and_b32_e32 v23, 0x7f800000, v29
	s_delay_alu instid0(VALU_DEP_1) | instskip(SKIP_1) | instid1(SALU_CYCLE_1)
	v_cmp_ne_u32_e32 vcc_lo, 0x7f800000, v23
                                        ; implicit-def: $vgpr23
	s_and_saveexec_b32 s10, vcc_lo
	s_xor_b32 s10, exec_lo, s10
; %bb.1913:                             ;   in Loop: Header=BB8_1058 Depth=1
	v_bfe_u32 v23, v29, 16, 1
	s_delay_alu instid0(VALU_DEP_1)
	v_add3_u32 v23, v29, v23, 0x7fff
                                        ; implicit-def: $vgpr29
; %bb.1914:                             ;   in Loop: Header=BB8_1058 Depth=1
	s_and_not1_saveexec_b32 s10, s10
; %bb.1915:                             ;   in Loop: Header=BB8_1058 Depth=1
	v_and_b32_e32 v23, 0xffff, v29
	v_or_b32_e32 v32, 0x10000, v29
	s_delay_alu instid0(VALU_DEP_2) | instskip(NEXT) | instid1(VALU_DEP_2)
	v_cmp_eq_u32_e32 vcc_lo, 0, v23
	v_cndmask_b32_e32 v23, v32, v29, vcc_lo
; %bb.1916:                             ;   in Loop: Header=BB8_1058 Depth=1
	s_or_b32 exec_lo, exec_lo, s10
	v_and_b32_e32 v28, 0xffff0000, v28
	s_delay_alu instid0(VALU_DEP_1) | instskip(NEXT) | instid1(VALU_DEP_1)
	v_add_f32_e32 v28, v19, v28
	v_and_b32_e32 v19, 0x7f800000, v28
	s_delay_alu instid0(VALU_DEP_1) | instskip(SKIP_1) | instid1(SALU_CYCLE_1)
	v_cmp_ne_u32_e32 vcc_lo, 0x7f800000, v19
                                        ; implicit-def: $vgpr19
	s_and_saveexec_b32 s10, vcc_lo
	s_xor_b32 s10, exec_lo, s10
; %bb.1917:                             ;   in Loop: Header=BB8_1058 Depth=1
	v_bfe_u32 v19, v28, 16, 1
	s_delay_alu instid0(VALU_DEP_1)
	v_add3_u32 v19, v28, v19, 0x7fff
                                        ; implicit-def: $vgpr28
; %bb.1918:                             ;   in Loop: Header=BB8_1058 Depth=1
	s_and_not1_saveexec_b32 s10, s10
; %bb.1919:                             ;   in Loop: Header=BB8_1058 Depth=1
	v_and_b32_e32 v19, 0xffff, v28
	v_or_b32_e32 v29, 0x10000, v28
	s_delay_alu instid0(VALU_DEP_2) | instskip(NEXT) | instid1(VALU_DEP_2)
	v_cmp_eq_u32_e32 vcc_lo, 0, v19
	v_cndmask_b32_e32 v19, v29, v28, vcc_lo
; %bb.1920:                             ;   in Loop: Header=BB8_1058 Depth=1
	s_or_b32 exec_lo, exec_lo, s10
	v_and_b32_e32 v27, 0xffff0000, v27
	s_delay_alu instid0(VALU_DEP_1) | instskip(NEXT) | instid1(VALU_DEP_1)
	v_add_f32_e32 v27, v18, v27
	v_and_b32_e32 v18, 0x7f800000, v27
	s_delay_alu instid0(VALU_DEP_1) | instskip(SKIP_1) | instid1(SALU_CYCLE_1)
	v_cmp_ne_u32_e32 vcc_lo, 0x7f800000, v18
                                        ; implicit-def: $vgpr18
	s_and_saveexec_b32 s10, vcc_lo
	s_xor_b32 s10, exec_lo, s10
; %bb.1921:                             ;   in Loop: Header=BB8_1058 Depth=1
	v_bfe_u32 v18, v27, 16, 1
	s_delay_alu instid0(VALU_DEP_1)
	v_add3_u32 v18, v27, v18, 0x7fff
                                        ; implicit-def: $vgpr27
; %bb.1922:                             ;   in Loop: Header=BB8_1058 Depth=1
	s_and_not1_saveexec_b32 s10, s10
; %bb.1923:                             ;   in Loop: Header=BB8_1058 Depth=1
	v_and_b32_e32 v18, 0xffff, v27
	v_or_b32_e32 v28, 0x10000, v27
	s_delay_alu instid0(VALU_DEP_2) | instskip(NEXT) | instid1(VALU_DEP_2)
	v_cmp_eq_u32_e32 vcc_lo, 0, v18
	v_cndmask_b32_e32 v18, v28, v27, vcc_lo
; %bb.1924:                             ;   in Loop: Header=BB8_1058 Depth=1
	s_or_b32 exec_lo, exec_lo, s10
	v_and_b32_e32 v26, 0xffff0000, v26
	s_delay_alu instid0(VALU_DEP_1) | instskip(NEXT) | instid1(VALU_DEP_1)
	v_add_f32_e32 v26, v17, v26
	v_and_b32_e32 v17, 0x7f800000, v26
	s_delay_alu instid0(VALU_DEP_1) | instskip(SKIP_1) | instid1(SALU_CYCLE_1)
	v_cmp_ne_u32_e32 vcc_lo, 0x7f800000, v17
                                        ; implicit-def: $vgpr17
	s_and_saveexec_b32 s10, vcc_lo
	s_xor_b32 s10, exec_lo, s10
; %bb.1925:                             ;   in Loop: Header=BB8_1058 Depth=1
	v_bfe_u32 v17, v26, 16, 1
	s_delay_alu instid0(VALU_DEP_1)
	v_add3_u32 v17, v26, v17, 0x7fff
                                        ; implicit-def: $vgpr26
; %bb.1926:                             ;   in Loop: Header=BB8_1058 Depth=1
	s_and_not1_saveexec_b32 s10, s10
; %bb.1927:                             ;   in Loop: Header=BB8_1058 Depth=1
	v_and_b32_e32 v17, 0xffff, v26
	v_or_b32_e32 v27, 0x10000, v26
	s_delay_alu instid0(VALU_DEP_2) | instskip(NEXT) | instid1(VALU_DEP_2)
	v_cmp_eq_u32_e32 vcc_lo, 0, v17
	v_cndmask_b32_e32 v17, v27, v26, vcc_lo
; %bb.1928:                             ;   in Loop: Header=BB8_1058 Depth=1
	s_or_b32 exec_lo, exec_lo, s10
	v_and_b32_e32 v25, 0xffff0000, v25
	s_delay_alu instid0(VALU_DEP_1) | instskip(NEXT) | instid1(VALU_DEP_1)
	v_add_f32_e32 v25, v16, v25
	v_and_b32_e32 v16, 0x7f800000, v25
	s_delay_alu instid0(VALU_DEP_1) | instskip(SKIP_1) | instid1(SALU_CYCLE_1)
	v_cmp_ne_u32_e32 vcc_lo, 0x7f800000, v16
                                        ; implicit-def: $vgpr16
	s_and_saveexec_b32 s10, vcc_lo
	s_xor_b32 s10, exec_lo, s10
; %bb.1929:                             ;   in Loop: Header=BB8_1058 Depth=1
	v_bfe_u32 v16, v25, 16, 1
	s_delay_alu instid0(VALU_DEP_1)
	v_add3_u32 v16, v25, v16, 0x7fff
                                        ; implicit-def: $vgpr25
; %bb.1930:                             ;   in Loop: Header=BB8_1058 Depth=1
	s_and_not1_saveexec_b32 s10, s10
; %bb.1931:                             ;   in Loop: Header=BB8_1058 Depth=1
	v_and_b32_e32 v16, 0xffff, v25
	v_or_b32_e32 v26, 0x10000, v25
	s_delay_alu instid0(VALU_DEP_2) | instskip(NEXT) | instid1(VALU_DEP_2)
	v_cmp_eq_u32_e32 vcc_lo, 0, v16
	v_cndmask_b32_e32 v16, v26, v25, vcc_lo
; %bb.1932:                             ;   in Loop: Header=BB8_1058 Depth=1
	s_or_b32 exec_lo, exec_lo, s10
	v_and_b32_e32 v24, 0xffff0000, v24
	s_delay_alu instid0(VALU_DEP_1) | instskip(NEXT) | instid1(VALU_DEP_1)
	v_add_f32_e32 v24, v13, v24
	v_and_b32_e32 v13, 0x7f800000, v24
	s_delay_alu instid0(VALU_DEP_1) | instskip(SKIP_1) | instid1(SALU_CYCLE_1)
	v_cmp_ne_u32_e32 vcc_lo, 0x7f800000, v13
                                        ; implicit-def: $vgpr13
	s_and_saveexec_b32 s10, vcc_lo
	s_xor_b32 s10, exec_lo, s10
; %bb.1933:                             ;   in Loop: Header=BB8_1058 Depth=1
	v_bfe_u32 v13, v24, 16, 1
	s_delay_alu instid0(VALU_DEP_1)
	v_add3_u32 v13, v24, v13, 0x7fff
                                        ; implicit-def: $vgpr24
; %bb.1934:                             ;   in Loop: Header=BB8_1058 Depth=1
	s_and_not1_saveexec_b32 s10, s10
; %bb.1935:                             ;   in Loop: Header=BB8_1058 Depth=1
	v_and_b32_e32 v13, 0xffff, v24
	v_or_b32_e32 v25, 0x10000, v24
	s_delay_alu instid0(VALU_DEP_2) | instskip(NEXT) | instid1(VALU_DEP_2)
	v_cmp_eq_u32_e32 vcc_lo, 0, v13
	v_cndmask_b32_e32 v13, v25, v24, vcc_lo
; %bb.1936:                             ;   in Loop: Header=BB8_1058 Depth=1
	s_or_b32 exec_lo, exec_lo, s10
	v_and_b32_e32 v14, 0xffff0000, v14
	s_delay_alu instid0(VALU_DEP_1) | instskip(NEXT) | instid1(VALU_DEP_1)
	v_add_f32_e32 v14, v12, v14
	v_and_b32_e32 v12, 0x7f800000, v14
	s_delay_alu instid0(VALU_DEP_1) | instskip(SKIP_1) | instid1(SALU_CYCLE_1)
	v_cmp_ne_u32_e32 vcc_lo, 0x7f800000, v12
                                        ; implicit-def: $vgpr12
	s_and_saveexec_b32 s10, vcc_lo
	s_xor_b32 s10, exec_lo, s10
; %bb.1937:                             ;   in Loop: Header=BB8_1058 Depth=1
	v_bfe_u32 v12, v14, 16, 1
	s_delay_alu instid0(VALU_DEP_1)
	v_add3_u32 v12, v14, v12, 0x7fff
                                        ; implicit-def: $vgpr14
; %bb.1938:                             ;   in Loop: Header=BB8_1058 Depth=1
	s_and_not1_saveexec_b32 s10, s10
; %bb.1939:                             ;   in Loop: Header=BB8_1058 Depth=1
	v_and_b32_e32 v12, 0xffff, v14
	v_or_b32_e32 v24, 0x10000, v14
	s_delay_alu instid0(VALU_DEP_2) | instskip(NEXT) | instid1(VALU_DEP_2)
	v_cmp_eq_u32_e32 vcc_lo, 0, v12
	v_cndmask_b32_e32 v12, v24, v14, vcc_lo
; %bb.1940:                             ;   in Loop: Header=BB8_1058 Depth=1
	s_or_b32 exec_lo, exec_lo, s10
	s_clause 0x7
	flat_store_d16_hi_b16 v[10:11], v15 th:TH_STORE_NT
	flat_store_d16_hi_b16 v[10:11], v23 offset:64 th:TH_STORE_NT
	flat_store_d16_hi_b16 v[10:11], v19 offset:128 th:TH_STORE_NT
	;; [unrolled: 1-line block ×7, first 2 shown]
.LBB8_1941:                             ;   in Loop: Header=BB8_1058 Depth=1
	s_wait_xcnt 0x0
	s_or_b32 exec_lo, exec_lo, s7
	v_lshlrev_b32_e32 v10, 9, v22
	s_delay_alu instid0(VALU_DEP_1)
	v_cmp_ne_u32_e32 vcc_lo, v74, v10
	s_and_b32 exec_lo, exec_lo, vcc_lo
	s_cbranch_execz .LBB8_1978
; %bb.1942:                             ;   in Loop: Header=BB8_1058 Depth=1
	v_lshlrev_b32_e32 v11, 5, v33
	s_delay_alu instid0(VALU_DEP_1) | instskip(NEXT) | instid1(VALU_DEP_1)
	v_sub_nc_u32_e32 v11, v21, v11
	v_ashrrev_i32_e32 v12, 31, v11
	s_delay_alu instid0(VALU_DEP_1) | instskip(NEXT) | instid1(VALU_DEP_1)
	v_lshrrev_b32_e32 v12, 27, v12
	v_add_nc_u32_e32 v12, v11, v12
	s_delay_alu instid0(VALU_DEP_1) | instskip(NEXT) | instid1(VALU_DEP_1)
	v_and_b32_e32 v13, 0x7fffffe0, v12
	v_dual_lshlrev_b32 v12, 1, v12 :: v_dual_sub_nc_u32 v11, v11, v13
	s_delay_alu instid0(VALU_DEP_1) | instskip(NEXT) | instid1(VALU_DEP_2)
	v_and_b32_e32 v12, 0xffffffc0, v12
	v_lshlrev_b32_e32 v11, 1, v11
	s_delay_alu instid0(VALU_DEP_1) | instskip(NEXT) | instid1(VALU_DEP_1)
	v_add3_u32 v10, v12, v11, v10
	v_sub_nc_u32_e32 v16, v74, v10
	s_delay_alu instid0(VALU_DEP_1)
	v_cmp_lt_i32_e32 vcc_lo, 1, v16
	s_and_b32 exec_lo, exec_lo, vcc_lo
	s_cbranch_execz .LBB8_1978
; %bb.1943:                             ;   in Loop: Header=BB8_1058 Depth=1
	s_trap 2
	ds_load_b64 v[12:13], v0
	v_add_nc_u32_e32 v18, v10, v20
	s_mov_b32 s28, 0
	s_mov_b32 s26, 0
                                        ; implicit-def: $sgpr27
	s_delay_alu instid0(VALU_DEP_1) | instskip(NEXT) | instid1(VALU_DEP_1)
	v_ashrrev_i32_e32 v19, 31, v18
	v_add_nc_u64_e32 v[10:11], v[44:45], v[18:19]
	v_add_nc_u64_e32 v[14:15], v[18:19], v[42:43]
	s_wait_dscnt 0x0
	v_add_nc_u64_e32 v[12:13], v[12:13], v[18:19]
	s_branch .LBB8_1945
.LBB8_1944:                             ;   in Loop: Header=BB8_1945 Depth=2
	s_or_b32 exec_lo, exec_lo, s7
	s_delay_alu instid0(VALU_DEP_1) | instskip(SKIP_2) | instid1(VALU_DEP_3)
	v_dual_cndmask_b32 v22, 0, v62, s28 :: v_dual_lshrrev_b32 v17, 16, v17
	v_add_nc_u64_e32 v[18:19], v[12:13], v[100:101]
	v_dual_cndmask_b32 v21, 0, v117, s28 :: v_dual_cndmask_b32 v20, 64, v116, s28
	v_sub_nc_u32_e32 v16, v16, v22
	v_add_nc_u64_e32 v[22:23], v[14:15], v[100:101]
	flat_store_b16 v[10:11], v17 th:TH_STORE_NT
	scratch_store_b16 off, v17, s33 offset:176
	v_cndmask_b32_e64 v13, v13, v19, s28
	v_cmp_gt_i32_e32 vcc_lo, 2, v16
	s_wait_xcnt 0x1
	v_add_nc_u64_e32 v[10:11], v[10:11], v[20:21]
	v_dual_cndmask_b32 v12, v12, v18, s28 :: v_dual_cndmask_b32 v15, v15, v23, s28
	v_cndmask_b32_e64 v14, v14, v22, s28
	s_or_b32 s26, vcc_lo, s26
	s_and_not1_b32 s7, s27, exec_lo
	s_and_b32 s10, s28, exec_lo
	s_delay_alu instid0(SALU_CYCLE_1)
	s_or_b32 s27, s7, s10
	s_wait_xcnt 0x0
	s_and_not1_b32 exec_lo, exec_lo, s26
	s_cbranch_execz .LBB8_1968
.LBB8_1945:                             ;   Parent Loop BB8_1058 Depth=1
                                        ; =>  This Loop Header: Depth=2
                                        ;       Child Loop BB8_1946 Depth 3
                                        ;       Child Loop BB8_1959 Depth 3
	s_add_co_i32 s7, s33, 0xb0
	s_mov_b64 s[12:13], 0
	s_mov_b32 s29, s7
	s_mov_b32 s40, -1
.LBB8_1946:                             ;   Parent Loop BB8_1058 Depth=1
                                        ;     Parent Loop BB8_1945 Depth=2
                                        ; =>    This Inner Loop Header: Depth=3
	s_cmp_eq_u32 s12, 1
	s_cselect_b32 vcc_lo, -1, 0
	s_cmp_eq_u32 s12, 0
	v_dual_cndmask_b32 v19, v15, v13 :: v_dual_cndmask_b32 v18, v14, v12
	s_cselect_b32 s7, -1, 0
	s_and_b32 s10, exec_lo, s40
	s_mov_b64 s[12:13], 1
	s_mov_b32 s40, 0
	flat_load_u16 v17, v[18:19] th:TH_LOAD_NT
	s_wait_xcnt 0x0
	v_add_nc_u64_e32 v[18:19], 64, v[18:19]
	s_delay_alu instid0(VALU_DEP_1)
	v_dual_cndmask_b32 v13, v13, v19 :: v_dual_cndmask_b32 v12, v12, v18
	v_dual_cndmask_b32 v15, v15, v19, s7 :: v_dual_cndmask_b32 v14, v14, v18, s7
	s_add_co_i32 s7, s33, 0xd0
	s_mov_b32 vcc_lo, s10
	s_wait_loadcnt_dscnt 0x0
	scratch_store_b16 off, v17, s29
	s_wait_xcnt 0x0
	s_mov_b32 s29, s7
	s_cbranch_vccnz .LBB8_1946
; %bb.1947:                             ;   in Loop: Header=BB8_1945 Depth=2
	s_and_saveexec_b32 s7, s28
	s_cbranch_execz .LBB8_1957
; %bb.1948:                             ;   in Loop: Header=BB8_1945 Depth=2
	s_trap 2
	scratch_load_u16 v17, off, s33 offset:168
	ds_load_b32 v18, v0
	s_wait_loadcnt_dscnt 0x0
	v_dual_lshlrev_b32 v18, 16, v18 :: v_dual_lshlrev_b32 v17, 16, v17
	s_delay_alu instid0(VALU_DEP_1) | instskip(NEXT) | instid1(VALU_DEP_1)
	v_mul_f32_e32 v17, v18, v17
	v_and_b32_e32 v18, 0x7f800000, v17
	s_delay_alu instid0(VALU_DEP_1) | instskip(SKIP_2) | instid1(SALU_CYCLE_1)
	v_cmp_ne_u32_e32 vcc_lo, 0x7f800000, v18
                                        ; implicit-def: $vgpr18
	s_wait_xcnt 0x0
	s_and_saveexec_b32 s10, vcc_lo
	s_xor_b32 s10, exec_lo, s10
; %bb.1949:                             ;   in Loop: Header=BB8_1945 Depth=2
	v_bfe_u32 v18, v17, 16, 1
	s_delay_alu instid0(VALU_DEP_1)
	v_add3_u32 v18, v17, v18, 0x7fff
                                        ; implicit-def: $vgpr17
; %bb.1950:                             ;   in Loop: Header=BB8_1945 Depth=2
	s_and_not1_saveexec_b32 s10, s10
; %bb.1951:                             ;   in Loop: Header=BB8_1945 Depth=2
	v_and_b32_e32 v18, 0xffff, v17
	v_or_b32_e32 v19, 0x10000, v17
	s_delay_alu instid0(VALU_DEP_2) | instskip(NEXT) | instid1(VALU_DEP_2)
	v_cmp_eq_u32_e32 vcc_lo, 0, v18
	v_cndmask_b32_e32 v18, v19, v17, vcc_lo
; %bb.1952:                             ;   in Loop: Header=BB8_1945 Depth=2
	s_or_b32 exec_lo, exec_lo, s10
	scratch_load_u16 v17, off, s33 offset:170
	v_and_b32_e32 v18, 0xffff0000, v18
	s_wait_loadcnt 0x0
	v_lshlrev_b32_e32 v17, 16, v17
	s_delay_alu instid0(VALU_DEP_1) | instskip(NEXT) | instid1(VALU_DEP_1)
	v_add_f32_e32 v17, v18, v17
	v_and_b32_e32 v18, 0x7f800000, v17
	s_delay_alu instid0(VALU_DEP_1) | instskip(SKIP_2) | instid1(SALU_CYCLE_1)
	v_cmp_ne_u32_e32 vcc_lo, 0x7f800000, v18
                                        ; implicit-def: $vgpr18
	s_wait_xcnt 0x0
	s_and_saveexec_b32 s10, vcc_lo
	s_xor_b32 s10, exec_lo, s10
; %bb.1953:                             ;   in Loop: Header=BB8_1945 Depth=2
	v_bfe_u32 v18, v17, 16, 1
	s_delay_alu instid0(VALU_DEP_1)
	v_add3_u32 v18, v17, v18, 0x7fff
                                        ; implicit-def: $vgpr17
; %bb.1954:                             ;   in Loop: Header=BB8_1945 Depth=2
	s_and_not1_saveexec_b32 s10, s10
; %bb.1955:                             ;   in Loop: Header=BB8_1945 Depth=2
	v_and_b32_e32 v18, 0xffff, v17
	v_or_b32_e32 v19, 0x10000, v17
	s_delay_alu instid0(VALU_DEP_2) | instskip(NEXT) | instid1(VALU_DEP_2)
	v_cmp_eq_u32_e32 vcc_lo, 0, v18
	v_cndmask_b32_e32 v18, v19, v17, vcc_lo
; %bb.1956:                             ;   in Loop: Header=BB8_1945 Depth=2
	s_or_b32 exec_lo, exec_lo, s10
	s_delay_alu instid0(VALU_DEP_1)
	v_lshrrev_b32_e32 v17, 16, v18
	flat_store_b16 v[10:11], v17 th:TH_STORE_NT
	s_wait_xcnt 0x0
	v_add_nc_u64_e32 v[10:11], v[10:11], v[116:117]
	scratch_store_b16 off, v17, s33 offset:168
.LBB8_1957:                             ;   in Loop: Header=BB8_1945 Depth=2
	s_wait_xcnt 0x0
	s_or_b32 exec_lo, exec_lo, s7
	v_sub_nc_u32_e32 v16, v16, v62
	v_add_nc_u64_e32 v[14:15], v[14:15], v[100:101]
	v_add_nc_u64_e32 v[12:13], v[12:13], v[100:101]
	s_delay_alu instid0(VALU_DEP_3)
	v_cmp_lt_i32_e64 s28, 1, v16
	s_and_saveexec_b32 s29, s28
	s_cbranch_execz .LBB8_1960
; %bb.1958:                             ;   in Loop: Header=BB8_1945 Depth=2
	s_add_co_i32 s7, s33, 0xa8
	s_mov_b64 s[12:13], 0
	s_mov_b32 s40, s7
	s_mov_b32 s41, -1
.LBB8_1959:                             ;   Parent Loop BB8_1058 Depth=1
                                        ;     Parent Loop BB8_1945 Depth=2
                                        ; =>    This Inner Loop Header: Depth=3
	s_cmp_eq_u32 s12, 1
	s_cselect_b32 vcc_lo, -1, 0
	s_cmp_eq_u32 s12, 0
	v_dual_cndmask_b32 v19, v15, v13 :: v_dual_cndmask_b32 v18, v14, v12
	s_cselect_b32 s7, -1, 0
	s_and_b32 s10, exec_lo, s41
	s_mov_b64 s[12:13], 1
	s_mov_b32 s41, 0
	flat_load_u16 v17, v[18:19] th:TH_LOAD_NT
	s_wait_xcnt 0x0
	v_add_nc_u64_e32 v[18:19], 64, v[18:19]
	s_delay_alu instid0(VALU_DEP_1)
	v_dual_cndmask_b32 v15, v15, v19, s7 :: v_dual_cndmask_b32 v14, v14, v18, s7
	v_dual_cndmask_b32 v13, v13, v19 :: v_dual_cndmask_b32 v12, v12, v18
	s_add_co_i32 s7, s33, 0xaa
	s_mov_b32 vcc_lo, s10
	s_wait_loadcnt_dscnt 0x0
	scratch_store_b16 off, v17, s40
	s_wait_xcnt 0x0
	s_mov_b32 s40, s7
	s_cbranch_vccnz .LBB8_1959
.LBB8_1960:                             ;   in Loop: Header=BB8_1945 Depth=2
	s_or_b32 exec_lo, exec_lo, s29
	s_trap 2
	scratch_load_u16 v17, off, s33 offset:176
	ds_load_b32 v18, v0
	s_wait_loadcnt_dscnt 0x0
	v_dual_lshlrev_b32 v18, 16, v18 :: v_dual_lshlrev_b32 v17, 16, v17
	s_delay_alu instid0(VALU_DEP_1) | instskip(NEXT) | instid1(VALU_DEP_1)
	v_mul_f32_e32 v17, v18, v17
	v_and_b32_e32 v18, 0x7f800000, v17
	s_delay_alu instid0(VALU_DEP_1) | instskip(SKIP_2) | instid1(SALU_CYCLE_1)
	v_cmp_ne_u32_e32 vcc_lo, 0x7f800000, v18
                                        ; implicit-def: $vgpr18
	s_wait_xcnt 0x0
	s_and_saveexec_b32 s7, vcc_lo
	s_xor_b32 s7, exec_lo, s7
; %bb.1961:                             ;   in Loop: Header=BB8_1945 Depth=2
	v_bfe_u32 v18, v17, 16, 1
	s_delay_alu instid0(VALU_DEP_1)
	v_add3_u32 v18, v17, v18, 0x7fff
                                        ; implicit-def: $vgpr17
; %bb.1962:                             ;   in Loop: Header=BB8_1945 Depth=2
	s_and_not1_saveexec_b32 s7, s7
; %bb.1963:                             ;   in Loop: Header=BB8_1945 Depth=2
	v_and_b32_e32 v18, 0xffff, v17
	v_or_b32_e32 v19, 0x10000, v17
	s_delay_alu instid0(VALU_DEP_2) | instskip(NEXT) | instid1(VALU_DEP_2)
	v_cmp_eq_u32_e32 vcc_lo, 0, v18
	v_cndmask_b32_e32 v18, v19, v17, vcc_lo
; %bb.1964:                             ;   in Loop: Header=BB8_1945 Depth=2
	s_or_b32 exec_lo, exec_lo, s7
	scratch_load_u16 v17, off, s33 offset:208
	v_and_b32_e32 v18, 0xffff0000, v18
	s_wait_loadcnt 0x0
	v_lshlrev_b32_e32 v17, 16, v17
	s_delay_alu instid0(VALU_DEP_1) | instskip(NEXT) | instid1(VALU_DEP_1)
	v_add_f32_e32 v18, v18, v17
	v_and_b32_e32 v17, 0x7f800000, v18
	s_delay_alu instid0(VALU_DEP_1) | instskip(SKIP_2) | instid1(SALU_CYCLE_1)
	v_cmp_ne_u32_e32 vcc_lo, 0x7f800000, v17
                                        ; implicit-def: $vgpr17
	s_wait_xcnt 0x0
	s_and_saveexec_b32 s7, vcc_lo
	s_xor_b32 s7, exec_lo, s7
; %bb.1965:                             ;   in Loop: Header=BB8_1945 Depth=2
	v_bfe_u32 v17, v18, 16, 1
	s_delay_alu instid0(VALU_DEP_1)
	v_add3_u32 v17, v18, v17, 0x7fff
                                        ; implicit-def: $vgpr18
; %bb.1966:                             ;   in Loop: Header=BB8_1945 Depth=2
	s_and_not1_saveexec_b32 s7, s7
	s_cbranch_execz .LBB8_1944
; %bb.1967:                             ;   in Loop: Header=BB8_1945 Depth=2
	v_and_b32_e32 v17, 0xffff, v18
	v_or_b32_e32 v19, 0x10000, v18
	s_delay_alu instid0(VALU_DEP_2) | instskip(NEXT) | instid1(VALU_DEP_2)
	v_cmp_eq_u32_e32 vcc_lo, 0, v17
	v_cndmask_b32_e32 v17, v19, v18, vcc_lo
	s_branch .LBB8_1944
.LBB8_1968:                             ;   in Loop: Header=BB8_1058 Depth=1
	s_or_b32 exec_lo, exec_lo, s26
	s_delay_alu instid0(SALU_CYCLE_1)
	s_and_b32 exec_lo, exec_lo, s27
	s_cbranch_execz .LBB8_1978
; %bb.1969:                             ;   in Loop: Header=BB8_1058 Depth=1
	s_trap 2
	scratch_load_u16 v12, off, s33 offset:168
	ds_load_b32 v13, v0
	s_wait_loadcnt_dscnt 0x0
	v_dual_lshlrev_b32 v13, 16, v13 :: v_dual_lshlrev_b32 v12, 16, v12
	s_delay_alu instid0(VALU_DEP_1) | instskip(NEXT) | instid1(VALU_DEP_1)
	v_mul_f32_e32 v12, v13, v12
	v_and_b32_e32 v13, 0x7f800000, v12
	s_delay_alu instid0(VALU_DEP_1) | instskip(SKIP_2) | instid1(SALU_CYCLE_1)
	v_cmp_ne_u32_e32 vcc_lo, 0x7f800000, v13
                                        ; implicit-def: $vgpr13
	s_wait_xcnt 0x0
	s_and_saveexec_b32 s7, vcc_lo
	s_xor_b32 s7, exec_lo, s7
; %bb.1970:                             ;   in Loop: Header=BB8_1058 Depth=1
	v_bfe_u32 v13, v12, 16, 1
	s_delay_alu instid0(VALU_DEP_1)
	v_add3_u32 v13, v12, v13, 0x7fff
                                        ; implicit-def: $vgpr12
; %bb.1971:                             ;   in Loop: Header=BB8_1058 Depth=1
	s_and_not1_saveexec_b32 s7, s7
; %bb.1972:                             ;   in Loop: Header=BB8_1058 Depth=1
	v_and_b32_e32 v13, 0xffff, v12
	v_or_b32_e32 v14, 0x10000, v12
	s_delay_alu instid0(VALU_DEP_2) | instskip(NEXT) | instid1(VALU_DEP_2)
	v_cmp_eq_u32_e32 vcc_lo, 0, v13
	v_cndmask_b32_e32 v13, v14, v12, vcc_lo
; %bb.1973:                             ;   in Loop: Header=BB8_1058 Depth=1
	s_or_b32 exec_lo, exec_lo, s7
	scratch_load_u16 v12, off, s33 offset:170
	v_and_b32_e32 v13, 0xffff0000, v13
	s_wait_loadcnt 0x0
	v_lshlrev_b32_e32 v12, 16, v12
	s_delay_alu instid0(VALU_DEP_1) | instskip(NEXT) | instid1(VALU_DEP_1)
	v_add_f32_e32 v12, v13, v12
	v_and_b32_e32 v13, 0x7f800000, v12
	s_delay_alu instid0(VALU_DEP_1) | instskip(SKIP_2) | instid1(SALU_CYCLE_1)
	v_cmp_ne_u32_e32 vcc_lo, 0x7f800000, v13
                                        ; implicit-def: $vgpr13
	s_wait_xcnt 0x0
	s_and_saveexec_b32 s7, vcc_lo
	s_xor_b32 s7, exec_lo, s7
; %bb.1974:                             ;   in Loop: Header=BB8_1058 Depth=1
	v_bfe_u32 v13, v12, 16, 1
	s_delay_alu instid0(VALU_DEP_1)
	v_add3_u32 v13, v12, v13, 0x7fff
                                        ; implicit-def: $vgpr12
; %bb.1975:                             ;   in Loop: Header=BB8_1058 Depth=1
	s_and_not1_saveexec_b32 s7, s7
; %bb.1976:                             ;   in Loop: Header=BB8_1058 Depth=1
	v_and_b32_e32 v13, 0xffff, v12
	v_or_b32_e32 v14, 0x10000, v12
	s_delay_alu instid0(VALU_DEP_2) | instskip(NEXT) | instid1(VALU_DEP_2)
	v_cmp_eq_u32_e32 vcc_lo, 0, v13
	v_cndmask_b32_e32 v13, v14, v12, vcc_lo
; %bb.1977:                             ;   in Loop: Header=BB8_1058 Depth=1
	s_or_b32 exec_lo, exec_lo, s7
	flat_store_d16_hi_b16 v[10:11], v13 th:TH_STORE_NT
.LBB8_1978:                             ;   in Loop: Header=BB8_1058 Depth=1
	s_wait_xcnt 0x0
	s_or_b32 exec_lo, exec_lo, s11
	v_cmp_ne_u32_e64 s7, 0, v86
	s_and_saveexec_b32 s10, s2
	s_cbranch_execz .LBB8_1997
.LBB8_1979:                             ;   in Loop: Header=BB8_1058 Depth=1
	s_and_saveexec_b32 s11, s3
	s_delay_alu instid0(SALU_CYCLE_1)
	s_xor_b32 s11, exec_lo, s11
	s_cbranch_execz .LBB8_1994
; %bb.1980:                             ;   in Loop: Header=BB8_1058 Depth=1
	s_and_saveexec_b32 s12, s4
	s_cbranch_execz .LBB8_1993
; %bb.1981:                             ;   in Loop: Header=BB8_1058 Depth=1
	s_mov_b32 s26, exec_lo
	s_mov_b32 s13, exec_lo
	v_mbcnt_lo_u32_b32 v10, s26, 0
	global_wb scope:SCOPE_DEV
	s_wait_storecnt 0x0
	s_wait_loadcnt_dscnt 0x0
	global_inv scope:SCOPE_DEV
	v_cmpx_eq_u32_e32 0, v10
	s_cbranch_execz .LBB8_1983
; %bb.1982:                             ;   in Loop: Header=BB8_1058 Depth=1
	s_bcnt1_i32_b32 s26, s26
	s_delay_alu instid0(SALU_CYCLE_1)
	v_mov_b32_e32 v86, s26
	s_wait_loadcnt 0x0
	ds_add_u64 v0, v[86:87]
	s_trap 2
.LBB8_1983:                             ;   in Loop: Header=BB8_1058 Depth=1
	s_or_b32 exec_lo, exec_lo, s13
	s_trap 2
	ds_load_b64 v[10:11], v0
	s_wait_dscnt 0x0
	v_add_nc_u64_e32 v[80:81], v[80:81], v[84:85]
	s_mov_b32 s13, exec_lo
	s_delay_alu instid0(VALU_DEP_1)
	v_cmpx_lt_u64_e64 v[10:11], v[80:81]
	s_cbranch_execz .LBB8_1992
; %bb.1984:                             ;   in Loop: Header=BB8_1058 Depth=1
	s_mov_b32 s26, 0
	s_mov_b32 s29, 0
                                        ; implicit-def: $sgpr27
                                        ; implicit-def: $sgpr28
	s_branch .LBB8_1986
.LBB8_1985:                             ;   in Loop: Header=BB8_1986 Depth=2
	s_or_b32 exec_lo, exec_lo, s41
	s_delay_alu instid0(SALU_CYCLE_1) | instskip(NEXT) | instid1(SALU_CYCLE_1)
	s_and_b32 s40, exec_lo, s42
	s_or_b32 s26, s40, s26
	s_and_not1_b32 s27, s27, exec_lo
	s_and_b32 s40, s28, exec_lo
	s_delay_alu instid0(SALU_CYCLE_1)
	s_or_b32 s27, s27, s40
	s_and_not1_b32 exec_lo, exec_lo, s26
	s_cbranch_execz .LBB8_1990
.LBB8_1986:                             ;   Parent Loop BB8_1058 Depth=1
                                        ; =>  This Inner Loop Header: Depth=2
	s_add_co_i32 s29, s29, 1
	s_delay_alu instid0(SALU_CYCLE_1) | instskip(SKIP_1) | instid1(SALU_CYCLE_1)
	s_cmp_lg_u32 s29, 0x2710
	s_cselect_b32 s40, -1, 0
	s_and_b32 vcc_lo, exec_lo, s40
	s_cbranch_vccz .LBB8_1988
; %bb.1987:                             ;   in Loop: Header=BB8_1986 Depth=2
	s_mov_b32 s42, -1
	s_or_b32 s28, s28, exec_lo
	s_and_saveexec_b32 s41, s40
	s_cbranch_execz .LBB8_1985
	s_branch .LBB8_1989
.LBB8_1988:                             ;   in Loop: Header=BB8_1986 Depth=2
	s_trap 2
	ds_load_b64 v[10:11], v0
	s_and_not1_b32 s40, s40, exec_lo
	s_mov_b32 s29, 0
	s_wait_loadcnt_dscnt 0x0
	flat_load_b32 v10, v[10:11] scope:SCOPE_SYS
	s_wait_loadcnt_dscnt 0x0
	global_inv scope:SCOPE_SYS
	v_cmp_eq_u32_e32 vcc_lo, 0, v10
	s_and_b32 s41, vcc_lo, exec_lo
	s_delay_alu instid0(SALU_CYCLE_1)
	s_or_b32 s40, s40, s41
	s_mov_b32 s42, -1
	s_or_b32 s28, s28, exec_lo
	s_and_saveexec_b32 s41, s40
	s_cbranch_execz .LBB8_1985
.LBB8_1989:                             ;   in Loop: Header=BB8_1986 Depth=2
	s_sleep 1
	s_trap 2
	ds_load_b64 v[10:11], v0
	s_wait_dscnt 0x0
	s_and_not1_b32 s28, s28, exec_lo
	v_cmp_ge_u64_e32 vcc_lo, v[10:11], v[80:81]
	s_or_not1_b32 s42, vcc_lo, exec_lo
	s_branch .LBB8_1985
.LBB8_1990:                             ;   in Loop: Header=BB8_1058 Depth=1
	s_or_b32 exec_lo, exec_lo, s26
	s_and_saveexec_b32 s26, s27
	s_delay_alu instid0(SALU_CYCLE_1)
	s_xor_b32 s26, exec_lo, s26
	s_cbranch_execz .LBB8_1992
; %bb.1991:                             ;   in Loop: Header=BB8_1058 Depth=1
	ds_store_b32 v0, v73
	s_trap 2
.LBB8_1992:                             ;   in Loop: Header=BB8_1058 Depth=1
	s_or_b32 exec_lo, exec_lo, s13
	;;#ASMSTART
	s_wakeup
	;;#ASMEND
.LBB8_1993:                             ;   in Loop: Header=BB8_1058 Depth=1
	s_or_b32 exec_lo, exec_lo, s12
.LBB8_1994:                             ;   in Loop: Header=BB8_1058 Depth=1
	s_and_not1_saveexec_b32 s11, s11
	s_cbranch_execz .LBB8_1996
; %bb.1995:                             ;   in Loop: Header=BB8_1058 Depth=1
	global_wb scope:SCOPE_DEV
	s_wait_storecnt 0x0
	s_wait_loadcnt_dscnt 0x0
	global_inv scope:SCOPE_DEV
	s_barrier_signal -1
	s_barrier_wait -1
.LBB8_1996:                             ;   in Loop: Header=BB8_1058 Depth=1
	s_or_b32 exec_lo, exec_lo, s11
.LBB8_1997:                             ;   in Loop: Header=BB8_1058 Depth=1
	s_delay_alu instid0(SALU_CYCLE_1) | instskip(SKIP_1) | instid1(VALU_DEP_1)
	s_or_b32 exec_lo, exec_lo, s10
	v_and_b32_e32 v10, 16, v30
	v_cmp_ne_u32_e32 vcc_lo, 0, v10
	s_and_b32 s10, vcc_lo, s7
	s_delay_alu instid0(SALU_CYCLE_1)
	s_and_saveexec_b32 s7, s10
	s_cbranch_execz .LBB8_1999
; %bb.1998:                             ;   in Loop: Header=BB8_1058 Depth=1
	global_wb scope:SCOPE_SYS
	s_wait_storecnt 0x0
	s_wait_loadcnt_dscnt 0x0
	global_inv scope:SCOPE_SYS
.LBB8_1999:                             ;   in Loop: Header=BB8_1058 Depth=1
	s_or_b32 exec_lo, exec_lo, s7
	v_and_b32_e32 v10, 32, v30
	s_mov_b32 s7, exec_lo
	s_delay_alu instid0(VALU_DEP_1)
	v_cmpx_ne_u32_e32 0, v10
	s_cbranch_execz .LBB8_2001
; %bb.2000:                             ;   in Loop: Header=BB8_1058 Depth=1
	v_add_nc_u64_e32 v[8:9], 1, v[8:9]
	global_wb scope:SCOPE_SYS
	s_wait_storecnt 0x0
	s_wait_loadcnt_dscnt 0x0
	flat_store_b64 v[64:65], v[8:9] scope:SCOPE_SYS
.LBB8_2001:                             ;   in Loop: Header=BB8_1058 Depth=1
	s_wait_xcnt 0x0
	s_or_b32 exec_lo, exec_lo, s7
	v_mov_b32_e32 v14, v41
.LBB8_2002:                             ;   in Loop: Header=BB8_1058 Depth=1
	s_or_b32 exec_lo, exec_lo, s25
	s_and_saveexec_b32 s10, s24
	s_cbranch_execz .LBB8_1057
; %bb.2003:                             ;   in Loop: Header=BB8_1058 Depth=1
	v_and_b32_e32 v10, 4, v30
	s_mov_b32 s11, exec_lo
	s_delay_alu instid0(VALU_DEP_1)
	v_cmpx_ne_u32_e32 0, v10
	s_cbranch_execz .LBB8_2025
; %bb.2004:                             ;   in Loop: Header=BB8_1058 Depth=1
	s_wait_dscnt 0x0
	v_add_nc_u64_e32 v[10:11], 1, v[8:9]
	s_mov_b32 s12, exec_lo
	s_wait_loadcnt 0x0
	s_delay_alu instid0(VALU_DEP_1)
	v_cmpx_lt_u64_e64 v[70:71], v[10:11]
	s_cbranch_execz .LBB8_2016
; %bb.2005:                             ;   in Loop: Header=BB8_1058 Depth=1
	v_and_b32_e32 v9, 64, v30
	s_mov_b32 s13, 0
	s_mov_b32 s27, 0
                                        ; implicit-def: $sgpr24
                                        ; implicit-def: $sgpr25
                                        ; implicit-def: $sgpr26
	s_delay_alu instid0(VALU_DEP_1)
	v_cmp_eq_u32_e32 vcc_lo, 0, v9
	s_branch .LBB8_2009
.LBB8_2006:                             ;   in Loop: Header=BB8_2009 Depth=2
	s_wait_loadcnt_dscnt 0x0
	v_cmp_ge_u64_e64 s7, v[70:71], v[10:11]
	s_or_b32 s40, s40, exec_lo
	s_or_not1_b32 s29, s7, exec_lo
.LBB8_2007:                             ;   in Loop: Header=BB8_2009 Depth=2
	s_or_b32 exec_lo, exec_lo, s42
	s_delay_alu instid0(SALU_CYCLE_1)
	s_and_not1_b32 s7, s26, exec_lo
	s_and_b32 s26, s40, exec_lo
	s_and_not1_b32 s25, s25, exec_lo
	s_and_b32 s29, s29, exec_lo
	s_or_b32 s26, s7, s26
	s_or_b32 s25, s25, s29
.LBB8_2008:                             ;   in Loop: Header=BB8_2009 Depth=2
	s_or_b32 exec_lo, exec_lo, s28
	s_delay_alu instid0(SALU_CYCLE_1) | instskip(NEXT) | instid1(SALU_CYCLE_1)
	s_and_b32 s7, exec_lo, s25
	s_or_b32 s13, s7, s13
	s_and_not1_b32 s7, s24, exec_lo
	s_and_b32 s24, s26, exec_lo
	s_delay_alu instid0(SALU_CYCLE_1)
	s_or_b32 s24, s7, s24
	s_and_not1_b32 exec_lo, exec_lo, s13
	s_cbranch_execz .LBB8_2013
.LBB8_2009:                             ;   Parent Loop BB8_1058 Depth=1
                                        ; =>  This Inner Loop Header: Depth=2
	s_sleep 1
	s_wait_loadcnt_dscnt 0x0
	flat_load_b64 v[70:71], v[64:65] scope:SCOPE_SYS
	s_or_b32 s26, s26, exec_lo
	s_or_b32 s25, s25, exec_lo
                                        ; implicit-def: $vgpr9
	s_wait_xcnt 0x0
	s_and_saveexec_b32 s28, vcc_lo
	s_cbranch_execz .LBB8_2008
; %bb.2010:                             ;   in Loop: Header=BB8_2009 Depth=2
	s_cmp_lt_i32 s27, 0x270f
	s_mov_b32 s29, -1
	s_cselect_b32 s41, -1, 0
	s_cmp_gt_i32 s27, 0x270e
	s_cbranch_scc0 .LBB8_2012
; %bb.2011:                             ;   in Loop: Header=BB8_2009 Depth=2
	s_trap 2
	ds_load_b64 v[12:13], v0
	s_and_not1_b32 s27, s41, exec_lo
	s_mov_b32 s40, 0
	s_wait_storecnt 0x0
	s_wait_loadcnt_dscnt 0x0
	flat_load_b32 v9, v[12:13] scope:SCOPE_SYS
	s_wait_loadcnt_dscnt 0x0
	global_inv scope:SCOPE_SYS
	v_cmp_eq_u32_e64 s7, 0, v9
	s_and_b32 s7, s7, exec_lo
	s_delay_alu instid0(SALU_CYCLE_1)
	s_or_b32 s41, s27, s7
	s_mov_b32 s27, 0
	s_and_saveexec_b32 s42, s41
	s_cbranch_execz .LBB8_2007
	s_branch .LBB8_2006
.LBB8_2012:                             ;   in Loop: Header=BB8_2009 Depth=2
	s_add_co_i32 s27, s27, 1
	s_mov_b32 s40, -1
                                        ; implicit-def: $vgpr9
	s_and_saveexec_b32 s42, s41
	s_cbranch_execz .LBB8_2007
	s_branch .LBB8_2006
.LBB8_2013:                             ;   in Loop: Header=BB8_1058 Depth=1
	s_or_b32 exec_lo, exec_lo, s13
	s_xor_b32 s7, s24, -1
	s_delay_alu instid0(SALU_CYCLE_1) | instskip(NEXT) | instid1(SALU_CYCLE_1)
	s_and_saveexec_b32 s13, s7
	s_xor_b32 s7, exec_lo, s13
	s_cbranch_execz .LBB8_2015
; %bb.2014:                             ;   in Loop: Header=BB8_1058 Depth=1
	v_or_b32_e32 v30, 64, v30
	s_wait_storecnt 0x0
	s_wait_loadcnt_dscnt 0x0
	ds_store_b32 v0, v9
	s_trap 2
.LBB8_2015:                             ;   in Loop: Header=BB8_1058 Depth=1
	s_or_b32 exec_lo, exec_lo, s7
.LBB8_2016:                             ;   in Loop: Header=BB8_1058 Depth=1
	s_delay_alu instid0(SALU_CYCLE_1) | instskip(SKIP_4) | instid1(VALU_DEP_2)
	s_or_b32 exec_lo, exec_lo, s12
	v_and_b32_e32 v9, 0x100, v30
	v_and_b32_e32 v86, 7, v8
	s_mov_b32 s7, -1
	;;#ASMSTART
	s_wakeup
	;;#ASMEND
	v_cmp_ne_u32_e32 vcc_lo, 0, v9
                                        ; implicit-def: $vgpr8_vgpr9
	s_and_saveexec_b32 s12, vcc_lo
	s_cbranch_execz .LBB8_2020
; %bb.2017:                             ;   in Loop: Header=BB8_1058 Depth=1
	v_mad_nc_u64_u32 v[12:13], v86, 24, v[6:7]
	flat_load_b32 v8, v[12:13]
	s_wait_loadcnt_dscnt 0x0
	v_cmp_eq_u32_e64 s7, 1, v8
	v_cmp_ne_u32_e32 vcc_lo, 1, v8
                                        ; implicit-def: $vgpr8_vgpr9
	s_wait_xcnt 0x0
	s_and_saveexec_b32 s13, s7
	s_cbranch_execz .LBB8_2019
; %bb.2018:                             ;   in Loop: Header=BB8_1058 Depth=1
	flat_load_b32 v8, v[12:13] offset:4 scope:SCOPE_SYS
	s_wait_loadcnt_dscnt 0x0
	v_ashrrev_i32_e32 v9, 31, v8
	s_delay_alu instid0(VALU_DEP_1)
	v_lshrrev_b64 v[8:9], 1, v[8:9]
.LBB8_2019:                             ;   in Loop: Header=BB8_1058 Depth=1
	s_wait_xcnt 0x0
	s_or_b32 exec_lo, exec_lo, s13
	s_delay_alu instid0(SALU_CYCLE_1)
	s_or_not1_b32 s7, vcc_lo, exec_lo
.LBB8_2020:                             ;   in Loop: Header=BB8_1058 Depth=1
	s_or_b32 exec_lo, exec_lo, s12
	s_and_saveexec_b32 s12, s7
; %bb.2021:                             ;   in Loop: Header=BB8_1058 Depth=1
	v_mul_u64_e32 v[8:9], v[86:87], v[66:67]
; %bb.2022:                             ;   in Loop: Header=BB8_1058 Depth=1
	s_or_b32 exec_lo, exec_lo, s12
	v_and_b32_e32 v12, 0x2000, v30
	s_delay_alu instid0(VALU_DEP_2)
	v_lshl_add_u64 v[8:9], v[8:9], 1, v[68:69]
	s_mov_b32 s7, exec_lo
	ds_store_b64 v0, v[8:9] offset:728
	v_cmpx_ne_u32_e32 0, v12
	s_cbranch_execz .LBB8_2024
; %bb.2023:                             ;   in Loop: Header=BB8_1058 Depth=1
	ds_load_b64 v[8:9], v0 offset:872
	s_wait_dscnt 0x0
	v_add_nc_u64_e32 v[8:9], 1, v[8:9]
	ds_store_b64 v0, v[8:9] offset:872
.LBB8_2024:                             ;   in Loop: Header=BB8_1058 Depth=1
	s_or_b32 exec_lo, exec_lo, s7
	v_mov_b64_e32 v[8:9], v[10:11]
.LBB8_2025:                             ;   in Loop: Header=BB8_1058 Depth=1
	s_or_b32 exec_lo, exec_lo, s11
	s_and_saveexec_b32 s7, s2
	s_cbranch_execz .LBB8_2044
; %bb.2026:                             ;   in Loop: Header=BB8_1058 Depth=1
	s_and_saveexec_b32 s11, s3
	s_delay_alu instid0(SALU_CYCLE_1)
	s_xor_b32 s11, exec_lo, s11
	s_cbranch_execz .LBB8_2041
; %bb.2027:                             ;   in Loop: Header=BB8_1058 Depth=1
	s_and_saveexec_b32 s12, s4
	s_cbranch_execz .LBB8_2040
; %bb.2028:                             ;   in Loop: Header=BB8_1058 Depth=1
	s_mov_b32 s24, exec_lo
	s_mov_b32 s13, exec_lo
	v_mbcnt_lo_u32_b32 v10, s24, 0
	global_wb scope:SCOPE_DEV
	s_wait_storecnt 0x0
	s_wait_loadcnt_dscnt 0x0
	global_inv scope:SCOPE_DEV
	v_cmpx_eq_u32_e32 0, v10
	s_cbranch_execz .LBB8_2030
; %bb.2029:                             ;   in Loop: Header=BB8_1058 Depth=1
	s_bcnt1_i32_b32 s24, s24
	s_delay_alu instid0(SALU_CYCLE_1)
	v_mov_b32_e32 v86, s24
	s_wait_loadcnt 0x0
	ds_add_u64 v0, v[86:87]
	s_trap 2
.LBB8_2030:                             ;   in Loop: Header=BB8_1058 Depth=1
	s_or_b32 exec_lo, exec_lo, s13
	s_trap 2
	ds_load_b64 v[10:11], v0
	s_wait_dscnt 0x0
	v_add_nc_u64_e32 v[80:81], v[80:81], v[84:85]
	s_mov_b32 s13, exec_lo
	s_delay_alu instid0(VALU_DEP_1)
	v_cmpx_lt_u64_e64 v[10:11], v[80:81]
	s_cbranch_execz .LBB8_2039
; %bb.2031:                             ;   in Loop: Header=BB8_1058 Depth=1
	s_mov_b32 s24, 0
	s_mov_b32 s27, 0
                                        ; implicit-def: $sgpr25
                                        ; implicit-def: $sgpr26
	s_branch .LBB8_2033
.LBB8_2032:                             ;   in Loop: Header=BB8_2033 Depth=2
	s_or_b32 exec_lo, exec_lo, s29
	s_delay_alu instid0(SALU_CYCLE_1) | instskip(NEXT) | instid1(SALU_CYCLE_1)
	s_and_b32 s28, exec_lo, s40
	s_or_b32 s24, s28, s24
	s_and_not1_b32 s25, s25, exec_lo
	s_and_b32 s28, s26, exec_lo
	s_delay_alu instid0(SALU_CYCLE_1)
	s_or_b32 s25, s25, s28
	s_and_not1_b32 exec_lo, exec_lo, s24
	s_cbranch_execz .LBB8_2037
.LBB8_2033:                             ;   Parent Loop BB8_1058 Depth=1
                                        ; =>  This Inner Loop Header: Depth=2
	s_add_co_i32 s27, s27, 1
	s_delay_alu instid0(SALU_CYCLE_1) | instskip(SKIP_1) | instid1(SALU_CYCLE_1)
	s_cmp_lg_u32 s27, 0x2710
	s_cselect_b32 s28, -1, 0
	s_and_b32 vcc_lo, exec_lo, s28
	s_cbranch_vccz .LBB8_2035
; %bb.2034:                             ;   in Loop: Header=BB8_2033 Depth=2
	s_mov_b32 s40, -1
	s_or_b32 s26, s26, exec_lo
	s_and_saveexec_b32 s29, s28
	s_cbranch_execz .LBB8_2032
	s_branch .LBB8_2036
.LBB8_2035:                             ;   in Loop: Header=BB8_2033 Depth=2
	s_trap 2
	ds_load_b64 v[10:11], v0
	s_and_not1_b32 s28, s28, exec_lo
	s_mov_b32 s27, 0
	s_wait_loadcnt_dscnt 0x0
	flat_load_b32 v10, v[10:11] scope:SCOPE_SYS
	s_wait_loadcnt_dscnt 0x0
	global_inv scope:SCOPE_SYS
	v_cmp_eq_u32_e32 vcc_lo, 0, v10
	s_and_b32 s29, vcc_lo, exec_lo
	s_delay_alu instid0(SALU_CYCLE_1)
	s_or_b32 s28, s28, s29
	s_mov_b32 s40, -1
	s_or_b32 s26, s26, exec_lo
	s_and_saveexec_b32 s29, s28
	s_cbranch_execz .LBB8_2032
.LBB8_2036:                             ;   in Loop: Header=BB8_2033 Depth=2
	s_sleep 1
	s_trap 2
	ds_load_b64 v[10:11], v0
	s_wait_dscnt 0x0
	s_and_not1_b32 s26, s26, exec_lo
	v_cmp_ge_u64_e32 vcc_lo, v[10:11], v[80:81]
	s_or_not1_b32 s40, vcc_lo, exec_lo
	s_branch .LBB8_2032
.LBB8_2037:                             ;   in Loop: Header=BB8_1058 Depth=1
	s_or_b32 exec_lo, exec_lo, s24
	s_and_saveexec_b32 s24, s25
	s_delay_alu instid0(SALU_CYCLE_1)
	s_xor_b32 s24, exec_lo, s24
	s_cbranch_execz .LBB8_2039
; %bb.2038:                             ;   in Loop: Header=BB8_1058 Depth=1
	ds_store_b32 v0, v73
	s_trap 2
.LBB8_2039:                             ;   in Loop: Header=BB8_1058 Depth=1
	s_or_b32 exec_lo, exec_lo, s13
	;;#ASMSTART
	s_wakeup
	;;#ASMEND
.LBB8_2040:                             ;   in Loop: Header=BB8_1058 Depth=1
	s_or_b32 exec_lo, exec_lo, s12
.LBB8_2041:                             ;   in Loop: Header=BB8_1058 Depth=1
	s_and_not1_saveexec_b32 s11, s11
	s_cbranch_execz .LBB8_2043
; %bb.2042:                             ;   in Loop: Header=BB8_1058 Depth=1
	global_wb scope:SCOPE_DEV
	s_wait_storecnt 0x0
	s_wait_loadcnt_dscnt 0x0
	global_inv scope:SCOPE_DEV
	s_barrier_signal -1
	s_barrier_wait -1
.LBB8_2043:                             ;   in Loop: Header=BB8_1058 Depth=1
	s_or_b32 exec_lo, exec_lo, s11
.LBB8_2044:                             ;   in Loop: Header=BB8_1058 Depth=1
	s_delay_alu instid0(SALU_CYCLE_1) | instskip(SKIP_3) | instid1(VALU_DEP_1)
	s_or_b32 exec_lo, exec_lo, s7
	s_trap 2
	ds_load_b32 v10, v0
	v_sub_nc_u32_e32 v11, v40, v14
	v_min_i32_e32 v11, v41, v11
	s_delay_alu instid0(VALU_DEP_1) | instskip(SKIP_4) | instid1(VALU_DEP_1)
	v_cmp_lt_i32_e32 vcc_lo, 0, v11
	s_wait_dscnt 0x0
	v_readfirstlane_b32 s7, v10
	v_and_b32_e32 v10, 16, v30
	s_cmp_eq_u32 s7, 0
	v_cmp_ne_u32_e64 s7, 0, v10
	s_cselect_b32 s11, -1, 0
	s_delay_alu instid0(SALU_CYCLE_1) | instskip(NEXT) | instid1(SALU_CYCLE_1)
	s_and_b32 s11, vcc_lo, s11
	s_and_b32 s11, s7, s11
	s_delay_alu instid0(SALU_CYCLE_1)
	s_and_saveexec_b32 s7, s11
	s_cbranch_execz .LBB8_2046
; %bb.2045:                             ;   in Loop: Header=BB8_1058 Depth=1
	global_wb scope:SCOPE_SYS
	s_wait_loadcnt 0x0
	s_wait_storecnt 0x0
	global_inv scope:SCOPE_SYS
.LBB8_2046:                             ;   in Loop: Header=BB8_1058 Depth=1
	s_or_b32 exec_lo, exec_lo, s7
	v_and_b32_e32 v10, 32, v30
	s_mov_b32 s7, exec_lo
	s_delay_alu instid0(VALU_DEP_1)
	v_cmpx_ne_u32_e32 0, v10
	s_cbranch_execz .LBB8_1056
; %bb.2047:                             ;   in Loop: Header=BB8_1058 Depth=1
	v_add_nc_u64_e32 v[8:9], 1, v[8:9]
	global_wb scope:SCOPE_SYS
	s_wait_loadcnt 0x0
	s_wait_storecnt 0x0
	flat_store_b64 v[64:65], v[8:9] scope:SCOPE_SYS
	s_branch .LBB8_1056
.LBB8_2048:
	s_or_b32 exec_lo, exec_lo, s20
.LBB8_2049:
	s_delay_alu instid0(SALU_CYCLE_1)
	s_or_b32 exec_lo, exec_lo, s15
.LBB8_2050:
	s_delay_alu instid0(SALU_CYCLE_1)
	s_or_b32 exec_lo, exec_lo, s14
                                        ; implicit-def: $vgpr52_vgpr53
                                        ; implicit-def: $vgpr4_vgpr5
                                        ; implicit-def: $vgpr84_vgpr85
                                        ; implicit-def: $vgpr66
                                        ; implicit-def: $vgpr70_vgpr71
                                        ; implicit-def: $vgpr68_vgpr69
                                        ; implicit-def: $vgpr64_vgpr65
                                        ; implicit-def: $vgpr0
                                        ; implicit-def: $vgpr15
                                        ; implicit-def: $vgpr82_vgpr83
.LBB8_2051:
	s_and_not1_saveexec_b32 s11, s18
	s_cbranch_execz .LBB8_2844
; %bb.2052:
	v_mov_b64_e32 v[80:81], 0
	s_mov_b32 s12, exec_lo
	v_cmpx_ne_u64_e32 0, v[4:5]
	s_cbranch_execz .LBB8_2843
; %bb.2053:
	v_dual_mov_b32 v97, 0 :: v_dual_lshrrev_b32 v86, 5, v1
	v_dual_ashrrev_i32 v67, 31, v66 :: v_dual_bitop2_b32 v62, 31, v0 bitop3:0x40
	s_delay_alu instid0(VALU_DEP_2) | instskip(NEXT) | instid1(VALU_DEP_3)
	v_dual_lshlrev_b32 v63, 9, v86 :: v_dual_bitop2_b32 v10, 31, v31 bitop3:0x40
	v_dual_lshlrev_b32 v73, 6, v86 :: v_dual_mov_b32 v87, v97
	v_lshl_add_u32 v98, v86, 11, 0xfffff800
	s_delay_alu instid0(VALU_DEP_3) | instskip(NEXT) | instid1(VALU_DEP_4)
	v_cmp_eq_u32_e64 s4, 0, v10
	v_dual_mov_b32 v113, v97 :: v_dual_add_nc_u32 v100, 0xfffffe00, v63
	s_delay_alu instid0(VALU_DEP_4) | instskip(NEXT) | instid1(VALU_DEP_4)
	v_subrev_nc_u32_e32 v102, 64, v73
	v_dual_ashrrev_i32 v99, 31, v98 :: v_dual_lshrrev_b32 v74, 5, v0
	s_delay_alu instid0(VALU_DEP_3) | instskip(NEXT) | instid1(VALU_DEP_3)
	v_dual_lshlrev_b32 v10, 4, v62 :: v_dual_ashrrev_i32 v101, 31, v100
	v_dual_ashrrev_i32 v103, 31, v102 :: v_dual_mov_b32 v75, 1
	s_lshr_b32 s2, s17, 27
	v_cmp_eq_u32_e32 vcc_lo, 32, v1
	v_add_nc_u64_e32 v[114:115], 0x800, v[98:99]
	v_add_nc_u64_e32 v[116:117], 0x200, v[100:101]
	;; [unrolled: 1-line block ×3, first 2 shown]
	v_mov_b64_e32 v[40:41], 0
	s_wait_dscnt 0x1
	v_cmp_ne_u64_e64 s7, 0, v[84:85]
	v_mov_b64_e32 v[42:43], 0
	v_mov_b64_e32 v[80:81], 0
	v_cmp_ge_u32_e64 s1, v0, v1
	s_add_co_i32 s17, s17, s2
	v_cmp_ne_u32_e64 s2, 32, v1
	v_cmp_ne_u32_e64 s3, v1, v72
	v_cmp_eq_u32_e64 s5, 0, v62
	v_cmp_lt_u32_e64 s6, v62, v15
	v_lshl_or_b32 v112, v74, 11, v10
	s_ashr_i32 s14, s17, 5
	s_mov_b32 s13, 0
	s_xor_b32 s15, vcc_lo, -1
	s_trap 2
	s_branch .LBB8_2057
.LBB8_2054:                             ;   in Loop: Header=BB8_2057 Depth=1
	s_wait_xcnt 0x0
	s_or_b32 exec_lo, exec_lo, s17
	v_add_nc_u64_e32 v[8:9], 1, v[8:9]
	global_wb scope:SCOPE_SYS
	s_wait_storecnt 0x0
	s_wait_loadcnt_dscnt 0x0
	flat_store_b64 v[64:65], v[8:9] scope:SCOPE_SYS
.LBB8_2055:                             ;   in Loop: Header=BB8_2057 Depth=1
	s_wait_xcnt 0x0
	s_or_b32 exec_lo, exec_lo, s10
.LBB8_2056:                             ;   in Loop: Header=BB8_2057 Depth=1
	s_delay_alu instid0(SALU_CYCLE_1) | instskip(SKIP_1) | instid1(VALU_DEP_1)
	s_or_b32 exec_lo, exec_lo, s18
	v_add_nc_u64_e32 v[42:43], v[42:43], v[82:83]
	v_cmp_ge_u64_e32 vcc_lo, v[42:43], v[4:5]
	s_or_b32 s13, vcc_lo, s13
	s_delay_alu instid0(SALU_CYCLE_1)
	s_and_not1_b32 exec_lo, exec_lo, s13
	s_cbranch_execz .LBB8_2842
.LBB8_2057:                             ; =>This Loop Header: Depth=1
                                        ;     Child Loop BB8_2066 Depth 2
                                        ;     Child Loop BB8_2090 Depth 2
	;; [unrolled: 1-line block ×10, first 2 shown]
	v_sub_nc_u64_e32 v[10:11], v[4:5], v[42:43]
	s_delay_alu instid0(VALU_DEP_1) | instskip(NEXT) | instid1(VALU_DEP_1)
	v_min_u64 v[44:45], v[82:83], v[10:11]
	v_add_nc_u32_e32 v10, 15, v44
	s_delay_alu instid0(VALU_DEP_2) | instskip(NEXT) | instid1(VALU_DEP_2)
	v_cmp_eq_u64_e32 vcc_lo, 0, v[44:45]
	v_and_b32_e32 v10, 0x3ffffff0, v10
	s_or_b32 s17, s1, vcc_lo
	s_delay_alu instid0(SALU_CYCLE_1) | instskip(NEXT) | instid1(VALU_DEP_1)
	s_xor_b32 s10, s17, -1
	v_dual_mov_b32 v10, 0 :: v_dual_max_i32 v45, s14, v10
	s_and_saveexec_b32 s18, s10
	s_cbranch_execz .LBB8_2793
; %bb.2058:                             ;   in Loop: Header=BB8_2057 Depth=1
	s_and_saveexec_b32 s10, s0
	s_cbranch_execz .LBB8_2060
; %bb.2059:                             ;   in Loop: Header=BB8_2057 Depth=1
	s_trap 2
	ds_load_b64 v[10:11], v0
	s_wait_dscnt 0x0
	v_lshl_add_u64 v[10:11], v[52:53], 1, v[10:11]
	s_delay_alu instid0(VALU_DEP_1)
	v_lshl_add_u64 v[10:11], v[42:43], 1, v[10:11]
	ds_store_b64 v0, v[10:11]
	ds_store_b64 v0, v[40:41]
.LBB8_2060:                             ;   in Loop: Header=BB8_2057 Depth=1
	s_or_b32 exec_lo, exec_lo, s10
	v_and_b32_e32 v10, 8, v30
	v_min_u32_e32 v45, v45, v44
	s_mov_b32 s19, exec_lo
	s_delay_alu instid0(VALU_DEP_2)
	v_cmpx_ne_u32_e32 0, v10
	s_cbranch_execz .LBB8_2082
; %bb.2061:                             ;   in Loop: Header=BB8_2057 Depth=1
	s_wait_loadcnt 0x0
	v_add_nc_u64_e32 v[12:13], 8, v[70:71]
	s_wait_dscnt 0x0
	v_add_nc_u64_e32 v[10:11], 1, v[8:9]
	s_mov_b32 s20, exec_lo
	s_delay_alu instid0(VALU_DEP_1)
	v_cmpx_lt_u64_e64 v[12:13], v[10:11]
	s_cbranch_execz .LBB8_2073
; %bb.2062:                             ;   in Loop: Header=BB8_2057 Depth=1
	v_and_b32_e32 v9, 64, v30
	s_mov_b32 s21, 0
	s_mov_b32 s25, 0
                                        ; implicit-def: $sgpr22
                                        ; implicit-def: $sgpr23
                                        ; implicit-def: $sgpr24
	s_delay_alu instid0(VALU_DEP_1)
	v_cmp_eq_u32_e32 vcc_lo, 0, v9
	s_branch .LBB8_2066
.LBB8_2063:                             ;   in Loop: Header=BB8_2066 Depth=2
	s_wait_loadcnt_dscnt 0x0
	v_add_nc_u64_e32 v[12:13], 8, v[70:71]
	s_or_b32 s28, s28, exec_lo
	s_delay_alu instid0(VALU_DEP_1)
	v_cmp_ge_u64_e64 s10, v[12:13], v[10:11]
	s_or_not1_b32 s27, s10, exec_lo
.LBB8_2064:                             ;   in Loop: Header=BB8_2066 Depth=2
	s_or_b32 exec_lo, exec_lo, s40
	s_delay_alu instid0(SALU_CYCLE_1)
	s_and_not1_b32 s10, s24, exec_lo
	s_and_b32 s24, s28, exec_lo
	s_and_not1_b32 s23, s23, exec_lo
	s_and_b32 s27, s27, exec_lo
	s_or_b32 s24, s10, s24
	s_or_b32 s23, s23, s27
.LBB8_2065:                             ;   in Loop: Header=BB8_2066 Depth=2
	s_or_b32 exec_lo, exec_lo, s26
	s_delay_alu instid0(SALU_CYCLE_1) | instskip(NEXT) | instid1(SALU_CYCLE_1)
	s_and_b32 s10, exec_lo, s23
	s_or_b32 s21, s10, s21
	s_and_not1_b32 s10, s22, exec_lo
	s_and_b32 s22, s24, exec_lo
	s_delay_alu instid0(SALU_CYCLE_1)
	s_or_b32 s22, s10, s22
	s_and_not1_b32 exec_lo, exec_lo, s21
	s_cbranch_execz .LBB8_2070
.LBB8_2066:                             ;   Parent Loop BB8_2057 Depth=1
                                        ; =>  This Inner Loop Header: Depth=2
	s_sleep 1
	s_wait_loadcnt_dscnt 0x0
	flat_load_b64 v[70:71], v[64:65] scope:SCOPE_SYS
	s_or_b32 s24, s24, exec_lo
	s_or_b32 s23, s23, exec_lo
                                        ; implicit-def: $vgpr9
	s_wait_xcnt 0x0
	s_and_saveexec_b32 s26, vcc_lo
	s_cbranch_execz .LBB8_2065
; %bb.2067:                             ;   in Loop: Header=BB8_2066 Depth=2
	s_cmp_lt_i32 s25, 0x270f
	s_mov_b32 s27, -1
	s_cselect_b32 s29, -1, 0
	s_cmp_gt_i32 s25, 0x270e
	s_cbranch_scc0 .LBB8_2069
; %bb.2068:                             ;   in Loop: Header=BB8_2066 Depth=2
	s_trap 2
	ds_load_b64 v[12:13], v0
	s_and_not1_b32 s25, s29, exec_lo
	s_mov_b32 s28, 0
	s_wait_storecnt 0x0
	s_wait_loadcnt_dscnt 0x0
	flat_load_b32 v9, v[12:13] scope:SCOPE_SYS
	s_wait_loadcnt_dscnt 0x0
	global_inv scope:SCOPE_SYS
	v_cmp_eq_u32_e64 s10, 0, v9
	s_and_b32 s10, s10, exec_lo
	s_delay_alu instid0(SALU_CYCLE_1)
	s_or_b32 s29, s25, s10
	s_mov_b32 s25, 0
	s_wait_xcnt 0x0
	s_and_saveexec_b32 s40, s29
	s_cbranch_execz .LBB8_2064
	s_branch .LBB8_2063
.LBB8_2069:                             ;   in Loop: Header=BB8_2066 Depth=2
	s_add_co_i32 s25, s25, 1
	s_mov_b32 s28, -1
                                        ; implicit-def: $vgpr9
	s_and_saveexec_b32 s40, s29
	s_cbranch_execz .LBB8_2064
	s_branch .LBB8_2063
.LBB8_2070:                             ;   in Loop: Header=BB8_2057 Depth=1
	s_or_b32 exec_lo, exec_lo, s21
	s_xor_b32 s10, s22, -1
	s_delay_alu instid0(SALU_CYCLE_1) | instskip(NEXT) | instid1(SALU_CYCLE_1)
	s_and_saveexec_b32 s21, s10
	s_xor_b32 s10, exec_lo, s21
	s_cbranch_execz .LBB8_2072
; %bb.2071:                             ;   in Loop: Header=BB8_2057 Depth=1
	v_or_b32_e32 v30, 64, v30
	s_wait_storecnt 0x0
	s_wait_loadcnt_dscnt 0x0
	ds_store_b32 v0, v9
	s_trap 2
.LBB8_2072:                             ;   in Loop: Header=BB8_2057 Depth=1
	s_or_b32 exec_lo, exec_lo, s10
.LBB8_2073:                             ;   in Loop: Header=BB8_2057 Depth=1
	s_delay_alu instid0(SALU_CYCLE_1) | instskip(SKIP_4) | instid1(VALU_DEP_2)
	s_or_b32 exec_lo, exec_lo, s20
	v_and_b32_e32 v9, 0x100, v30
	v_and_b32_e32 v96, 7, v8
	s_mov_b32 s10, -1
	;;#ASMSTART
	s_wakeup
	;;#ASMEND
	v_cmp_ne_u32_e32 vcc_lo, 0, v9
                                        ; implicit-def: $vgpr8_vgpr9
	s_and_saveexec_b32 s20, vcc_lo
	s_cbranch_execz .LBB8_2077
; %bb.2074:                             ;   in Loop: Header=BB8_2057 Depth=1
	v_mad_nc_u64_u32 v[12:13], v96, 24, v[6:7]
	v_dual_mov_b32 v9, v97 :: v_dual_lshlrev_b32 v8, 1, v45
	s_mov_b32 s21, exec_lo
	s_clause 0x1
	flat_load_b32 v14, v[12:13]
	flat_store_b64 v[12:13], v[8:9] offset:8
                                        ; implicit-def: $vgpr8_vgpr9
	s_wait_loadcnt_dscnt 0x1
	v_cmp_ne_u32_e32 vcc_lo, 1, v14
	s_wait_xcnt 0x0
	v_cmpx_eq_u32_e32 1, v14
	s_cbranch_execz .LBB8_2076
; %bb.2075:                             ;   in Loop: Header=BB8_2057 Depth=1
	flat_load_b32 v8, v[12:13] offset:4 scope:SCOPE_SYS
	s_wait_loadcnt_dscnt 0x0
	v_ashrrev_i32_e32 v9, 31, v8
	s_delay_alu instid0(VALU_DEP_1)
	v_lshrrev_b64 v[8:9], 1, v[8:9]
.LBB8_2076:                             ;   in Loop: Header=BB8_2057 Depth=1
	s_wait_xcnt 0x0
	s_or_b32 exec_lo, exec_lo, s21
	s_delay_alu instid0(SALU_CYCLE_1)
	s_or_not1_b32 s10, vcc_lo, exec_lo
.LBB8_2077:                             ;   in Loop: Header=BB8_2057 Depth=1
	s_or_b32 exec_lo, exec_lo, s20
	s_and_saveexec_b32 s20, s10
; %bb.2078:                             ;   in Loop: Header=BB8_2057 Depth=1
	v_mul_u64_e32 v[8:9], v[96:97], v[66:67]
; %bb.2079:                             ;   in Loop: Header=BB8_2057 Depth=1
	s_or_b32 exec_lo, exec_lo, s20
	v_and_b32_e32 v12, 0x2000, v30
	s_delay_alu instid0(VALU_DEP_2)
	v_lshl_add_u64 v[8:9], v[8:9], 1, v[68:69]
	s_mov_b32 s10, exec_lo
	ds_store_b64 v0, v[8:9] offset:784
	v_cmpx_ne_u32_e32 0, v12
	s_cbranch_execz .LBB8_2081
; %bb.2080:                             ;   in Loop: Header=BB8_2057 Depth=1
	ds_load_b64 v[8:9], v0 offset:872
	s_wait_dscnt 0x0
	v_add_nc_u64_e32 v[8:9], 1, v[8:9]
	ds_store_b64 v0, v[8:9] offset:872
.LBB8_2081:                             ;   in Loop: Header=BB8_2057 Depth=1
	s_or_b32 exec_lo, exec_lo, s10
	v_mov_b64_e32 v[8:9], v[10:11]
.LBB8_2082:                             ;   in Loop: Header=BB8_2057 Depth=1
	s_or_b32 exec_lo, exec_lo, s19
	s_and_saveexec_b32 s10, s2
	s_cbranch_execz .LBB8_2101
; %bb.2083:                             ;   in Loop: Header=BB8_2057 Depth=1
	s_and_saveexec_b32 s19, s3
	s_delay_alu instid0(SALU_CYCLE_1)
	s_xor_b32 s19, exec_lo, s19
	s_cbranch_execz .LBB8_2098
; %bb.2084:                             ;   in Loop: Header=BB8_2057 Depth=1
	s_and_saveexec_b32 s20, s4
	s_cbranch_execz .LBB8_2097
; %bb.2085:                             ;   in Loop: Header=BB8_2057 Depth=1
	s_mov_b32 s22, exec_lo
	s_mov_b32 s21, exec_lo
	v_mbcnt_lo_u32_b32 v10, s22, 0
	global_wb scope:SCOPE_DEV
	s_wait_storecnt 0x0
	s_wait_loadcnt_dscnt 0x0
	global_inv scope:SCOPE_DEV
	v_cmpx_eq_u32_e32 0, v10
	s_cbranch_execz .LBB8_2087
; %bb.2086:                             ;   in Loop: Header=BB8_2057 Depth=1
	s_bcnt1_i32_b32 s22, s22
	s_delay_alu instid0(SALU_CYCLE_1)
	v_mov_b32_e32 v96, s22
	s_wait_loadcnt 0x0
	ds_add_u64 v0, v[96:97]
	s_trap 2
.LBB8_2087:                             ;   in Loop: Header=BB8_2057 Depth=1
	s_or_b32 exec_lo, exec_lo, s21
	s_trap 2
	ds_load_b64 v[10:11], v0
	s_wait_dscnt 0x0
	v_add_nc_u64_e32 v[80:81], v[80:81], v[86:87]
	s_mov_b32 s21, exec_lo
	s_delay_alu instid0(VALU_DEP_1)
	v_cmpx_lt_u64_e64 v[10:11], v[80:81]
	s_cbranch_execz .LBB8_2096
; %bb.2088:                             ;   in Loop: Header=BB8_2057 Depth=1
	s_mov_b32 s22, 0
	s_mov_b32 s25, 0
                                        ; implicit-def: $sgpr23
                                        ; implicit-def: $sgpr24
	s_branch .LBB8_2090
.LBB8_2089:                             ;   in Loop: Header=BB8_2090 Depth=2
	s_or_b32 exec_lo, exec_lo, s27
	s_delay_alu instid0(SALU_CYCLE_1) | instskip(NEXT) | instid1(SALU_CYCLE_1)
	s_and_b32 s26, exec_lo, s28
	s_or_b32 s22, s26, s22
	s_and_not1_b32 s23, s23, exec_lo
	s_and_b32 s26, s24, exec_lo
	s_delay_alu instid0(SALU_CYCLE_1)
	s_or_b32 s23, s23, s26
	s_and_not1_b32 exec_lo, exec_lo, s22
	s_cbranch_execz .LBB8_2094
.LBB8_2090:                             ;   Parent Loop BB8_2057 Depth=1
                                        ; =>  This Inner Loop Header: Depth=2
	s_add_co_i32 s25, s25, 1
	s_delay_alu instid0(SALU_CYCLE_1) | instskip(SKIP_1) | instid1(SALU_CYCLE_1)
	s_cmp_lg_u32 s25, 0x2710
	s_cselect_b32 s26, -1, 0
	s_and_b32 vcc_lo, exec_lo, s26
	s_cbranch_vccz .LBB8_2092
; %bb.2091:                             ;   in Loop: Header=BB8_2090 Depth=2
	s_mov_b32 s28, -1
	s_or_b32 s24, s24, exec_lo
	s_and_saveexec_b32 s27, s26
	s_cbranch_execz .LBB8_2089
	s_branch .LBB8_2093
.LBB8_2092:                             ;   in Loop: Header=BB8_2090 Depth=2
	s_trap 2
	ds_load_b64 v[10:11], v0
	s_and_not1_b32 s26, s26, exec_lo
	s_mov_b32 s25, 0
	s_wait_loadcnt_dscnt 0x0
	flat_load_b32 v10, v[10:11] scope:SCOPE_SYS
	s_wait_loadcnt_dscnt 0x0
	global_inv scope:SCOPE_SYS
	v_cmp_eq_u32_e32 vcc_lo, 0, v10
	s_and_b32 s27, vcc_lo, exec_lo
	s_delay_alu instid0(SALU_CYCLE_1)
	s_or_b32 s26, s26, s27
	s_mov_b32 s28, -1
	s_or_b32 s24, s24, exec_lo
	s_wait_xcnt 0x0
	s_and_saveexec_b32 s27, s26
	s_cbranch_execz .LBB8_2089
.LBB8_2093:                             ;   in Loop: Header=BB8_2090 Depth=2
	s_sleep 1
	s_trap 2
	ds_load_b64 v[10:11], v0
	s_wait_dscnt 0x0
	s_and_not1_b32 s24, s24, exec_lo
	v_cmp_ge_u64_e32 vcc_lo, v[10:11], v[80:81]
	s_or_not1_b32 s28, vcc_lo, exec_lo
	s_branch .LBB8_2089
.LBB8_2094:                             ;   in Loop: Header=BB8_2057 Depth=1
	s_or_b32 exec_lo, exec_lo, s22
	s_and_saveexec_b32 s22, s23
	s_delay_alu instid0(SALU_CYCLE_1)
	s_xor_b32 s22, exec_lo, s22
	s_cbranch_execz .LBB8_2096
; %bb.2095:                             ;   in Loop: Header=BB8_2057 Depth=1
	ds_store_b32 v0, v75
	s_trap 2
.LBB8_2096:                             ;   in Loop: Header=BB8_2057 Depth=1
	s_or_b32 exec_lo, exec_lo, s21
	;;#ASMSTART
	s_wakeup
	;;#ASMEND
.LBB8_2097:                             ;   in Loop: Header=BB8_2057 Depth=1
	s_or_b32 exec_lo, exec_lo, s20
.LBB8_2098:                             ;   in Loop: Header=BB8_2057 Depth=1
	s_and_not1_saveexec_b32 s19, s19
	s_cbranch_execz .LBB8_2100
; %bb.2099:                             ;   in Loop: Header=BB8_2057 Depth=1
	global_wb scope:SCOPE_DEV
	s_wait_storecnt 0x0
	s_wait_loadcnt_dscnt 0x0
	global_inv scope:SCOPE_DEV
	s_barrier_signal -1
	s_barrier_wait -1
.LBB8_2100:                             ;   in Loop: Header=BB8_2057 Depth=1
	s_or_b32 exec_lo, exec_lo, s19
.LBB8_2101:                             ;   in Loop: Header=BB8_2057 Depth=1
	s_delay_alu instid0(SALU_CYCLE_1) | instskip(SKIP_3) | instid1(VALU_DEP_1)
	s_or_b32 exec_lo, exec_lo, s10
	s_trap 2
	ds_load_b32 v10, v0
	v_and_b32_e32 v11, 0x4000, v30
	v_cmp_ne_u32_e32 vcc_lo, 0, v11
	s_and_b32 s19, s15, vcc_lo
	s_delay_alu instid0(SALU_CYCLE_1)
	s_and_saveexec_b32 s10, s19
	s_cbranch_execz .LBB8_2120
; %bb.2102:                             ;   in Loop: Header=BB8_2057 Depth=1
	s_and_saveexec_b32 s19, s3
	s_delay_alu instid0(SALU_CYCLE_1)
	s_xor_b32 s19, exec_lo, s19
	s_cbranch_execz .LBB8_2117
; %bb.2103:                             ;   in Loop: Header=BB8_2057 Depth=1
	s_and_saveexec_b32 s20, s4
	s_cbranch_execz .LBB8_2116
; %bb.2104:                             ;   in Loop: Header=BB8_2057 Depth=1
	s_mov_b32 s22, exec_lo
	s_mov_b32 s21, exec_lo
	v_mbcnt_lo_u32_b32 v11, s22, 0
	global_wb scope:SCOPE_DEV
	s_wait_storecnt 0x0
	s_wait_loadcnt_dscnt 0x0
	global_inv scope:SCOPE_DEV
	v_cmpx_eq_u32_e32 0, v11
	s_cbranch_execz .LBB8_2106
; %bb.2105:                             ;   in Loop: Header=BB8_2057 Depth=1
	s_bcnt1_i32_b32 s22, s22
	s_delay_alu instid0(SALU_CYCLE_1)
	v_mov_b32_e32 v96, s22
	s_wait_loadcnt 0x0
	ds_add_u64 v0, v[96:97]
	s_trap 2
.LBB8_2106:                             ;   in Loop: Header=BB8_2057 Depth=1
	s_or_b32 exec_lo, exec_lo, s21
	s_trap 2
	ds_load_b64 v[12:13], v0
	s_wait_dscnt 0x0
	v_add_nc_u64_e32 v[80:81], v[80:81], v[86:87]
	s_mov_b32 s21, exec_lo
	s_delay_alu instid0(VALU_DEP_1)
	v_cmpx_lt_u64_e64 v[12:13], v[80:81]
	s_cbranch_execz .LBB8_2115
; %bb.2107:                             ;   in Loop: Header=BB8_2057 Depth=1
	s_mov_b32 s22, 0
	s_mov_b32 s25, 0
                                        ; implicit-def: $sgpr23
                                        ; implicit-def: $sgpr24
	s_branch .LBB8_2109
.LBB8_2108:                             ;   in Loop: Header=BB8_2109 Depth=2
	s_or_b32 exec_lo, exec_lo, s27
	s_delay_alu instid0(SALU_CYCLE_1) | instskip(NEXT) | instid1(SALU_CYCLE_1)
	s_and_b32 s26, exec_lo, s28
	s_or_b32 s22, s26, s22
	s_and_not1_b32 s23, s23, exec_lo
	s_and_b32 s26, s24, exec_lo
	s_delay_alu instid0(SALU_CYCLE_1)
	s_or_b32 s23, s23, s26
	s_and_not1_b32 exec_lo, exec_lo, s22
	s_cbranch_execz .LBB8_2113
.LBB8_2109:                             ;   Parent Loop BB8_2057 Depth=1
                                        ; =>  This Inner Loop Header: Depth=2
	s_add_co_i32 s25, s25, 1
	s_delay_alu instid0(SALU_CYCLE_1) | instskip(SKIP_1) | instid1(SALU_CYCLE_1)
	s_cmp_lg_u32 s25, 0x2710
	s_cselect_b32 s26, -1, 0
	s_and_b32 vcc_lo, exec_lo, s26
	s_cbranch_vccz .LBB8_2111
; %bb.2110:                             ;   in Loop: Header=BB8_2109 Depth=2
	s_mov_b32 s28, -1
	s_or_b32 s24, s24, exec_lo
	s_and_saveexec_b32 s27, s26
	s_cbranch_execz .LBB8_2108
	s_branch .LBB8_2112
.LBB8_2111:                             ;   in Loop: Header=BB8_2109 Depth=2
	s_trap 2
	ds_load_b64 v[12:13], v0
	s_and_not1_b32 s26, s26, exec_lo
	s_mov_b32 s25, 0
	s_wait_loadcnt_dscnt 0x0
	flat_load_b32 v11, v[12:13] scope:SCOPE_SYS
	s_wait_loadcnt_dscnt 0x0
	global_inv scope:SCOPE_SYS
	v_cmp_eq_u32_e32 vcc_lo, 0, v11
	s_and_b32 s27, vcc_lo, exec_lo
	s_delay_alu instid0(SALU_CYCLE_1)
	s_or_b32 s26, s26, s27
	s_mov_b32 s28, -1
	s_or_b32 s24, s24, exec_lo
	s_wait_xcnt 0x0
	s_and_saveexec_b32 s27, s26
	s_cbranch_execz .LBB8_2108
.LBB8_2112:                             ;   in Loop: Header=BB8_2109 Depth=2
	s_sleep 1
	s_trap 2
	ds_load_b64 v[12:13], v0
	s_wait_dscnt 0x0
	s_and_not1_b32 s24, s24, exec_lo
	v_cmp_ge_u64_e32 vcc_lo, v[12:13], v[80:81]
	s_or_not1_b32 s28, vcc_lo, exec_lo
	s_branch .LBB8_2108
.LBB8_2113:                             ;   in Loop: Header=BB8_2057 Depth=1
	s_or_b32 exec_lo, exec_lo, s22
	s_and_saveexec_b32 s22, s23
	s_delay_alu instid0(SALU_CYCLE_1)
	s_xor_b32 s22, exec_lo, s22
	s_cbranch_execz .LBB8_2115
; %bb.2114:                             ;   in Loop: Header=BB8_2057 Depth=1
	ds_store_b32 v0, v75
	s_trap 2
.LBB8_2115:                             ;   in Loop: Header=BB8_2057 Depth=1
	s_or_b32 exec_lo, exec_lo, s21
	;;#ASMSTART
	s_wakeup
	;;#ASMEND
.LBB8_2116:                             ;   in Loop: Header=BB8_2057 Depth=1
	s_or_b32 exec_lo, exec_lo, s20
.LBB8_2117:                             ;   in Loop: Header=BB8_2057 Depth=1
	s_and_not1_saveexec_b32 s19, s19
	s_cbranch_execz .LBB8_2119
; %bb.2118:                             ;   in Loop: Header=BB8_2057 Depth=1
	global_wb scope:SCOPE_DEV
	s_wait_storecnt 0x0
	s_wait_loadcnt_dscnt 0x0
	global_inv scope:SCOPE_DEV
	s_barrier_signal -1
	s_barrier_wait -1
.LBB8_2119:                             ;   in Loop: Header=BB8_2057 Depth=1
	s_or_b32 exec_lo, exec_lo, s19
.LBB8_2120:                             ;   in Loop: Header=BB8_2057 Depth=1
	s_delay_alu instid0(SALU_CYCLE_1)
	s_or_b32 exec_lo, exec_lo, s10
	s_trap 2
	ds_load_b64 v[46:47], v0
	s_wait_dscnt 0x0
	v_cmp_eq_u64_e32 vcc_lo, 0, v[46:47]
	s_cbranch_vccnz .LBB8_2128
; %bb.2121:                             ;   in Loop: Header=BB8_2057 Depth=1
	s_trap 2
	ds_load_b64 v[56:57], v0
	s_wait_dscnt 0x0
	v_cmp_eq_u64_e32 vcc_lo, 0, v[56:57]
	s_cbranch_vccnz .LBB8_2128
; %bb.2122:                             ;   in Loop: Header=BB8_2057 Depth=1
	s_mov_b32 s10, -1
	s_and_saveexec_b32 s19, s5
	s_cbranch_execz .LBB8_2124
; %bb.2123:                             ;   in Loop: Header=BB8_2057 Depth=1
	ds_load_b32 v11, v0 offset:720
	s_wait_dscnt 0x0
	v_and_b32_e32 v11, 15, v11
	s_delay_alu instid0(VALU_DEP_1)
	v_cmp_eq_u32_e32 vcc_lo, 0, v11
	s_or_not1_b32 s10, vcc_lo, exec_lo
.LBB8_2124:                             ;   in Loop: Header=BB8_2057 Depth=1
	s_or_b32 exec_lo, exec_lo, s19
	s_and_saveexec_b32 s19, s6
	s_cbranch_execz .LBB8_2126
; %bb.2125:                             ;   in Loop: Header=BB8_2057 Depth=1
	ds_load_b32 v11, v0 offset:784
	s_wait_dscnt 0x0
	v_and_b32_e32 v11, 15, v11
	s_delay_alu instid0(VALU_DEP_1) | instskip(SKIP_3) | instid1(SALU_CYCLE_1)
	v_cmp_eq_u32_e32 vcc_lo, 0, v11
	s_and_b32 s20, s10, vcc_lo
	s_and_not1_b32 s10, s10, exec_lo
	s_and_b32 s20, s20, exec_lo
	s_or_b32 s10, s10, s20
.LBB8_2126:                             ;   in Loop: Header=BB8_2057 Depth=1
	s_or_b32 exec_lo, exec_lo, s19
	s_xor_b32 s10, s10, -1
	s_mov_b32 s20, -1
	v_cndmask_b32_e64 v11, 0, 1, s10
	v_cmp_eq_u32_e64 s10, 0, v10
	s_delay_alu instid0(VALU_DEP_2)
	v_cmp_ne_u32_e32 vcc_lo, 0, v11
	s_cbranch_vccz .LBB8_2129
; %bb.2127:                             ;   in Loop: Header=BB8_2057 Depth=1
	s_mov_b32 s20, 0
	s_mov_b32 s19, -1
	s_branch .LBB8_2130
.LBB8_2128:                             ;   in Loop: Header=BB8_2057 Depth=1
	s_mov_b32 s10, 0
	s_and_saveexec_b32 s19, s2
	s_cbranch_execnz .LBB8_2768
	s_branch .LBB8_2786
.LBB8_2129:                             ;   in Loop: Header=BB8_2057 Depth=1
	s_mov_b32 s19, 0
.LBB8_2130:                             ;   in Loop: Header=BB8_2057 Depth=1
	v_dual_cndmask_b32 v96, 0, v45, s10 :: v_dual_mov_b32 v14, 0
	s_and_not1_b32 vcc_lo, exec_lo, s20
	s_delay_alu instid0(VALU_DEP_1)
	v_lshlrev_b32_e32 v76, 1, v96
	s_cbranch_vccnz .LBB8_2394
; %bb.2131:                             ;   in Loop: Header=BB8_2057 Depth=1
	v_lshrrev_b32_e32 v77, 10, v96
	v_add_nc_u64_e32 v[58:59], v[56:57], v[112:113]
	s_mov_b32 s20, 0
	s_mov_b32 s10, exec_lo
                                        ; implicit-def: $vgpr32_vgpr33
                                        ; implicit-def: $vgpr18_vgpr19
                                        ; implicit-def: $vgpr14_vgpr15
                                        ; implicit-def: $vgpr10_vgpr11
	s_delay_alu instid0(VALU_DEP_2) | instskip(NEXT) | instid1(VALU_DEP_1)
	v_sub_nc_u32_e32 v78, v77, v74
	v_cmpx_lt_i32_e32 0, v78
	s_cbranch_execz .LBB8_2396
; %bb.2132:                             ;   in Loop: Header=BB8_2057 Depth=1
	s_trap 2
	ds_load_b32 v10, v0
	v_add_nc_u64_e32 v[60:61], v[46:47], v[112:113]
	s_mov_b32 s22, 0
                                        ; implicit-def: $sgpr21
                                        ; implicit-def: $vgpr32_vgpr33
                                        ; implicit-def: $vgpr18_vgpr19
                                        ; implicit-def: $vgpr14_vgpr15
	s_wait_dscnt 0x0
	v_lshlrev_b32_e32 v79, 16, v10
                                        ; implicit-def: $vgpr10_vgpr11
	s_branch .LBB8_2134
.LBB8_2133:                             ;   in Loop: Header=BB8_2134 Depth=2
	s_or_b32 exec_lo, exec_lo, s23
	v_dual_lshrrev_b32 v89, 16, v89 :: v_dual_lshrrev_b32 v88, 16, v88
	v_dual_lshrrev_b32 v93, 16, v93 :: v_dual_lshrrev_b32 v92, 16, v92
	v_lshrrev_b32_e32 v90, 16, v90
	s_delay_alu instid0(VALU_DEP_3)
	v_and_or_b32 v49, 0xffff0000, v49, v89
	v_lshrrev_b32_e32 v89, 16, v91
	v_and_or_b32 v48, 0xffff0000, v48, v88
	v_dual_lshrrev_b32 v88, 16, v109 :: v_dual_lshrrev_b32 v94, 16, v94
	v_and_or_b32 v36, 0xffff0000, v36, v92
	v_lshrrev_b32_e32 v92, 16, v95
	v_and_or_b32 v50, 0xffff0000, v50, v90
	v_lshrrev_b32_e32 v90, 16, v108
	v_and_or_b32 v51, 0xffff0000, v51, v89
	v_and_or_b32 v23, 0xffff0000, v23, v88
	v_cndmask_b32_e64 v88, 0, v86, s22
	v_and_or_b32 v37, 0xffff0000, v37, v93
	v_and_or_b32 v38, 0xffff0000, v38, v94
	;; [unrolled: 1-line block ×3, first 2 shown]
	v_dual_lshrrev_b32 v105, 16, v105 :: v_dual_lshrrev_b32 v104, 16, v104
	v_dual_lshrrev_b32 v106, 16, v106 :: v_dual_lshrrev_b32 v107, 16, v107
	;; [unrolled: 1-line block ×3, first 2 shown]
	s_clause 0x1
	global_store_b128 v[58:59], v[48:51], off th:TH_STORE_NT
	global_store_b128 v[58:59], v[36:39], off offset:512 th:TH_STORE_NT
	s_wait_xcnt 0x0
	v_dual_cndmask_b32 v37, 0, v99, s22 :: v_dual_sub_nc_u32 v78, v78, v88
	v_cndmask_b32_e64 v36, 0, v98, s22
	v_and_or_b32 v27, 0xffff0000, v27, v105
	v_and_or_b32 v26, 0xffff0000, v26, v104
	;; [unrolled: 1-line block ×4, first 2 shown]
	v_cndmask_b32_e64 v39, 0, v115, s22
	v_cndmask_b32_e64 v38, 0x800, v114, s22
	v_and_or_b32 v22, 0xffff0000, v22, v90
	v_and_or_b32 v24, 0xffff0000, v24, v89
	;; [unrolled: 1-line block ×3, first 2 shown]
	v_cmp_gt_i32_e32 vcc_lo, 1, v78
	s_clause 0x1
	global_store_b128 v[58:59], v[26:29], off offset:1024 th:TH_STORE_NT
	global_store_b128 v[58:59], v[22:25], off offset:1536 th:TH_STORE_NT
	v_add_nc_u64_e32 v[60:61], v[60:61], v[36:37]
	s_wait_xcnt 0x0
	v_add_nc_u64_e32 v[58:59], v[58:59], v[38:39]
	s_or_b32 s20, vcc_lo, s20
	s_and_not1_b32 s21, s21, exec_lo
	s_and_b32 s23, s22, exec_lo
	s_delay_alu instid0(SALU_CYCLE_1)
	s_or_b32 s21, s21, s23
	s_and_not1_b32 exec_lo, exec_lo, s20
	s_cbranch_execz .LBB8_2395
.LBB8_2134:                             ;   Parent Loop BB8_2057 Depth=1
                                        ; =>  This Inner Loop Header: Depth=2
	s_clause 0x3
	global_load_b128 v[48:51], v[60:61], off th:TH_LOAD_NT
	global_load_b128 v[36:39], v[60:61], off offset:512 th:TH_LOAD_NT
	global_load_b128 v[26:29], v[60:61], off offset:1024 th:TH_LOAD_NT
	;; [unrolled: 1-line block ×3, first 2 shown]
	s_wait_xcnt 0x0
	s_and_saveexec_b32 s23, s22
	s_cbranch_execz .LBB8_2264
; %bb.2135:                             ;   in Loop: Header=BB8_2134 Depth=2
	v_lshlrev_b32_e32 v88, 16, v32
	s_delay_alu instid0(VALU_DEP_1) | instskip(NEXT) | instid1(VALU_DEP_1)
	v_mul_f32_e32 v89, v79, v88
	v_and_b32_e32 v88, 0x7f800000, v89
	s_delay_alu instid0(VALU_DEP_1) | instskip(SKIP_1) | instid1(SALU_CYCLE_1)
	v_cmp_ne_u32_e32 vcc_lo, 0x7f800000, v88
                                        ; implicit-def: $vgpr88
	s_and_saveexec_b32 s22, vcc_lo
	s_xor_b32 s22, exec_lo, s22
; %bb.2136:                             ;   in Loop: Header=BB8_2134 Depth=2
	v_bfe_u32 v88, v89, 16, 1
	s_delay_alu instid0(VALU_DEP_1)
	v_add3_u32 v88, v89, v88, 0x7fff
                                        ; implicit-def: $vgpr89
; %bb.2137:                             ;   in Loop: Header=BB8_2134 Depth=2
	s_and_not1_saveexec_b32 s22, s22
; %bb.2138:                             ;   in Loop: Header=BB8_2134 Depth=2
	v_and_b32_e32 v88, 0xffff, v89
	v_or_b32_e32 v90, 0x10000, v89
	s_delay_alu instid0(VALU_DEP_2) | instskip(NEXT) | instid1(VALU_DEP_2)
	v_cmp_eq_u32_e32 vcc_lo, 0, v88
	v_cndmask_b32_e32 v88, v90, v89, vcc_lo
; %bb.2139:                             ;   in Loop: Header=BB8_2134 Depth=2
	s_or_b32 exec_lo, exec_lo, s22
	v_and_b32_e32 v32, 0xffff0000, v32
	s_delay_alu instid0(VALU_DEP_1) | instskip(NEXT) | instid1(VALU_DEP_1)
	v_mul_f32_e32 v89, v79, v32
	v_and_b32_e32 v32, 0x7f800000, v89
	s_delay_alu instid0(VALU_DEP_1) | instskip(SKIP_1) | instid1(SALU_CYCLE_1)
	v_cmp_ne_u32_e32 vcc_lo, 0x7f800000, v32
                                        ; implicit-def: $vgpr32
	s_and_saveexec_b32 s22, vcc_lo
	s_xor_b32 s22, exec_lo, s22
; %bb.2140:                             ;   in Loop: Header=BB8_2134 Depth=2
	v_bfe_u32 v32, v89, 16, 1
	s_delay_alu instid0(VALU_DEP_1)
	v_add3_u32 v32, v89, v32, 0x7fff
                                        ; implicit-def: $vgpr89
; %bb.2141:                             ;   in Loop: Header=BB8_2134 Depth=2
	s_and_not1_saveexec_b32 s22, s22
; %bb.2142:                             ;   in Loop: Header=BB8_2134 Depth=2
	v_and_b32_e32 v32, 0xffff, v89
	v_or_b32_e32 v90, 0x10000, v89
	s_delay_alu instid0(VALU_DEP_2) | instskip(NEXT) | instid1(VALU_DEP_2)
	v_cmp_eq_u32_e32 vcc_lo, 0, v32
	v_cndmask_b32_e32 v32, v90, v89, vcc_lo
; %bb.2143:                             ;   in Loop: Header=BB8_2134 Depth=2
	s_or_b32 exec_lo, exec_lo, s22
	v_lshlrev_b32_e32 v89, 16, v33
	s_delay_alu instid0(VALU_DEP_1) | instskip(NEXT) | instid1(VALU_DEP_1)
	v_mul_f32_e32 v90, v79, v89
	v_and_b32_e32 v89, 0x7f800000, v90
	s_delay_alu instid0(VALU_DEP_1) | instskip(SKIP_1) | instid1(SALU_CYCLE_1)
	v_cmp_ne_u32_e32 vcc_lo, 0x7f800000, v89
                                        ; implicit-def: $vgpr89
	s_and_saveexec_b32 s22, vcc_lo
	s_xor_b32 s22, exec_lo, s22
; %bb.2144:                             ;   in Loop: Header=BB8_2134 Depth=2
	v_bfe_u32 v89, v90, 16, 1
	s_delay_alu instid0(VALU_DEP_1)
	v_add3_u32 v89, v90, v89, 0x7fff
                                        ; implicit-def: $vgpr90
; %bb.2145:                             ;   in Loop: Header=BB8_2134 Depth=2
	s_and_not1_saveexec_b32 s22, s22
; %bb.2146:                             ;   in Loop: Header=BB8_2134 Depth=2
	v_and_b32_e32 v89, 0xffff, v90
	v_or_b32_e32 v91, 0x10000, v90
	s_delay_alu instid0(VALU_DEP_2) | instskip(NEXT) | instid1(VALU_DEP_2)
	v_cmp_eq_u32_e32 vcc_lo, 0, v89
	v_cndmask_b32_e32 v89, v91, v90, vcc_lo
; %bb.2147:                             ;   in Loop: Header=BB8_2134 Depth=2
	s_or_b32 exec_lo, exec_lo, s22
	v_and_b32_e32 v33, 0xffff0000, v33
	s_delay_alu instid0(VALU_DEP_1) | instskip(NEXT) | instid1(VALU_DEP_1)
	v_mul_f32_e32 v90, v79, v33
	v_and_b32_e32 v33, 0x7f800000, v90
	s_delay_alu instid0(VALU_DEP_1) | instskip(SKIP_1) | instid1(SALU_CYCLE_1)
	v_cmp_ne_u32_e32 vcc_lo, 0x7f800000, v33
                                        ; implicit-def: $vgpr33
	s_and_saveexec_b32 s22, vcc_lo
	s_xor_b32 s22, exec_lo, s22
; %bb.2148:                             ;   in Loop: Header=BB8_2134 Depth=2
	v_bfe_u32 v33, v90, 16, 1
	s_delay_alu instid0(VALU_DEP_1)
	v_add3_u32 v33, v90, v33, 0x7fff
                                        ; implicit-def: $vgpr90
; %bb.2149:                             ;   in Loop: Header=BB8_2134 Depth=2
	s_and_not1_saveexec_b32 s22, s22
; %bb.2150:                             ;   in Loop: Header=BB8_2134 Depth=2
	v_and_b32_e32 v33, 0xffff, v90
	v_or_b32_e32 v91, 0x10000, v90
	s_delay_alu instid0(VALU_DEP_2) | instskip(NEXT) | instid1(VALU_DEP_2)
	v_cmp_eq_u32_e32 vcc_lo, 0, v33
	v_cndmask_b32_e32 v33, v91, v90, vcc_lo
; %bb.2151:                             ;   in Loop: Header=BB8_2134 Depth=2
	s_or_b32 exec_lo, exec_lo, s22
	v_lshlrev_b32_e32 v90, 16, v34
	s_delay_alu instid0(VALU_DEP_1) | instskip(NEXT) | instid1(VALU_DEP_1)
	v_mul_f32_e32 v91, v79, v90
	v_and_b32_e32 v90, 0x7f800000, v91
	s_delay_alu instid0(VALU_DEP_1) | instskip(SKIP_1) | instid1(SALU_CYCLE_1)
	v_cmp_ne_u32_e32 vcc_lo, 0x7f800000, v90
                                        ; implicit-def: $vgpr90
	s_and_saveexec_b32 s22, vcc_lo
	s_xor_b32 s22, exec_lo, s22
; %bb.2152:                             ;   in Loop: Header=BB8_2134 Depth=2
	v_bfe_u32 v90, v91, 16, 1
	s_delay_alu instid0(VALU_DEP_1)
	v_add3_u32 v90, v91, v90, 0x7fff
                                        ; implicit-def: $vgpr91
; %bb.2153:                             ;   in Loop: Header=BB8_2134 Depth=2
	s_and_not1_saveexec_b32 s22, s22
; %bb.2154:                             ;   in Loop: Header=BB8_2134 Depth=2
	v_and_b32_e32 v90, 0xffff, v91
	v_or_b32_e32 v92, 0x10000, v91
	s_delay_alu instid0(VALU_DEP_2) | instskip(NEXT) | instid1(VALU_DEP_2)
	v_cmp_eq_u32_e32 vcc_lo, 0, v90
	v_cndmask_b32_e32 v90, v92, v91, vcc_lo
; %bb.2155:                             ;   in Loop: Header=BB8_2134 Depth=2
	s_or_b32 exec_lo, exec_lo, s22
	v_and_b32_e32 v34, 0xffff0000, v34
	s_delay_alu instid0(VALU_DEP_1) | instskip(NEXT) | instid1(VALU_DEP_1)
	v_mul_f32_e32 v91, v79, v34
	v_and_b32_e32 v34, 0x7f800000, v91
	s_delay_alu instid0(VALU_DEP_1) | instskip(SKIP_1) | instid1(SALU_CYCLE_1)
	v_cmp_ne_u32_e32 vcc_lo, 0x7f800000, v34
                                        ; implicit-def: $vgpr34
	s_and_saveexec_b32 s22, vcc_lo
	s_xor_b32 s22, exec_lo, s22
; %bb.2156:                             ;   in Loop: Header=BB8_2134 Depth=2
	v_bfe_u32 v34, v91, 16, 1
	s_delay_alu instid0(VALU_DEP_1)
	v_add3_u32 v34, v91, v34, 0x7fff
                                        ; implicit-def: $vgpr91
; %bb.2157:                             ;   in Loop: Header=BB8_2134 Depth=2
	s_and_not1_saveexec_b32 s22, s22
; %bb.2158:                             ;   in Loop: Header=BB8_2134 Depth=2
	v_and_b32_e32 v34, 0xffff, v91
	v_or_b32_e32 v92, 0x10000, v91
	s_delay_alu instid0(VALU_DEP_2) | instskip(NEXT) | instid1(VALU_DEP_2)
	v_cmp_eq_u32_e32 vcc_lo, 0, v34
	v_cndmask_b32_e32 v34, v92, v91, vcc_lo
; %bb.2159:                             ;   in Loop: Header=BB8_2134 Depth=2
	s_or_b32 exec_lo, exec_lo, s22
	v_lshlrev_b32_e32 v91, 16, v35
	s_delay_alu instid0(VALU_DEP_1) | instskip(NEXT) | instid1(VALU_DEP_1)
	v_mul_f32_e32 v92, v79, v91
	v_and_b32_e32 v91, 0x7f800000, v92
	s_delay_alu instid0(VALU_DEP_1) | instskip(SKIP_1) | instid1(SALU_CYCLE_1)
	v_cmp_ne_u32_e32 vcc_lo, 0x7f800000, v91
                                        ; implicit-def: $vgpr91
	s_and_saveexec_b32 s22, vcc_lo
	s_xor_b32 s22, exec_lo, s22
; %bb.2160:                             ;   in Loop: Header=BB8_2134 Depth=2
	v_bfe_u32 v91, v92, 16, 1
	s_delay_alu instid0(VALU_DEP_1)
	v_add3_u32 v91, v92, v91, 0x7fff
                                        ; implicit-def: $vgpr92
; %bb.2161:                             ;   in Loop: Header=BB8_2134 Depth=2
	s_and_not1_saveexec_b32 s22, s22
; %bb.2162:                             ;   in Loop: Header=BB8_2134 Depth=2
	v_and_b32_e32 v91, 0xffff, v92
	v_or_b32_e32 v93, 0x10000, v92
	s_delay_alu instid0(VALU_DEP_2) | instskip(NEXT) | instid1(VALU_DEP_2)
	v_cmp_eq_u32_e32 vcc_lo, 0, v91
	v_cndmask_b32_e32 v91, v93, v92, vcc_lo
; %bb.2163:                             ;   in Loop: Header=BB8_2134 Depth=2
	s_or_b32 exec_lo, exec_lo, s22
	v_and_b32_e32 v35, 0xffff0000, v35
	s_delay_alu instid0(VALU_DEP_1) | instskip(NEXT) | instid1(VALU_DEP_1)
	v_mul_f32_e32 v92, v79, v35
	v_and_b32_e32 v35, 0x7f800000, v92
	s_delay_alu instid0(VALU_DEP_1) | instskip(SKIP_1) | instid1(SALU_CYCLE_1)
	v_cmp_ne_u32_e32 vcc_lo, 0x7f800000, v35
                                        ; implicit-def: $vgpr35
	s_and_saveexec_b32 s22, vcc_lo
	s_xor_b32 s22, exec_lo, s22
; %bb.2164:                             ;   in Loop: Header=BB8_2134 Depth=2
	v_bfe_u32 v35, v92, 16, 1
	s_delay_alu instid0(VALU_DEP_1)
	v_add3_u32 v35, v92, v35, 0x7fff
                                        ; implicit-def: $vgpr92
; %bb.2165:                             ;   in Loop: Header=BB8_2134 Depth=2
	s_and_not1_saveexec_b32 s22, s22
; %bb.2166:                             ;   in Loop: Header=BB8_2134 Depth=2
	v_and_b32_e32 v35, 0xffff, v92
	v_or_b32_e32 v93, 0x10000, v92
	s_delay_alu instid0(VALU_DEP_2) | instskip(NEXT) | instid1(VALU_DEP_2)
	v_cmp_eq_u32_e32 vcc_lo, 0, v35
	v_cndmask_b32_e32 v35, v93, v92, vcc_lo
; %bb.2167:                             ;   in Loop: Header=BB8_2134 Depth=2
	s_or_b32 exec_lo, exec_lo, s22
	v_lshlrev_b32_e32 v92, 16, v18
	s_delay_alu instid0(VALU_DEP_1) | instskip(NEXT) | instid1(VALU_DEP_1)
	v_mul_f32_e32 v93, v79, v92
	v_and_b32_e32 v92, 0x7f800000, v93
	s_delay_alu instid0(VALU_DEP_1) | instskip(SKIP_1) | instid1(SALU_CYCLE_1)
	v_cmp_ne_u32_e32 vcc_lo, 0x7f800000, v92
                                        ; implicit-def: $vgpr92
	s_and_saveexec_b32 s22, vcc_lo
	s_xor_b32 s22, exec_lo, s22
; %bb.2168:                             ;   in Loop: Header=BB8_2134 Depth=2
	v_bfe_u32 v92, v93, 16, 1
	s_delay_alu instid0(VALU_DEP_1)
	v_add3_u32 v92, v93, v92, 0x7fff
                                        ; implicit-def: $vgpr93
; %bb.2169:                             ;   in Loop: Header=BB8_2134 Depth=2
	s_and_not1_saveexec_b32 s22, s22
; %bb.2170:                             ;   in Loop: Header=BB8_2134 Depth=2
	v_and_b32_e32 v92, 0xffff, v93
	v_or_b32_e32 v94, 0x10000, v93
	s_delay_alu instid0(VALU_DEP_2) | instskip(NEXT) | instid1(VALU_DEP_2)
	v_cmp_eq_u32_e32 vcc_lo, 0, v92
	v_cndmask_b32_e32 v92, v94, v93, vcc_lo
; %bb.2171:                             ;   in Loop: Header=BB8_2134 Depth=2
	s_or_b32 exec_lo, exec_lo, s22
	v_and_b32_e32 v18, 0xffff0000, v18
	s_delay_alu instid0(VALU_DEP_1) | instskip(NEXT) | instid1(VALU_DEP_1)
	v_mul_f32_e32 v93, v79, v18
	v_and_b32_e32 v18, 0x7f800000, v93
	s_delay_alu instid0(VALU_DEP_1) | instskip(SKIP_1) | instid1(SALU_CYCLE_1)
	v_cmp_ne_u32_e32 vcc_lo, 0x7f800000, v18
                                        ; implicit-def: $vgpr18
	s_and_saveexec_b32 s22, vcc_lo
	s_xor_b32 s22, exec_lo, s22
; %bb.2172:                             ;   in Loop: Header=BB8_2134 Depth=2
	v_bfe_u32 v18, v93, 16, 1
	s_delay_alu instid0(VALU_DEP_1)
	v_add3_u32 v18, v93, v18, 0x7fff
                                        ; implicit-def: $vgpr93
; %bb.2173:                             ;   in Loop: Header=BB8_2134 Depth=2
	s_and_not1_saveexec_b32 s22, s22
; %bb.2174:                             ;   in Loop: Header=BB8_2134 Depth=2
	v_and_b32_e32 v18, 0xffff, v93
	v_or_b32_e32 v94, 0x10000, v93
	s_delay_alu instid0(VALU_DEP_2) | instskip(NEXT) | instid1(VALU_DEP_2)
	v_cmp_eq_u32_e32 vcc_lo, 0, v18
	v_cndmask_b32_e32 v18, v94, v93, vcc_lo
; %bb.2175:                             ;   in Loop: Header=BB8_2134 Depth=2
	s_or_b32 exec_lo, exec_lo, s22
	v_lshlrev_b32_e32 v93, 16, v19
	s_delay_alu instid0(VALU_DEP_1) | instskip(NEXT) | instid1(VALU_DEP_1)
	v_mul_f32_e32 v94, v79, v93
	v_and_b32_e32 v93, 0x7f800000, v94
	s_delay_alu instid0(VALU_DEP_1) | instskip(SKIP_1) | instid1(SALU_CYCLE_1)
	v_cmp_ne_u32_e32 vcc_lo, 0x7f800000, v93
                                        ; implicit-def: $vgpr93
	s_and_saveexec_b32 s22, vcc_lo
	s_xor_b32 s22, exec_lo, s22
; %bb.2176:                             ;   in Loop: Header=BB8_2134 Depth=2
	v_bfe_u32 v93, v94, 16, 1
	s_delay_alu instid0(VALU_DEP_1)
	v_add3_u32 v93, v94, v93, 0x7fff
                                        ; implicit-def: $vgpr94
; %bb.2177:                             ;   in Loop: Header=BB8_2134 Depth=2
	s_and_not1_saveexec_b32 s22, s22
; %bb.2178:                             ;   in Loop: Header=BB8_2134 Depth=2
	v_and_b32_e32 v93, 0xffff, v94
	v_or_b32_e32 v95, 0x10000, v94
	s_delay_alu instid0(VALU_DEP_2) | instskip(NEXT) | instid1(VALU_DEP_2)
	v_cmp_eq_u32_e32 vcc_lo, 0, v93
	v_cndmask_b32_e32 v93, v95, v94, vcc_lo
; %bb.2179:                             ;   in Loop: Header=BB8_2134 Depth=2
	s_or_b32 exec_lo, exec_lo, s22
	v_and_b32_e32 v19, 0xffff0000, v19
	s_delay_alu instid0(VALU_DEP_1) | instskip(NEXT) | instid1(VALU_DEP_1)
	v_mul_f32_e32 v94, v79, v19
	v_and_b32_e32 v19, 0x7f800000, v94
	s_delay_alu instid0(VALU_DEP_1) | instskip(SKIP_1) | instid1(SALU_CYCLE_1)
	v_cmp_ne_u32_e32 vcc_lo, 0x7f800000, v19
                                        ; implicit-def: $vgpr19
	s_and_saveexec_b32 s22, vcc_lo
	s_xor_b32 s22, exec_lo, s22
; %bb.2180:                             ;   in Loop: Header=BB8_2134 Depth=2
	v_bfe_u32 v19, v94, 16, 1
	s_delay_alu instid0(VALU_DEP_1)
	v_add3_u32 v19, v94, v19, 0x7fff
                                        ; implicit-def: $vgpr94
; %bb.2181:                             ;   in Loop: Header=BB8_2134 Depth=2
	s_and_not1_saveexec_b32 s22, s22
; %bb.2182:                             ;   in Loop: Header=BB8_2134 Depth=2
	v_and_b32_e32 v19, 0xffff, v94
	v_or_b32_e32 v95, 0x10000, v94
	s_delay_alu instid0(VALU_DEP_2) | instskip(NEXT) | instid1(VALU_DEP_2)
	v_cmp_eq_u32_e32 vcc_lo, 0, v19
	v_cndmask_b32_e32 v19, v95, v94, vcc_lo
; %bb.2183:                             ;   in Loop: Header=BB8_2134 Depth=2
	s_or_b32 exec_lo, exec_lo, s22
	v_lshlrev_b32_e32 v94, 16, v20
	s_delay_alu instid0(VALU_DEP_1) | instskip(NEXT) | instid1(VALU_DEP_1)
	v_mul_f32_e32 v95, v79, v94
	v_and_b32_e32 v94, 0x7f800000, v95
	s_delay_alu instid0(VALU_DEP_1) | instskip(SKIP_1) | instid1(SALU_CYCLE_1)
	v_cmp_ne_u32_e32 vcc_lo, 0x7f800000, v94
                                        ; implicit-def: $vgpr94
	s_and_saveexec_b32 s22, vcc_lo
	s_xor_b32 s22, exec_lo, s22
; %bb.2184:                             ;   in Loop: Header=BB8_2134 Depth=2
	v_bfe_u32 v94, v95, 16, 1
	s_delay_alu instid0(VALU_DEP_1)
	v_add3_u32 v94, v95, v94, 0x7fff
                                        ; implicit-def: $vgpr95
; %bb.2185:                             ;   in Loop: Header=BB8_2134 Depth=2
	s_and_not1_saveexec_b32 s22, s22
; %bb.2186:                             ;   in Loop: Header=BB8_2134 Depth=2
	v_and_b32_e32 v94, 0xffff, v95
	v_or_b32_e32 v104, 0x10000, v95
	s_delay_alu instid0(VALU_DEP_2) | instskip(NEXT) | instid1(VALU_DEP_2)
	v_cmp_eq_u32_e32 vcc_lo, 0, v94
	v_cndmask_b32_e32 v94, v104, v95, vcc_lo
; %bb.2187:                             ;   in Loop: Header=BB8_2134 Depth=2
	s_or_b32 exec_lo, exec_lo, s22
	v_and_b32_e32 v20, 0xffff0000, v20
	s_delay_alu instid0(VALU_DEP_1) | instskip(NEXT) | instid1(VALU_DEP_1)
	v_mul_f32_e32 v95, v79, v20
	v_and_b32_e32 v20, 0x7f800000, v95
	s_delay_alu instid0(VALU_DEP_1) | instskip(SKIP_1) | instid1(SALU_CYCLE_1)
	v_cmp_ne_u32_e32 vcc_lo, 0x7f800000, v20
                                        ; implicit-def: $vgpr20
	s_and_saveexec_b32 s22, vcc_lo
	s_xor_b32 s22, exec_lo, s22
; %bb.2188:                             ;   in Loop: Header=BB8_2134 Depth=2
	v_bfe_u32 v20, v95, 16, 1
	s_delay_alu instid0(VALU_DEP_1)
	v_add3_u32 v20, v95, v20, 0x7fff
                                        ; implicit-def: $vgpr95
; %bb.2189:                             ;   in Loop: Header=BB8_2134 Depth=2
	s_and_not1_saveexec_b32 s22, s22
; %bb.2190:                             ;   in Loop: Header=BB8_2134 Depth=2
	v_and_b32_e32 v20, 0xffff, v95
	v_or_b32_e32 v104, 0x10000, v95
	s_delay_alu instid0(VALU_DEP_2) | instskip(NEXT) | instid1(VALU_DEP_2)
	v_cmp_eq_u32_e32 vcc_lo, 0, v20
	v_cndmask_b32_e32 v20, v104, v95, vcc_lo
; %bb.2191:                             ;   in Loop: Header=BB8_2134 Depth=2
	s_or_b32 exec_lo, exec_lo, s22
	v_lshlrev_b32_e32 v95, 16, v21
	s_delay_alu instid0(VALU_DEP_1) | instskip(NEXT) | instid1(VALU_DEP_1)
	v_mul_f32_e32 v104, v79, v95
	v_and_b32_e32 v95, 0x7f800000, v104
	s_delay_alu instid0(VALU_DEP_1) | instskip(SKIP_1) | instid1(SALU_CYCLE_1)
	v_cmp_ne_u32_e32 vcc_lo, 0x7f800000, v95
                                        ; implicit-def: $vgpr95
	s_and_saveexec_b32 s22, vcc_lo
	s_xor_b32 s22, exec_lo, s22
; %bb.2192:                             ;   in Loop: Header=BB8_2134 Depth=2
	v_bfe_u32 v95, v104, 16, 1
	s_delay_alu instid0(VALU_DEP_1)
	v_add3_u32 v95, v104, v95, 0x7fff
                                        ; implicit-def: $vgpr104
; %bb.2193:                             ;   in Loop: Header=BB8_2134 Depth=2
	s_and_not1_saveexec_b32 s22, s22
; %bb.2194:                             ;   in Loop: Header=BB8_2134 Depth=2
	v_and_b32_e32 v95, 0xffff, v104
	v_or_b32_e32 v105, 0x10000, v104
	s_delay_alu instid0(VALU_DEP_2) | instskip(NEXT) | instid1(VALU_DEP_2)
	v_cmp_eq_u32_e32 vcc_lo, 0, v95
	v_cndmask_b32_e32 v95, v105, v104, vcc_lo
; %bb.2195:                             ;   in Loop: Header=BB8_2134 Depth=2
	s_or_b32 exec_lo, exec_lo, s22
	v_and_b32_e32 v21, 0xffff0000, v21
	s_delay_alu instid0(VALU_DEP_1) | instskip(NEXT) | instid1(VALU_DEP_1)
	v_mul_f32_e32 v104, v79, v21
	v_and_b32_e32 v21, 0x7f800000, v104
	s_delay_alu instid0(VALU_DEP_1) | instskip(SKIP_1) | instid1(SALU_CYCLE_1)
	v_cmp_ne_u32_e32 vcc_lo, 0x7f800000, v21
                                        ; implicit-def: $vgpr21
	s_and_saveexec_b32 s22, vcc_lo
	s_xor_b32 s22, exec_lo, s22
; %bb.2196:                             ;   in Loop: Header=BB8_2134 Depth=2
	v_bfe_u32 v21, v104, 16, 1
	s_delay_alu instid0(VALU_DEP_1)
	v_add3_u32 v21, v104, v21, 0x7fff
                                        ; implicit-def: $vgpr104
; %bb.2197:                             ;   in Loop: Header=BB8_2134 Depth=2
	s_and_not1_saveexec_b32 s22, s22
; %bb.2198:                             ;   in Loop: Header=BB8_2134 Depth=2
	v_and_b32_e32 v21, 0xffff, v104
	v_or_b32_e32 v105, 0x10000, v104
	s_delay_alu instid0(VALU_DEP_2) | instskip(NEXT) | instid1(VALU_DEP_2)
	v_cmp_eq_u32_e32 vcc_lo, 0, v21
	v_cndmask_b32_e32 v21, v105, v104, vcc_lo
; %bb.2199:                             ;   in Loop: Header=BB8_2134 Depth=2
	s_or_b32 exec_lo, exec_lo, s22
	v_lshlrev_b32_e32 v104, 16, v14
	s_delay_alu instid0(VALU_DEP_1) | instskip(NEXT) | instid1(VALU_DEP_1)
	v_mul_f32_e32 v105, v79, v104
	v_and_b32_e32 v104, 0x7f800000, v105
	s_delay_alu instid0(VALU_DEP_1) | instskip(SKIP_1) | instid1(SALU_CYCLE_1)
	v_cmp_ne_u32_e32 vcc_lo, 0x7f800000, v104
                                        ; implicit-def: $vgpr104
	s_and_saveexec_b32 s22, vcc_lo
	s_xor_b32 s22, exec_lo, s22
; %bb.2200:                             ;   in Loop: Header=BB8_2134 Depth=2
	v_bfe_u32 v104, v105, 16, 1
	s_delay_alu instid0(VALU_DEP_1)
	v_add3_u32 v104, v105, v104, 0x7fff
                                        ; implicit-def: $vgpr105
; %bb.2201:                             ;   in Loop: Header=BB8_2134 Depth=2
	s_and_not1_saveexec_b32 s22, s22
; %bb.2202:                             ;   in Loop: Header=BB8_2134 Depth=2
	v_and_b32_e32 v104, 0xffff, v105
	v_or_b32_e32 v106, 0x10000, v105
	s_delay_alu instid0(VALU_DEP_2) | instskip(NEXT) | instid1(VALU_DEP_2)
	v_cmp_eq_u32_e32 vcc_lo, 0, v104
	v_cndmask_b32_e32 v104, v106, v105, vcc_lo
; %bb.2203:                             ;   in Loop: Header=BB8_2134 Depth=2
	s_or_b32 exec_lo, exec_lo, s22
	v_and_b32_e32 v14, 0xffff0000, v14
	s_delay_alu instid0(VALU_DEP_1) | instskip(NEXT) | instid1(VALU_DEP_1)
	v_mul_f32_e32 v105, v79, v14
	v_and_b32_e32 v14, 0x7f800000, v105
	s_delay_alu instid0(VALU_DEP_1) | instskip(SKIP_1) | instid1(SALU_CYCLE_1)
	v_cmp_ne_u32_e32 vcc_lo, 0x7f800000, v14
                                        ; implicit-def: $vgpr14
	s_and_saveexec_b32 s22, vcc_lo
	s_xor_b32 s22, exec_lo, s22
; %bb.2204:                             ;   in Loop: Header=BB8_2134 Depth=2
	v_bfe_u32 v14, v105, 16, 1
	s_delay_alu instid0(VALU_DEP_1)
	v_add3_u32 v14, v105, v14, 0x7fff
                                        ; implicit-def: $vgpr105
; %bb.2205:                             ;   in Loop: Header=BB8_2134 Depth=2
	s_and_not1_saveexec_b32 s22, s22
; %bb.2206:                             ;   in Loop: Header=BB8_2134 Depth=2
	v_and_b32_e32 v14, 0xffff, v105
	v_or_b32_e32 v106, 0x10000, v105
	s_delay_alu instid0(VALU_DEP_2) | instskip(NEXT) | instid1(VALU_DEP_2)
	v_cmp_eq_u32_e32 vcc_lo, 0, v14
	v_cndmask_b32_e32 v14, v106, v105, vcc_lo
; %bb.2207:                             ;   in Loop: Header=BB8_2134 Depth=2
	s_or_b32 exec_lo, exec_lo, s22
	v_lshlrev_b32_e32 v105, 16, v15
	s_delay_alu instid0(VALU_DEP_1) | instskip(NEXT) | instid1(VALU_DEP_1)
	v_mul_f32_e32 v106, v79, v105
	v_and_b32_e32 v105, 0x7f800000, v106
	s_delay_alu instid0(VALU_DEP_1) | instskip(SKIP_1) | instid1(SALU_CYCLE_1)
	v_cmp_ne_u32_e32 vcc_lo, 0x7f800000, v105
                                        ; implicit-def: $vgpr105
	s_and_saveexec_b32 s22, vcc_lo
	s_xor_b32 s22, exec_lo, s22
; %bb.2208:                             ;   in Loop: Header=BB8_2134 Depth=2
	v_bfe_u32 v105, v106, 16, 1
	s_delay_alu instid0(VALU_DEP_1)
	v_add3_u32 v105, v106, v105, 0x7fff
                                        ; implicit-def: $vgpr106
; %bb.2209:                             ;   in Loop: Header=BB8_2134 Depth=2
	s_and_not1_saveexec_b32 s22, s22
; %bb.2210:                             ;   in Loop: Header=BB8_2134 Depth=2
	v_and_b32_e32 v105, 0xffff, v106
	v_or_b32_e32 v107, 0x10000, v106
	s_delay_alu instid0(VALU_DEP_2) | instskip(NEXT) | instid1(VALU_DEP_2)
	v_cmp_eq_u32_e32 vcc_lo, 0, v105
	v_cndmask_b32_e32 v105, v107, v106, vcc_lo
; %bb.2211:                             ;   in Loop: Header=BB8_2134 Depth=2
	s_or_b32 exec_lo, exec_lo, s22
	v_and_b32_e32 v15, 0xffff0000, v15
	s_delay_alu instid0(VALU_DEP_1) | instskip(NEXT) | instid1(VALU_DEP_1)
	v_mul_f32_e32 v106, v79, v15
	v_and_b32_e32 v15, 0x7f800000, v106
	s_delay_alu instid0(VALU_DEP_1) | instskip(SKIP_1) | instid1(SALU_CYCLE_1)
	v_cmp_ne_u32_e32 vcc_lo, 0x7f800000, v15
                                        ; implicit-def: $vgpr15
	s_and_saveexec_b32 s22, vcc_lo
	s_xor_b32 s22, exec_lo, s22
; %bb.2212:                             ;   in Loop: Header=BB8_2134 Depth=2
	v_bfe_u32 v15, v106, 16, 1
	s_delay_alu instid0(VALU_DEP_1)
	v_add3_u32 v15, v106, v15, 0x7fff
                                        ; implicit-def: $vgpr106
; %bb.2213:                             ;   in Loop: Header=BB8_2134 Depth=2
	s_and_not1_saveexec_b32 s22, s22
; %bb.2214:                             ;   in Loop: Header=BB8_2134 Depth=2
	v_and_b32_e32 v15, 0xffff, v106
	v_or_b32_e32 v107, 0x10000, v106
	s_delay_alu instid0(VALU_DEP_2) | instskip(NEXT) | instid1(VALU_DEP_2)
	v_cmp_eq_u32_e32 vcc_lo, 0, v15
	v_cndmask_b32_e32 v15, v107, v106, vcc_lo
; %bb.2215:                             ;   in Loop: Header=BB8_2134 Depth=2
	s_or_b32 exec_lo, exec_lo, s22
	v_lshlrev_b32_e32 v106, 16, v16
	s_delay_alu instid0(VALU_DEP_1) | instskip(NEXT) | instid1(VALU_DEP_1)
	v_mul_f32_e32 v107, v79, v106
	v_and_b32_e32 v106, 0x7f800000, v107
	s_delay_alu instid0(VALU_DEP_1) | instskip(SKIP_1) | instid1(SALU_CYCLE_1)
	v_cmp_ne_u32_e32 vcc_lo, 0x7f800000, v106
                                        ; implicit-def: $vgpr106
	s_and_saveexec_b32 s22, vcc_lo
	s_xor_b32 s22, exec_lo, s22
; %bb.2216:                             ;   in Loop: Header=BB8_2134 Depth=2
	v_bfe_u32 v106, v107, 16, 1
	s_delay_alu instid0(VALU_DEP_1)
	v_add3_u32 v106, v107, v106, 0x7fff
                                        ; implicit-def: $vgpr107
; %bb.2217:                             ;   in Loop: Header=BB8_2134 Depth=2
	s_and_not1_saveexec_b32 s22, s22
; %bb.2218:                             ;   in Loop: Header=BB8_2134 Depth=2
	v_and_b32_e32 v106, 0xffff, v107
	v_or_b32_e32 v108, 0x10000, v107
	s_delay_alu instid0(VALU_DEP_2) | instskip(NEXT) | instid1(VALU_DEP_2)
	v_cmp_eq_u32_e32 vcc_lo, 0, v106
	v_cndmask_b32_e32 v106, v108, v107, vcc_lo
; %bb.2219:                             ;   in Loop: Header=BB8_2134 Depth=2
	s_or_b32 exec_lo, exec_lo, s22
	v_and_b32_e32 v16, 0xffff0000, v16
	s_delay_alu instid0(VALU_DEP_1) | instskip(NEXT) | instid1(VALU_DEP_1)
	v_mul_f32_e32 v107, v79, v16
	v_and_b32_e32 v16, 0x7f800000, v107
	s_delay_alu instid0(VALU_DEP_1) | instskip(SKIP_1) | instid1(SALU_CYCLE_1)
	v_cmp_ne_u32_e32 vcc_lo, 0x7f800000, v16
                                        ; implicit-def: $vgpr16
	s_and_saveexec_b32 s22, vcc_lo
	s_xor_b32 s22, exec_lo, s22
; %bb.2220:                             ;   in Loop: Header=BB8_2134 Depth=2
	v_bfe_u32 v16, v107, 16, 1
	s_delay_alu instid0(VALU_DEP_1)
	v_add3_u32 v16, v107, v16, 0x7fff
                                        ; implicit-def: $vgpr107
; %bb.2221:                             ;   in Loop: Header=BB8_2134 Depth=2
	s_and_not1_saveexec_b32 s22, s22
; %bb.2222:                             ;   in Loop: Header=BB8_2134 Depth=2
	v_and_b32_e32 v16, 0xffff, v107
	v_or_b32_e32 v108, 0x10000, v107
	s_delay_alu instid0(VALU_DEP_2) | instskip(NEXT) | instid1(VALU_DEP_2)
	v_cmp_eq_u32_e32 vcc_lo, 0, v16
	v_cndmask_b32_e32 v16, v108, v107, vcc_lo
; %bb.2223:                             ;   in Loop: Header=BB8_2134 Depth=2
	s_or_b32 exec_lo, exec_lo, s22
	v_lshlrev_b32_e32 v107, 16, v17
	s_delay_alu instid0(VALU_DEP_1) | instskip(NEXT) | instid1(VALU_DEP_1)
	v_mul_f32_e32 v108, v79, v107
	v_and_b32_e32 v107, 0x7f800000, v108
	s_delay_alu instid0(VALU_DEP_1) | instskip(SKIP_1) | instid1(SALU_CYCLE_1)
	v_cmp_ne_u32_e32 vcc_lo, 0x7f800000, v107
                                        ; implicit-def: $vgpr107
	s_and_saveexec_b32 s22, vcc_lo
	s_xor_b32 s22, exec_lo, s22
; %bb.2224:                             ;   in Loop: Header=BB8_2134 Depth=2
	v_bfe_u32 v107, v108, 16, 1
	s_delay_alu instid0(VALU_DEP_1)
	v_add3_u32 v107, v108, v107, 0x7fff
                                        ; implicit-def: $vgpr108
; %bb.2225:                             ;   in Loop: Header=BB8_2134 Depth=2
	s_and_not1_saveexec_b32 s22, s22
; %bb.2226:                             ;   in Loop: Header=BB8_2134 Depth=2
	v_and_b32_e32 v107, 0xffff, v108
	v_or_b32_e32 v109, 0x10000, v108
	s_delay_alu instid0(VALU_DEP_2) | instskip(NEXT) | instid1(VALU_DEP_2)
	v_cmp_eq_u32_e32 vcc_lo, 0, v107
	v_cndmask_b32_e32 v107, v109, v108, vcc_lo
; %bb.2227:                             ;   in Loop: Header=BB8_2134 Depth=2
	s_or_b32 exec_lo, exec_lo, s22
	v_and_b32_e32 v17, 0xffff0000, v17
	s_delay_alu instid0(VALU_DEP_1) | instskip(NEXT) | instid1(VALU_DEP_1)
	v_mul_f32_e32 v108, v79, v17
	v_and_b32_e32 v17, 0x7f800000, v108
	s_delay_alu instid0(VALU_DEP_1) | instskip(SKIP_1) | instid1(SALU_CYCLE_1)
	v_cmp_ne_u32_e32 vcc_lo, 0x7f800000, v17
                                        ; implicit-def: $vgpr17
	s_and_saveexec_b32 s22, vcc_lo
	s_xor_b32 s22, exec_lo, s22
; %bb.2228:                             ;   in Loop: Header=BB8_2134 Depth=2
	v_bfe_u32 v17, v108, 16, 1
	s_delay_alu instid0(VALU_DEP_1)
	v_add3_u32 v17, v108, v17, 0x7fff
                                        ; implicit-def: $vgpr108
; %bb.2229:                             ;   in Loop: Header=BB8_2134 Depth=2
	s_and_not1_saveexec_b32 s22, s22
; %bb.2230:                             ;   in Loop: Header=BB8_2134 Depth=2
	v_and_b32_e32 v17, 0xffff, v108
	v_or_b32_e32 v109, 0x10000, v108
	s_delay_alu instid0(VALU_DEP_2) | instskip(NEXT) | instid1(VALU_DEP_2)
	v_cmp_eq_u32_e32 vcc_lo, 0, v17
	v_cndmask_b32_e32 v17, v109, v108, vcc_lo
; %bb.2231:                             ;   in Loop: Header=BB8_2134 Depth=2
	s_or_b32 exec_lo, exec_lo, s22
	v_lshlrev_b32_e32 v108, 16, v10
	s_delay_alu instid0(VALU_DEP_1) | instskip(NEXT) | instid1(VALU_DEP_1)
	v_mul_f32_e32 v109, v79, v108
	v_and_b32_e32 v108, 0x7f800000, v109
	s_delay_alu instid0(VALU_DEP_1) | instskip(SKIP_1) | instid1(SALU_CYCLE_1)
	v_cmp_ne_u32_e32 vcc_lo, 0x7f800000, v108
                                        ; implicit-def: $vgpr108
	s_and_saveexec_b32 s22, vcc_lo
	s_xor_b32 s22, exec_lo, s22
; %bb.2232:                             ;   in Loop: Header=BB8_2134 Depth=2
	v_bfe_u32 v108, v109, 16, 1
	s_delay_alu instid0(VALU_DEP_1)
	v_add3_u32 v108, v109, v108, 0x7fff
                                        ; implicit-def: $vgpr109
; %bb.2233:                             ;   in Loop: Header=BB8_2134 Depth=2
	s_and_not1_saveexec_b32 s22, s22
; %bb.2234:                             ;   in Loop: Header=BB8_2134 Depth=2
	v_and_b32_e32 v108, 0xffff, v109
	v_or_b32_e32 v110, 0x10000, v109
	s_delay_alu instid0(VALU_DEP_2) | instskip(NEXT) | instid1(VALU_DEP_2)
	v_cmp_eq_u32_e32 vcc_lo, 0, v108
	v_cndmask_b32_e32 v108, v110, v109, vcc_lo
; %bb.2235:                             ;   in Loop: Header=BB8_2134 Depth=2
	s_or_b32 exec_lo, exec_lo, s22
	v_and_b32_e32 v10, 0xffff0000, v10
	s_delay_alu instid0(VALU_DEP_1) | instskip(NEXT) | instid1(VALU_DEP_1)
	v_mul_f32_e32 v109, v79, v10
	v_and_b32_e32 v10, 0x7f800000, v109
	s_delay_alu instid0(VALU_DEP_1) | instskip(SKIP_1) | instid1(SALU_CYCLE_1)
	v_cmp_ne_u32_e32 vcc_lo, 0x7f800000, v10
                                        ; implicit-def: $vgpr10
	s_and_saveexec_b32 s22, vcc_lo
	s_xor_b32 s22, exec_lo, s22
; %bb.2236:                             ;   in Loop: Header=BB8_2134 Depth=2
	v_bfe_u32 v10, v109, 16, 1
	s_delay_alu instid0(VALU_DEP_1)
	v_add3_u32 v10, v109, v10, 0x7fff
                                        ; implicit-def: $vgpr109
; %bb.2237:                             ;   in Loop: Header=BB8_2134 Depth=2
	s_and_not1_saveexec_b32 s22, s22
; %bb.2238:                             ;   in Loop: Header=BB8_2134 Depth=2
	v_and_b32_e32 v10, 0xffff, v109
	v_or_b32_e32 v110, 0x10000, v109
	s_delay_alu instid0(VALU_DEP_2) | instskip(NEXT) | instid1(VALU_DEP_2)
	v_cmp_eq_u32_e32 vcc_lo, 0, v10
	v_cndmask_b32_e32 v10, v110, v109, vcc_lo
; %bb.2239:                             ;   in Loop: Header=BB8_2134 Depth=2
	s_or_b32 exec_lo, exec_lo, s22
	v_lshlrev_b32_e32 v109, 16, v11
	s_delay_alu instid0(VALU_DEP_1) | instskip(NEXT) | instid1(VALU_DEP_1)
	v_mul_f32_e32 v110, v79, v109
	v_and_b32_e32 v109, 0x7f800000, v110
	s_delay_alu instid0(VALU_DEP_1) | instskip(SKIP_1) | instid1(SALU_CYCLE_1)
	v_cmp_ne_u32_e32 vcc_lo, 0x7f800000, v109
                                        ; implicit-def: $vgpr109
	s_and_saveexec_b32 s22, vcc_lo
	s_xor_b32 s22, exec_lo, s22
; %bb.2240:                             ;   in Loop: Header=BB8_2134 Depth=2
	v_bfe_u32 v109, v110, 16, 1
	s_delay_alu instid0(VALU_DEP_1)
	v_add3_u32 v109, v110, v109, 0x7fff
                                        ; implicit-def: $vgpr110
; %bb.2241:                             ;   in Loop: Header=BB8_2134 Depth=2
	s_and_not1_saveexec_b32 s22, s22
; %bb.2242:                             ;   in Loop: Header=BB8_2134 Depth=2
	v_and_b32_e32 v109, 0xffff, v110
	v_or_b32_e32 v111, 0x10000, v110
	s_delay_alu instid0(VALU_DEP_2) | instskip(NEXT) | instid1(VALU_DEP_2)
	v_cmp_eq_u32_e32 vcc_lo, 0, v109
	v_cndmask_b32_e32 v109, v111, v110, vcc_lo
; %bb.2243:                             ;   in Loop: Header=BB8_2134 Depth=2
	s_or_b32 exec_lo, exec_lo, s22
	v_and_b32_e32 v11, 0xffff0000, v11
	s_delay_alu instid0(VALU_DEP_1) | instskip(NEXT) | instid1(VALU_DEP_1)
	v_mul_f32_e32 v110, v79, v11
	v_and_b32_e32 v11, 0x7f800000, v110
	s_delay_alu instid0(VALU_DEP_1) | instskip(SKIP_1) | instid1(SALU_CYCLE_1)
	v_cmp_ne_u32_e32 vcc_lo, 0x7f800000, v11
                                        ; implicit-def: $vgpr11
	s_and_saveexec_b32 s22, vcc_lo
	s_xor_b32 s22, exec_lo, s22
; %bb.2244:                             ;   in Loop: Header=BB8_2134 Depth=2
	v_bfe_u32 v11, v110, 16, 1
	s_delay_alu instid0(VALU_DEP_1)
	v_add3_u32 v11, v110, v11, 0x7fff
                                        ; implicit-def: $vgpr110
; %bb.2245:                             ;   in Loop: Header=BB8_2134 Depth=2
	s_and_not1_saveexec_b32 s22, s22
; %bb.2246:                             ;   in Loop: Header=BB8_2134 Depth=2
	v_and_b32_e32 v11, 0xffff, v110
	v_or_b32_e32 v111, 0x10000, v110
	s_delay_alu instid0(VALU_DEP_2) | instskip(NEXT) | instid1(VALU_DEP_2)
	v_cmp_eq_u32_e32 vcc_lo, 0, v11
	v_cndmask_b32_e32 v11, v111, v110, vcc_lo
; %bb.2247:                             ;   in Loop: Header=BB8_2134 Depth=2
	s_or_b32 exec_lo, exec_lo, s22
	v_lshlrev_b32_e32 v110, 16, v12
	s_delay_alu instid0(VALU_DEP_1) | instskip(NEXT) | instid1(VALU_DEP_1)
	v_mul_f32_e32 v111, v79, v110
	v_and_b32_e32 v110, 0x7f800000, v111
	s_delay_alu instid0(VALU_DEP_1) | instskip(SKIP_1) | instid1(SALU_CYCLE_1)
	v_cmp_ne_u32_e32 vcc_lo, 0x7f800000, v110
                                        ; implicit-def: $vgpr110
	s_and_saveexec_b32 s22, vcc_lo
	s_xor_b32 s22, exec_lo, s22
; %bb.2248:                             ;   in Loop: Header=BB8_2134 Depth=2
	v_bfe_u32 v110, v111, 16, 1
	s_delay_alu instid0(VALU_DEP_1)
	v_add3_u32 v110, v111, v110, 0x7fff
                                        ; implicit-def: $vgpr111
; %bb.2249:                             ;   in Loop: Header=BB8_2134 Depth=2
	s_and_not1_saveexec_b32 s22, s22
; %bb.2250:                             ;   in Loop: Header=BB8_2134 Depth=2
	v_and_b32_e32 v110, 0xffff, v111
	v_or_b32_e32 v120, 0x10000, v111
	s_delay_alu instid0(VALU_DEP_2) | instskip(NEXT) | instid1(VALU_DEP_2)
	v_cmp_eq_u32_e32 vcc_lo, 0, v110
	v_cndmask_b32_e32 v110, v120, v111, vcc_lo
; %bb.2251:                             ;   in Loop: Header=BB8_2134 Depth=2
	s_or_b32 exec_lo, exec_lo, s22
	v_and_b32_e32 v12, 0xffff0000, v12
	s_delay_alu instid0(VALU_DEP_1) | instskip(NEXT) | instid1(VALU_DEP_1)
	v_mul_f32_e32 v111, v79, v12
	v_and_b32_e32 v12, 0x7f800000, v111
	s_delay_alu instid0(VALU_DEP_1) | instskip(SKIP_1) | instid1(SALU_CYCLE_1)
	v_cmp_ne_u32_e32 vcc_lo, 0x7f800000, v12
                                        ; implicit-def: $vgpr12
	s_and_saveexec_b32 s22, vcc_lo
	s_xor_b32 s22, exec_lo, s22
; %bb.2252:                             ;   in Loop: Header=BB8_2134 Depth=2
	v_bfe_u32 v12, v111, 16, 1
	s_delay_alu instid0(VALU_DEP_1)
	v_add3_u32 v12, v111, v12, 0x7fff
                                        ; implicit-def: $vgpr111
; %bb.2253:                             ;   in Loop: Header=BB8_2134 Depth=2
	s_and_not1_saveexec_b32 s22, s22
; %bb.2254:                             ;   in Loop: Header=BB8_2134 Depth=2
	v_and_b32_e32 v12, 0xffff, v111
	v_or_b32_e32 v120, 0x10000, v111
	s_delay_alu instid0(VALU_DEP_2) | instskip(NEXT) | instid1(VALU_DEP_2)
	v_cmp_eq_u32_e32 vcc_lo, 0, v12
	v_cndmask_b32_e32 v12, v120, v111, vcc_lo
; %bb.2255:                             ;   in Loop: Header=BB8_2134 Depth=2
	s_or_b32 exec_lo, exec_lo, s22
	v_lshlrev_b32_e32 v111, 16, v13
	s_delay_alu instid0(VALU_DEP_1) | instskip(NEXT) | instid1(VALU_DEP_1)
	v_mul_f32_e32 v120, v79, v111
	v_and_b32_e32 v111, 0x7f800000, v120
	s_delay_alu instid0(VALU_DEP_1) | instskip(SKIP_1) | instid1(SALU_CYCLE_1)
	v_cmp_ne_u32_e32 vcc_lo, 0x7f800000, v111
                                        ; implicit-def: $vgpr111
	s_and_saveexec_b32 s22, vcc_lo
	s_xor_b32 s22, exec_lo, s22
; %bb.2256:                             ;   in Loop: Header=BB8_2134 Depth=2
	v_bfe_u32 v111, v120, 16, 1
	s_delay_alu instid0(VALU_DEP_1)
	v_add3_u32 v111, v120, v111, 0x7fff
                                        ; implicit-def: $vgpr120
; %bb.2257:                             ;   in Loop: Header=BB8_2134 Depth=2
	s_and_not1_saveexec_b32 s22, s22
; %bb.2258:                             ;   in Loop: Header=BB8_2134 Depth=2
	v_and_b32_e32 v111, 0xffff, v120
	v_or_b32_e32 v121, 0x10000, v120
	s_delay_alu instid0(VALU_DEP_2) | instskip(NEXT) | instid1(VALU_DEP_2)
	v_cmp_eq_u32_e32 vcc_lo, 0, v111
	v_cndmask_b32_e32 v111, v121, v120, vcc_lo
; %bb.2259:                             ;   in Loop: Header=BB8_2134 Depth=2
	s_or_b32 exec_lo, exec_lo, s22
	v_and_b32_e32 v13, 0xffff0000, v13
	s_delay_alu instid0(VALU_DEP_1) | instskip(NEXT) | instid1(VALU_DEP_1)
	v_mul_f32_e32 v120, v79, v13
	v_and_b32_e32 v13, 0x7f800000, v120
	s_delay_alu instid0(VALU_DEP_1) | instskip(SKIP_1) | instid1(SALU_CYCLE_1)
	v_cmp_ne_u32_e32 vcc_lo, 0x7f800000, v13
                                        ; implicit-def: $vgpr13
	s_and_saveexec_b32 s22, vcc_lo
	s_xor_b32 s22, exec_lo, s22
; %bb.2260:                             ;   in Loop: Header=BB8_2134 Depth=2
	v_bfe_u32 v13, v120, 16, 1
	s_delay_alu instid0(VALU_DEP_1)
	v_add3_u32 v13, v120, v13, 0x7fff
                                        ; implicit-def: $vgpr120
; %bb.2261:                             ;   in Loop: Header=BB8_2134 Depth=2
	s_and_not1_saveexec_b32 s22, s22
; %bb.2262:                             ;   in Loop: Header=BB8_2134 Depth=2
	v_and_b32_e32 v13, 0xffff, v120
	v_or_b32_e32 v121, 0x10000, v120
	s_delay_alu instid0(VALU_DEP_2) | instskip(NEXT) | instid1(VALU_DEP_2)
	v_cmp_eq_u32_e32 vcc_lo, 0, v13
	v_cndmask_b32_e32 v13, v121, v120, vcc_lo
; %bb.2263:                             ;   in Loop: Header=BB8_2134 Depth=2
	s_or_b32 exec_lo, exec_lo, s22
	v_dual_lshrrev_b32 v93, 16, v93 :: v_dual_lshrrev_b32 v92, 16, v92
	v_dual_lshrrev_b32 v89, 16, v89 :: v_dual_lshrrev_b32 v88, 16, v88
	v_lshrrev_b32_e32 v90, 16, v90
	s_delay_alu instid0(VALU_DEP_3) | instskip(NEXT) | instid1(VALU_DEP_4)
	v_and_or_b32 v19, 0xffff0000, v19, v93
	v_and_or_b32 v18, 0xffff0000, v18, v92
	v_dual_lshrrev_b32 v92, 16, v94 :: v_dual_lshrrev_b32 v93, 16, v95
	v_and_or_b32 v32, 0xffff0000, v32, v88
	v_dual_lshrrev_b32 v88, 16, v91 :: v_dual_lshrrev_b32 v105, 16, v105
	v_dual_lshrrev_b32 v104, 16, v104 :: v_dual_lshrrev_b32 v106, 16, v106
	v_lshrrev_b32_e32 v107, 16, v107
	v_and_or_b32 v20, 0xffff0000, v20, v92
	v_and_or_b32 v33, 0xffff0000, v33, v89
	;; [unrolled: 1-line block ×3, first 2 shown]
	v_dual_lshrrev_b32 v89, 16, v109 :: v_dual_lshrrev_b32 v90, 16, v108
	v_dual_lshrrev_b32 v91, 16, v110 :: v_dual_lshrrev_b32 v92, 16, v111
	v_and_or_b32 v35, 0xffff0000, v35, v88
	v_and_or_b32 v21, 0xffff0000, v21, v93
	;; [unrolled: 1-line block ×10, first 2 shown]
	s_clause 0x3
	global_store_b128 v[58:59], v[32:35], off th:TH_STORE_NT
	global_store_b128 v[58:59], v[18:21], off offset:512 th:TH_STORE_NT
	global_store_b128 v[58:59], v[14:17], off offset:1024 th:TH_STORE_NT
	;; [unrolled: 1-line block ×3, first 2 shown]
	s_wait_xcnt 0x0
	v_add_nc_u64_e32 v[58:59], v[58:59], v[114:115]
.LBB8_2264:                             ;   in Loop: Header=BB8_2134 Depth=2
	s_or_b32 exec_lo, exec_lo, s23
	v_sub_nc_u32_e32 v78, v78, v86
	v_add_nc_u64_e32 v[60:61], v[60:61], v[114:115]
	s_delay_alu instid0(VALU_DEP_2)
	v_cmp_lt_i32_e64 s22, 0, v78
	s_and_saveexec_b32 s23, s22
	s_cbranch_execz .LBB8_2266
; %bb.2265:                             ;   in Loop: Header=BB8_2134 Depth=2
	s_clause 0x3
	global_load_b128 v[32:35], v[60:61], off th:TH_LOAD_NT
	global_load_b128 v[18:21], v[60:61], off offset:512 th:TH_LOAD_NT
	global_load_b128 v[14:17], v[60:61], off offset:1024 th:TH_LOAD_NT
	;; [unrolled: 1-line block ×3, first 2 shown]
	s_wait_xcnt 0x0
	v_add_nc_u64_e32 v[60:61], 0x800, v[60:61]
.LBB8_2266:                             ;   in Loop: Header=BB8_2134 Depth=2
	s_or_b32 exec_lo, exec_lo, s23
	s_wait_loadcnt 0x3
	v_lshlrev_b32_e32 v88, 16, v48
	s_delay_alu instid0(VALU_DEP_1) | instskip(NEXT) | instid1(VALU_DEP_1)
	v_mul_f32_e32 v89, v79, v88
	v_and_b32_e32 v88, 0x7f800000, v89
	s_delay_alu instid0(VALU_DEP_1) | instskip(SKIP_1) | instid1(SALU_CYCLE_1)
	v_cmp_ne_u32_e32 vcc_lo, 0x7f800000, v88
                                        ; implicit-def: $vgpr88
	s_and_saveexec_b32 s23, vcc_lo
	s_xor_b32 s23, exec_lo, s23
; %bb.2267:                             ;   in Loop: Header=BB8_2134 Depth=2
	v_bfe_u32 v88, v89, 16, 1
	s_delay_alu instid0(VALU_DEP_1)
	v_add3_u32 v88, v89, v88, 0x7fff
                                        ; implicit-def: $vgpr89
; %bb.2268:                             ;   in Loop: Header=BB8_2134 Depth=2
	s_and_not1_saveexec_b32 s23, s23
; %bb.2269:                             ;   in Loop: Header=BB8_2134 Depth=2
	v_and_b32_e32 v88, 0xffff, v89
	v_or_b32_e32 v90, 0x10000, v89
	s_delay_alu instid0(VALU_DEP_2) | instskip(NEXT) | instid1(VALU_DEP_2)
	v_cmp_eq_u32_e32 vcc_lo, 0, v88
	v_cndmask_b32_e32 v88, v90, v89, vcc_lo
; %bb.2270:                             ;   in Loop: Header=BB8_2134 Depth=2
	s_or_b32 exec_lo, exec_lo, s23
	v_and_b32_e32 v48, 0xffff0000, v48
	s_delay_alu instid0(VALU_DEP_1) | instskip(NEXT) | instid1(VALU_DEP_1)
	v_mul_f32_e32 v89, v79, v48
	v_and_b32_e32 v48, 0x7f800000, v89
	s_delay_alu instid0(VALU_DEP_1) | instskip(SKIP_1) | instid1(SALU_CYCLE_1)
	v_cmp_ne_u32_e32 vcc_lo, 0x7f800000, v48
                                        ; implicit-def: $vgpr48
	s_and_saveexec_b32 s23, vcc_lo
	s_xor_b32 s23, exec_lo, s23
; %bb.2271:                             ;   in Loop: Header=BB8_2134 Depth=2
	v_bfe_u32 v48, v89, 16, 1
	s_delay_alu instid0(VALU_DEP_1)
	v_add3_u32 v48, v89, v48, 0x7fff
                                        ; implicit-def: $vgpr89
; %bb.2272:                             ;   in Loop: Header=BB8_2134 Depth=2
	s_and_not1_saveexec_b32 s23, s23
; %bb.2273:                             ;   in Loop: Header=BB8_2134 Depth=2
	v_and_b32_e32 v48, 0xffff, v89
	v_or_b32_e32 v90, 0x10000, v89
	s_delay_alu instid0(VALU_DEP_2) | instskip(NEXT) | instid1(VALU_DEP_2)
	v_cmp_eq_u32_e32 vcc_lo, 0, v48
	v_cndmask_b32_e32 v48, v90, v89, vcc_lo
; %bb.2274:                             ;   in Loop: Header=BB8_2134 Depth=2
	s_or_b32 exec_lo, exec_lo, s23
	v_lshlrev_b32_e32 v89, 16, v49
	s_delay_alu instid0(VALU_DEP_1) | instskip(NEXT) | instid1(VALU_DEP_1)
	v_mul_f32_e32 v90, v79, v89
	v_and_b32_e32 v89, 0x7f800000, v90
	s_delay_alu instid0(VALU_DEP_1) | instskip(SKIP_1) | instid1(SALU_CYCLE_1)
	v_cmp_ne_u32_e32 vcc_lo, 0x7f800000, v89
                                        ; implicit-def: $vgpr89
	s_and_saveexec_b32 s23, vcc_lo
	s_xor_b32 s23, exec_lo, s23
; %bb.2275:                             ;   in Loop: Header=BB8_2134 Depth=2
	v_bfe_u32 v89, v90, 16, 1
	s_delay_alu instid0(VALU_DEP_1)
	v_add3_u32 v89, v90, v89, 0x7fff
                                        ; implicit-def: $vgpr90
; %bb.2276:                             ;   in Loop: Header=BB8_2134 Depth=2
	s_and_not1_saveexec_b32 s23, s23
; %bb.2277:                             ;   in Loop: Header=BB8_2134 Depth=2
	v_and_b32_e32 v89, 0xffff, v90
	v_or_b32_e32 v91, 0x10000, v90
	s_delay_alu instid0(VALU_DEP_2) | instskip(NEXT) | instid1(VALU_DEP_2)
	v_cmp_eq_u32_e32 vcc_lo, 0, v89
	v_cndmask_b32_e32 v89, v91, v90, vcc_lo
; %bb.2278:                             ;   in Loop: Header=BB8_2134 Depth=2
	s_or_b32 exec_lo, exec_lo, s23
	v_and_b32_e32 v49, 0xffff0000, v49
	s_delay_alu instid0(VALU_DEP_1) | instskip(NEXT) | instid1(VALU_DEP_1)
	v_mul_f32_e32 v90, v79, v49
	v_and_b32_e32 v49, 0x7f800000, v90
	s_delay_alu instid0(VALU_DEP_1) | instskip(SKIP_1) | instid1(SALU_CYCLE_1)
	v_cmp_ne_u32_e32 vcc_lo, 0x7f800000, v49
                                        ; implicit-def: $vgpr49
	s_and_saveexec_b32 s23, vcc_lo
	s_xor_b32 s23, exec_lo, s23
; %bb.2279:                             ;   in Loop: Header=BB8_2134 Depth=2
	v_bfe_u32 v49, v90, 16, 1
	s_delay_alu instid0(VALU_DEP_1)
	v_add3_u32 v49, v90, v49, 0x7fff
                                        ; implicit-def: $vgpr90
; %bb.2280:                             ;   in Loop: Header=BB8_2134 Depth=2
	s_and_not1_saveexec_b32 s23, s23
; %bb.2281:                             ;   in Loop: Header=BB8_2134 Depth=2
	v_and_b32_e32 v49, 0xffff, v90
	v_or_b32_e32 v91, 0x10000, v90
	s_delay_alu instid0(VALU_DEP_2) | instskip(NEXT) | instid1(VALU_DEP_2)
	v_cmp_eq_u32_e32 vcc_lo, 0, v49
	v_cndmask_b32_e32 v49, v91, v90, vcc_lo
; %bb.2282:                             ;   in Loop: Header=BB8_2134 Depth=2
	s_or_b32 exec_lo, exec_lo, s23
	v_lshlrev_b32_e32 v90, 16, v50
	s_delay_alu instid0(VALU_DEP_1) | instskip(NEXT) | instid1(VALU_DEP_1)
	v_mul_f32_e32 v91, v79, v90
	v_and_b32_e32 v90, 0x7f800000, v91
	s_delay_alu instid0(VALU_DEP_1) | instskip(SKIP_1) | instid1(SALU_CYCLE_1)
	v_cmp_ne_u32_e32 vcc_lo, 0x7f800000, v90
                                        ; implicit-def: $vgpr90
	s_and_saveexec_b32 s23, vcc_lo
	s_xor_b32 s23, exec_lo, s23
; %bb.2283:                             ;   in Loop: Header=BB8_2134 Depth=2
	v_bfe_u32 v90, v91, 16, 1
	s_delay_alu instid0(VALU_DEP_1)
	v_add3_u32 v90, v91, v90, 0x7fff
                                        ; implicit-def: $vgpr91
; %bb.2284:                             ;   in Loop: Header=BB8_2134 Depth=2
	s_and_not1_saveexec_b32 s23, s23
; %bb.2285:                             ;   in Loop: Header=BB8_2134 Depth=2
	v_and_b32_e32 v90, 0xffff, v91
	v_or_b32_e32 v92, 0x10000, v91
	s_delay_alu instid0(VALU_DEP_2) | instskip(NEXT) | instid1(VALU_DEP_2)
	v_cmp_eq_u32_e32 vcc_lo, 0, v90
	v_cndmask_b32_e32 v90, v92, v91, vcc_lo
; %bb.2286:                             ;   in Loop: Header=BB8_2134 Depth=2
	s_or_b32 exec_lo, exec_lo, s23
	v_and_b32_e32 v50, 0xffff0000, v50
	s_delay_alu instid0(VALU_DEP_1) | instskip(NEXT) | instid1(VALU_DEP_1)
	v_mul_f32_e32 v91, v79, v50
	v_and_b32_e32 v50, 0x7f800000, v91
	s_delay_alu instid0(VALU_DEP_1) | instskip(SKIP_1) | instid1(SALU_CYCLE_1)
	v_cmp_ne_u32_e32 vcc_lo, 0x7f800000, v50
                                        ; implicit-def: $vgpr50
	s_and_saveexec_b32 s23, vcc_lo
	s_xor_b32 s23, exec_lo, s23
; %bb.2287:                             ;   in Loop: Header=BB8_2134 Depth=2
	v_bfe_u32 v50, v91, 16, 1
	s_delay_alu instid0(VALU_DEP_1)
	v_add3_u32 v50, v91, v50, 0x7fff
                                        ; implicit-def: $vgpr91
; %bb.2288:                             ;   in Loop: Header=BB8_2134 Depth=2
	s_and_not1_saveexec_b32 s23, s23
; %bb.2289:                             ;   in Loop: Header=BB8_2134 Depth=2
	v_and_b32_e32 v50, 0xffff, v91
	v_or_b32_e32 v92, 0x10000, v91
	s_delay_alu instid0(VALU_DEP_2) | instskip(NEXT) | instid1(VALU_DEP_2)
	v_cmp_eq_u32_e32 vcc_lo, 0, v50
	v_cndmask_b32_e32 v50, v92, v91, vcc_lo
; %bb.2290:                             ;   in Loop: Header=BB8_2134 Depth=2
	s_or_b32 exec_lo, exec_lo, s23
	v_lshlrev_b32_e32 v91, 16, v51
	s_delay_alu instid0(VALU_DEP_1) | instskip(NEXT) | instid1(VALU_DEP_1)
	v_mul_f32_e32 v92, v79, v91
	v_and_b32_e32 v91, 0x7f800000, v92
	s_delay_alu instid0(VALU_DEP_1) | instskip(SKIP_1) | instid1(SALU_CYCLE_1)
	v_cmp_ne_u32_e32 vcc_lo, 0x7f800000, v91
                                        ; implicit-def: $vgpr91
	s_and_saveexec_b32 s23, vcc_lo
	s_xor_b32 s23, exec_lo, s23
; %bb.2291:                             ;   in Loop: Header=BB8_2134 Depth=2
	v_bfe_u32 v91, v92, 16, 1
	s_delay_alu instid0(VALU_DEP_1)
	v_add3_u32 v91, v92, v91, 0x7fff
                                        ; implicit-def: $vgpr92
; %bb.2292:                             ;   in Loop: Header=BB8_2134 Depth=2
	s_and_not1_saveexec_b32 s23, s23
; %bb.2293:                             ;   in Loop: Header=BB8_2134 Depth=2
	v_and_b32_e32 v91, 0xffff, v92
	v_or_b32_e32 v93, 0x10000, v92
	s_delay_alu instid0(VALU_DEP_2) | instskip(NEXT) | instid1(VALU_DEP_2)
	v_cmp_eq_u32_e32 vcc_lo, 0, v91
	v_cndmask_b32_e32 v91, v93, v92, vcc_lo
; %bb.2294:                             ;   in Loop: Header=BB8_2134 Depth=2
	s_or_b32 exec_lo, exec_lo, s23
	v_and_b32_e32 v51, 0xffff0000, v51
	s_delay_alu instid0(VALU_DEP_1) | instskip(NEXT) | instid1(VALU_DEP_1)
	v_mul_f32_e32 v92, v79, v51
	v_and_b32_e32 v51, 0x7f800000, v92
	s_delay_alu instid0(VALU_DEP_1) | instskip(SKIP_1) | instid1(SALU_CYCLE_1)
	v_cmp_ne_u32_e32 vcc_lo, 0x7f800000, v51
                                        ; implicit-def: $vgpr51
	s_and_saveexec_b32 s23, vcc_lo
	s_xor_b32 s23, exec_lo, s23
; %bb.2295:                             ;   in Loop: Header=BB8_2134 Depth=2
	v_bfe_u32 v51, v92, 16, 1
	s_delay_alu instid0(VALU_DEP_1)
	v_add3_u32 v51, v92, v51, 0x7fff
                                        ; implicit-def: $vgpr92
; %bb.2296:                             ;   in Loop: Header=BB8_2134 Depth=2
	s_and_not1_saveexec_b32 s23, s23
; %bb.2297:                             ;   in Loop: Header=BB8_2134 Depth=2
	v_and_b32_e32 v51, 0xffff, v92
	v_or_b32_e32 v93, 0x10000, v92
	s_delay_alu instid0(VALU_DEP_2) | instskip(NEXT) | instid1(VALU_DEP_2)
	v_cmp_eq_u32_e32 vcc_lo, 0, v51
	v_cndmask_b32_e32 v51, v93, v92, vcc_lo
; %bb.2298:                             ;   in Loop: Header=BB8_2134 Depth=2
	s_or_b32 exec_lo, exec_lo, s23
	s_wait_loadcnt 0x2
	v_lshlrev_b32_e32 v92, 16, v36
	s_delay_alu instid0(VALU_DEP_1) | instskip(NEXT) | instid1(VALU_DEP_1)
	v_mul_f32_e32 v93, v79, v92
	v_and_b32_e32 v92, 0x7f800000, v93
	s_delay_alu instid0(VALU_DEP_1) | instskip(SKIP_1) | instid1(SALU_CYCLE_1)
	v_cmp_ne_u32_e32 vcc_lo, 0x7f800000, v92
                                        ; implicit-def: $vgpr92
	s_and_saveexec_b32 s23, vcc_lo
	s_xor_b32 s23, exec_lo, s23
; %bb.2299:                             ;   in Loop: Header=BB8_2134 Depth=2
	v_bfe_u32 v92, v93, 16, 1
	s_delay_alu instid0(VALU_DEP_1)
	v_add3_u32 v92, v93, v92, 0x7fff
                                        ; implicit-def: $vgpr93
; %bb.2300:                             ;   in Loop: Header=BB8_2134 Depth=2
	s_and_not1_saveexec_b32 s23, s23
; %bb.2301:                             ;   in Loop: Header=BB8_2134 Depth=2
	v_and_b32_e32 v92, 0xffff, v93
	v_or_b32_e32 v94, 0x10000, v93
	s_delay_alu instid0(VALU_DEP_2) | instskip(NEXT) | instid1(VALU_DEP_2)
	v_cmp_eq_u32_e32 vcc_lo, 0, v92
	v_cndmask_b32_e32 v92, v94, v93, vcc_lo
; %bb.2302:                             ;   in Loop: Header=BB8_2134 Depth=2
	s_or_b32 exec_lo, exec_lo, s23
	v_and_b32_e32 v36, 0xffff0000, v36
	s_delay_alu instid0(VALU_DEP_1) | instskip(NEXT) | instid1(VALU_DEP_1)
	v_mul_f32_e32 v93, v79, v36
	v_and_b32_e32 v36, 0x7f800000, v93
	s_delay_alu instid0(VALU_DEP_1) | instskip(SKIP_1) | instid1(SALU_CYCLE_1)
	v_cmp_ne_u32_e32 vcc_lo, 0x7f800000, v36
                                        ; implicit-def: $vgpr36
	s_and_saveexec_b32 s23, vcc_lo
	s_xor_b32 s23, exec_lo, s23
; %bb.2303:                             ;   in Loop: Header=BB8_2134 Depth=2
	v_bfe_u32 v36, v93, 16, 1
	s_delay_alu instid0(VALU_DEP_1)
	v_add3_u32 v36, v93, v36, 0x7fff
                                        ; implicit-def: $vgpr93
; %bb.2304:                             ;   in Loop: Header=BB8_2134 Depth=2
	s_and_not1_saveexec_b32 s23, s23
; %bb.2305:                             ;   in Loop: Header=BB8_2134 Depth=2
	v_and_b32_e32 v36, 0xffff, v93
	v_or_b32_e32 v94, 0x10000, v93
	s_delay_alu instid0(VALU_DEP_2) | instskip(NEXT) | instid1(VALU_DEP_2)
	v_cmp_eq_u32_e32 vcc_lo, 0, v36
	v_cndmask_b32_e32 v36, v94, v93, vcc_lo
; %bb.2306:                             ;   in Loop: Header=BB8_2134 Depth=2
	s_or_b32 exec_lo, exec_lo, s23
	v_lshlrev_b32_e32 v93, 16, v37
	s_delay_alu instid0(VALU_DEP_1) | instskip(NEXT) | instid1(VALU_DEP_1)
	v_mul_f32_e32 v94, v79, v93
	v_and_b32_e32 v93, 0x7f800000, v94
	s_delay_alu instid0(VALU_DEP_1) | instskip(SKIP_1) | instid1(SALU_CYCLE_1)
	v_cmp_ne_u32_e32 vcc_lo, 0x7f800000, v93
                                        ; implicit-def: $vgpr93
	s_and_saveexec_b32 s23, vcc_lo
	s_xor_b32 s23, exec_lo, s23
; %bb.2307:                             ;   in Loop: Header=BB8_2134 Depth=2
	v_bfe_u32 v93, v94, 16, 1
	s_delay_alu instid0(VALU_DEP_1)
	v_add3_u32 v93, v94, v93, 0x7fff
                                        ; implicit-def: $vgpr94
; %bb.2308:                             ;   in Loop: Header=BB8_2134 Depth=2
	s_and_not1_saveexec_b32 s23, s23
; %bb.2309:                             ;   in Loop: Header=BB8_2134 Depth=2
	v_and_b32_e32 v93, 0xffff, v94
	v_or_b32_e32 v95, 0x10000, v94
	s_delay_alu instid0(VALU_DEP_2) | instskip(NEXT) | instid1(VALU_DEP_2)
	v_cmp_eq_u32_e32 vcc_lo, 0, v93
	v_cndmask_b32_e32 v93, v95, v94, vcc_lo
; %bb.2310:                             ;   in Loop: Header=BB8_2134 Depth=2
	s_or_b32 exec_lo, exec_lo, s23
	v_and_b32_e32 v37, 0xffff0000, v37
	s_delay_alu instid0(VALU_DEP_1) | instskip(NEXT) | instid1(VALU_DEP_1)
	v_mul_f32_e32 v94, v79, v37
	v_and_b32_e32 v37, 0x7f800000, v94
	s_delay_alu instid0(VALU_DEP_1) | instskip(SKIP_1) | instid1(SALU_CYCLE_1)
	v_cmp_ne_u32_e32 vcc_lo, 0x7f800000, v37
                                        ; implicit-def: $vgpr37
	s_and_saveexec_b32 s23, vcc_lo
	s_xor_b32 s23, exec_lo, s23
; %bb.2311:                             ;   in Loop: Header=BB8_2134 Depth=2
	v_bfe_u32 v37, v94, 16, 1
	s_delay_alu instid0(VALU_DEP_1)
	v_add3_u32 v37, v94, v37, 0x7fff
                                        ; implicit-def: $vgpr94
; %bb.2312:                             ;   in Loop: Header=BB8_2134 Depth=2
	s_and_not1_saveexec_b32 s23, s23
; %bb.2313:                             ;   in Loop: Header=BB8_2134 Depth=2
	v_and_b32_e32 v37, 0xffff, v94
	v_or_b32_e32 v95, 0x10000, v94
	s_delay_alu instid0(VALU_DEP_2) | instskip(NEXT) | instid1(VALU_DEP_2)
	v_cmp_eq_u32_e32 vcc_lo, 0, v37
	v_cndmask_b32_e32 v37, v95, v94, vcc_lo
; %bb.2314:                             ;   in Loop: Header=BB8_2134 Depth=2
	s_or_b32 exec_lo, exec_lo, s23
	v_lshlrev_b32_e32 v94, 16, v38
	s_delay_alu instid0(VALU_DEP_1) | instskip(NEXT) | instid1(VALU_DEP_1)
	v_mul_f32_e32 v95, v79, v94
	v_and_b32_e32 v94, 0x7f800000, v95
	s_delay_alu instid0(VALU_DEP_1) | instskip(SKIP_1) | instid1(SALU_CYCLE_1)
	v_cmp_ne_u32_e32 vcc_lo, 0x7f800000, v94
                                        ; implicit-def: $vgpr94
	s_and_saveexec_b32 s23, vcc_lo
	s_xor_b32 s23, exec_lo, s23
; %bb.2315:                             ;   in Loop: Header=BB8_2134 Depth=2
	v_bfe_u32 v94, v95, 16, 1
	s_delay_alu instid0(VALU_DEP_1)
	v_add3_u32 v94, v95, v94, 0x7fff
                                        ; implicit-def: $vgpr95
; %bb.2316:                             ;   in Loop: Header=BB8_2134 Depth=2
	s_and_not1_saveexec_b32 s23, s23
; %bb.2317:                             ;   in Loop: Header=BB8_2134 Depth=2
	v_and_b32_e32 v94, 0xffff, v95
	v_or_b32_e32 v104, 0x10000, v95
	s_delay_alu instid0(VALU_DEP_2) | instskip(NEXT) | instid1(VALU_DEP_2)
	v_cmp_eq_u32_e32 vcc_lo, 0, v94
	v_cndmask_b32_e32 v94, v104, v95, vcc_lo
; %bb.2318:                             ;   in Loop: Header=BB8_2134 Depth=2
	s_or_b32 exec_lo, exec_lo, s23
	v_and_b32_e32 v38, 0xffff0000, v38
	s_delay_alu instid0(VALU_DEP_1) | instskip(NEXT) | instid1(VALU_DEP_1)
	v_mul_f32_e32 v95, v79, v38
	v_and_b32_e32 v38, 0x7f800000, v95
	s_delay_alu instid0(VALU_DEP_1) | instskip(SKIP_1) | instid1(SALU_CYCLE_1)
	v_cmp_ne_u32_e32 vcc_lo, 0x7f800000, v38
                                        ; implicit-def: $vgpr38
	s_and_saveexec_b32 s23, vcc_lo
	s_xor_b32 s23, exec_lo, s23
; %bb.2319:                             ;   in Loop: Header=BB8_2134 Depth=2
	v_bfe_u32 v38, v95, 16, 1
	s_delay_alu instid0(VALU_DEP_1)
	v_add3_u32 v38, v95, v38, 0x7fff
                                        ; implicit-def: $vgpr95
; %bb.2320:                             ;   in Loop: Header=BB8_2134 Depth=2
	s_and_not1_saveexec_b32 s23, s23
; %bb.2321:                             ;   in Loop: Header=BB8_2134 Depth=2
	v_and_b32_e32 v38, 0xffff, v95
	v_or_b32_e32 v104, 0x10000, v95
	s_delay_alu instid0(VALU_DEP_2) | instskip(NEXT) | instid1(VALU_DEP_2)
	v_cmp_eq_u32_e32 vcc_lo, 0, v38
	v_cndmask_b32_e32 v38, v104, v95, vcc_lo
; %bb.2322:                             ;   in Loop: Header=BB8_2134 Depth=2
	s_or_b32 exec_lo, exec_lo, s23
	v_lshlrev_b32_e32 v95, 16, v39
	s_delay_alu instid0(VALU_DEP_1) | instskip(NEXT) | instid1(VALU_DEP_1)
	v_mul_f32_e32 v104, v79, v95
	v_and_b32_e32 v95, 0x7f800000, v104
	s_delay_alu instid0(VALU_DEP_1) | instskip(SKIP_1) | instid1(SALU_CYCLE_1)
	v_cmp_ne_u32_e32 vcc_lo, 0x7f800000, v95
                                        ; implicit-def: $vgpr95
	s_and_saveexec_b32 s23, vcc_lo
	s_xor_b32 s23, exec_lo, s23
; %bb.2323:                             ;   in Loop: Header=BB8_2134 Depth=2
	v_bfe_u32 v95, v104, 16, 1
	s_delay_alu instid0(VALU_DEP_1)
	v_add3_u32 v95, v104, v95, 0x7fff
                                        ; implicit-def: $vgpr104
; %bb.2324:                             ;   in Loop: Header=BB8_2134 Depth=2
	s_and_not1_saveexec_b32 s23, s23
; %bb.2325:                             ;   in Loop: Header=BB8_2134 Depth=2
	v_and_b32_e32 v95, 0xffff, v104
	v_or_b32_e32 v105, 0x10000, v104
	s_delay_alu instid0(VALU_DEP_2) | instskip(NEXT) | instid1(VALU_DEP_2)
	v_cmp_eq_u32_e32 vcc_lo, 0, v95
	v_cndmask_b32_e32 v95, v105, v104, vcc_lo
; %bb.2326:                             ;   in Loop: Header=BB8_2134 Depth=2
	s_or_b32 exec_lo, exec_lo, s23
	v_and_b32_e32 v39, 0xffff0000, v39
	s_delay_alu instid0(VALU_DEP_1) | instskip(NEXT) | instid1(VALU_DEP_1)
	v_mul_f32_e32 v104, v79, v39
	v_and_b32_e32 v39, 0x7f800000, v104
	s_delay_alu instid0(VALU_DEP_1) | instskip(SKIP_1) | instid1(SALU_CYCLE_1)
	v_cmp_ne_u32_e32 vcc_lo, 0x7f800000, v39
                                        ; implicit-def: $vgpr39
	s_and_saveexec_b32 s23, vcc_lo
	s_xor_b32 s23, exec_lo, s23
; %bb.2327:                             ;   in Loop: Header=BB8_2134 Depth=2
	v_bfe_u32 v39, v104, 16, 1
	s_delay_alu instid0(VALU_DEP_1)
	v_add3_u32 v39, v104, v39, 0x7fff
                                        ; implicit-def: $vgpr104
; %bb.2328:                             ;   in Loop: Header=BB8_2134 Depth=2
	s_and_not1_saveexec_b32 s23, s23
; %bb.2329:                             ;   in Loop: Header=BB8_2134 Depth=2
	v_and_b32_e32 v39, 0xffff, v104
	v_or_b32_e32 v105, 0x10000, v104
	s_delay_alu instid0(VALU_DEP_2) | instskip(NEXT) | instid1(VALU_DEP_2)
	v_cmp_eq_u32_e32 vcc_lo, 0, v39
	v_cndmask_b32_e32 v39, v105, v104, vcc_lo
; %bb.2330:                             ;   in Loop: Header=BB8_2134 Depth=2
	s_or_b32 exec_lo, exec_lo, s23
	s_wait_loadcnt 0x1
	v_lshlrev_b32_e32 v104, 16, v26
	s_delay_alu instid0(VALU_DEP_1) | instskip(NEXT) | instid1(VALU_DEP_1)
	v_mul_f32_e32 v105, v79, v104
	v_and_b32_e32 v104, 0x7f800000, v105
	s_delay_alu instid0(VALU_DEP_1) | instskip(SKIP_1) | instid1(SALU_CYCLE_1)
	v_cmp_ne_u32_e32 vcc_lo, 0x7f800000, v104
                                        ; implicit-def: $vgpr104
	s_and_saveexec_b32 s23, vcc_lo
	s_xor_b32 s23, exec_lo, s23
; %bb.2331:                             ;   in Loop: Header=BB8_2134 Depth=2
	v_bfe_u32 v104, v105, 16, 1
	s_delay_alu instid0(VALU_DEP_1)
	v_add3_u32 v104, v105, v104, 0x7fff
                                        ; implicit-def: $vgpr105
; %bb.2332:                             ;   in Loop: Header=BB8_2134 Depth=2
	s_and_not1_saveexec_b32 s23, s23
; %bb.2333:                             ;   in Loop: Header=BB8_2134 Depth=2
	v_and_b32_e32 v104, 0xffff, v105
	v_or_b32_e32 v106, 0x10000, v105
	s_delay_alu instid0(VALU_DEP_2) | instskip(NEXT) | instid1(VALU_DEP_2)
	v_cmp_eq_u32_e32 vcc_lo, 0, v104
	v_cndmask_b32_e32 v104, v106, v105, vcc_lo
; %bb.2334:                             ;   in Loop: Header=BB8_2134 Depth=2
	s_or_b32 exec_lo, exec_lo, s23
	v_and_b32_e32 v26, 0xffff0000, v26
	s_delay_alu instid0(VALU_DEP_1) | instskip(NEXT) | instid1(VALU_DEP_1)
	v_mul_f32_e32 v105, v79, v26
	v_and_b32_e32 v26, 0x7f800000, v105
	s_delay_alu instid0(VALU_DEP_1) | instskip(SKIP_1) | instid1(SALU_CYCLE_1)
	v_cmp_ne_u32_e32 vcc_lo, 0x7f800000, v26
                                        ; implicit-def: $vgpr26
	s_and_saveexec_b32 s23, vcc_lo
	s_xor_b32 s23, exec_lo, s23
; %bb.2335:                             ;   in Loop: Header=BB8_2134 Depth=2
	v_bfe_u32 v26, v105, 16, 1
	s_delay_alu instid0(VALU_DEP_1)
	v_add3_u32 v26, v105, v26, 0x7fff
                                        ; implicit-def: $vgpr105
; %bb.2336:                             ;   in Loop: Header=BB8_2134 Depth=2
	s_and_not1_saveexec_b32 s23, s23
; %bb.2337:                             ;   in Loop: Header=BB8_2134 Depth=2
	v_and_b32_e32 v26, 0xffff, v105
	v_or_b32_e32 v106, 0x10000, v105
	s_delay_alu instid0(VALU_DEP_2) | instskip(NEXT) | instid1(VALU_DEP_2)
	v_cmp_eq_u32_e32 vcc_lo, 0, v26
	v_cndmask_b32_e32 v26, v106, v105, vcc_lo
; %bb.2338:                             ;   in Loop: Header=BB8_2134 Depth=2
	s_or_b32 exec_lo, exec_lo, s23
	v_lshlrev_b32_e32 v105, 16, v27
	s_delay_alu instid0(VALU_DEP_1) | instskip(NEXT) | instid1(VALU_DEP_1)
	v_mul_f32_e32 v106, v79, v105
	v_and_b32_e32 v105, 0x7f800000, v106
	s_delay_alu instid0(VALU_DEP_1) | instskip(SKIP_1) | instid1(SALU_CYCLE_1)
	v_cmp_ne_u32_e32 vcc_lo, 0x7f800000, v105
                                        ; implicit-def: $vgpr105
	s_and_saveexec_b32 s23, vcc_lo
	s_xor_b32 s23, exec_lo, s23
; %bb.2339:                             ;   in Loop: Header=BB8_2134 Depth=2
	v_bfe_u32 v105, v106, 16, 1
	s_delay_alu instid0(VALU_DEP_1)
	v_add3_u32 v105, v106, v105, 0x7fff
                                        ; implicit-def: $vgpr106
; %bb.2340:                             ;   in Loop: Header=BB8_2134 Depth=2
	s_and_not1_saveexec_b32 s23, s23
; %bb.2341:                             ;   in Loop: Header=BB8_2134 Depth=2
	v_and_b32_e32 v105, 0xffff, v106
	v_or_b32_e32 v107, 0x10000, v106
	s_delay_alu instid0(VALU_DEP_2) | instskip(NEXT) | instid1(VALU_DEP_2)
	v_cmp_eq_u32_e32 vcc_lo, 0, v105
	v_cndmask_b32_e32 v105, v107, v106, vcc_lo
; %bb.2342:                             ;   in Loop: Header=BB8_2134 Depth=2
	s_or_b32 exec_lo, exec_lo, s23
	v_and_b32_e32 v27, 0xffff0000, v27
	s_delay_alu instid0(VALU_DEP_1) | instskip(NEXT) | instid1(VALU_DEP_1)
	v_mul_f32_e32 v106, v79, v27
	v_and_b32_e32 v27, 0x7f800000, v106
	s_delay_alu instid0(VALU_DEP_1) | instskip(SKIP_1) | instid1(SALU_CYCLE_1)
	v_cmp_ne_u32_e32 vcc_lo, 0x7f800000, v27
                                        ; implicit-def: $vgpr27
	s_and_saveexec_b32 s23, vcc_lo
	s_xor_b32 s23, exec_lo, s23
; %bb.2343:                             ;   in Loop: Header=BB8_2134 Depth=2
	v_bfe_u32 v27, v106, 16, 1
	s_delay_alu instid0(VALU_DEP_1)
	v_add3_u32 v27, v106, v27, 0x7fff
                                        ; implicit-def: $vgpr106
; %bb.2344:                             ;   in Loop: Header=BB8_2134 Depth=2
	s_and_not1_saveexec_b32 s23, s23
; %bb.2345:                             ;   in Loop: Header=BB8_2134 Depth=2
	v_and_b32_e32 v27, 0xffff, v106
	v_or_b32_e32 v107, 0x10000, v106
	s_delay_alu instid0(VALU_DEP_2) | instskip(NEXT) | instid1(VALU_DEP_2)
	v_cmp_eq_u32_e32 vcc_lo, 0, v27
	v_cndmask_b32_e32 v27, v107, v106, vcc_lo
; %bb.2346:                             ;   in Loop: Header=BB8_2134 Depth=2
	s_or_b32 exec_lo, exec_lo, s23
	v_lshlrev_b32_e32 v106, 16, v28
	s_delay_alu instid0(VALU_DEP_1) | instskip(NEXT) | instid1(VALU_DEP_1)
	v_mul_f32_e32 v107, v79, v106
	v_and_b32_e32 v106, 0x7f800000, v107
	s_delay_alu instid0(VALU_DEP_1) | instskip(SKIP_1) | instid1(SALU_CYCLE_1)
	v_cmp_ne_u32_e32 vcc_lo, 0x7f800000, v106
                                        ; implicit-def: $vgpr106
	s_and_saveexec_b32 s23, vcc_lo
	s_xor_b32 s23, exec_lo, s23
; %bb.2347:                             ;   in Loop: Header=BB8_2134 Depth=2
	v_bfe_u32 v106, v107, 16, 1
	s_delay_alu instid0(VALU_DEP_1)
	v_add3_u32 v106, v107, v106, 0x7fff
                                        ; implicit-def: $vgpr107
; %bb.2348:                             ;   in Loop: Header=BB8_2134 Depth=2
	s_and_not1_saveexec_b32 s23, s23
; %bb.2349:                             ;   in Loop: Header=BB8_2134 Depth=2
	v_and_b32_e32 v106, 0xffff, v107
	v_or_b32_e32 v108, 0x10000, v107
	s_delay_alu instid0(VALU_DEP_2) | instskip(NEXT) | instid1(VALU_DEP_2)
	v_cmp_eq_u32_e32 vcc_lo, 0, v106
	v_cndmask_b32_e32 v106, v108, v107, vcc_lo
; %bb.2350:                             ;   in Loop: Header=BB8_2134 Depth=2
	s_or_b32 exec_lo, exec_lo, s23
	v_and_b32_e32 v28, 0xffff0000, v28
	s_delay_alu instid0(VALU_DEP_1) | instskip(NEXT) | instid1(VALU_DEP_1)
	v_mul_f32_e32 v107, v79, v28
	v_and_b32_e32 v28, 0x7f800000, v107
	s_delay_alu instid0(VALU_DEP_1) | instskip(SKIP_1) | instid1(SALU_CYCLE_1)
	v_cmp_ne_u32_e32 vcc_lo, 0x7f800000, v28
                                        ; implicit-def: $vgpr28
	s_and_saveexec_b32 s23, vcc_lo
	s_xor_b32 s23, exec_lo, s23
; %bb.2351:                             ;   in Loop: Header=BB8_2134 Depth=2
	v_bfe_u32 v28, v107, 16, 1
	s_delay_alu instid0(VALU_DEP_1)
	v_add3_u32 v28, v107, v28, 0x7fff
                                        ; implicit-def: $vgpr107
; %bb.2352:                             ;   in Loop: Header=BB8_2134 Depth=2
	s_and_not1_saveexec_b32 s23, s23
; %bb.2353:                             ;   in Loop: Header=BB8_2134 Depth=2
	v_and_b32_e32 v28, 0xffff, v107
	v_or_b32_e32 v108, 0x10000, v107
	s_delay_alu instid0(VALU_DEP_2) | instskip(NEXT) | instid1(VALU_DEP_2)
	v_cmp_eq_u32_e32 vcc_lo, 0, v28
	v_cndmask_b32_e32 v28, v108, v107, vcc_lo
; %bb.2354:                             ;   in Loop: Header=BB8_2134 Depth=2
	s_or_b32 exec_lo, exec_lo, s23
	v_lshlrev_b32_e32 v107, 16, v29
	s_delay_alu instid0(VALU_DEP_1) | instskip(NEXT) | instid1(VALU_DEP_1)
	v_mul_f32_e32 v108, v79, v107
	v_and_b32_e32 v107, 0x7f800000, v108
	s_delay_alu instid0(VALU_DEP_1) | instskip(SKIP_1) | instid1(SALU_CYCLE_1)
	v_cmp_ne_u32_e32 vcc_lo, 0x7f800000, v107
                                        ; implicit-def: $vgpr107
	s_and_saveexec_b32 s23, vcc_lo
	s_xor_b32 s23, exec_lo, s23
; %bb.2355:                             ;   in Loop: Header=BB8_2134 Depth=2
	v_bfe_u32 v107, v108, 16, 1
	s_delay_alu instid0(VALU_DEP_1)
	v_add3_u32 v107, v108, v107, 0x7fff
                                        ; implicit-def: $vgpr108
; %bb.2356:                             ;   in Loop: Header=BB8_2134 Depth=2
	s_and_not1_saveexec_b32 s23, s23
; %bb.2357:                             ;   in Loop: Header=BB8_2134 Depth=2
	v_and_b32_e32 v107, 0xffff, v108
	v_or_b32_e32 v109, 0x10000, v108
	s_delay_alu instid0(VALU_DEP_2) | instskip(NEXT) | instid1(VALU_DEP_2)
	v_cmp_eq_u32_e32 vcc_lo, 0, v107
	v_cndmask_b32_e32 v107, v109, v108, vcc_lo
; %bb.2358:                             ;   in Loop: Header=BB8_2134 Depth=2
	s_or_b32 exec_lo, exec_lo, s23
	v_and_b32_e32 v29, 0xffff0000, v29
	s_delay_alu instid0(VALU_DEP_1) | instskip(NEXT) | instid1(VALU_DEP_1)
	v_mul_f32_e32 v108, v79, v29
	v_and_b32_e32 v29, 0x7f800000, v108
	s_delay_alu instid0(VALU_DEP_1) | instskip(SKIP_1) | instid1(SALU_CYCLE_1)
	v_cmp_ne_u32_e32 vcc_lo, 0x7f800000, v29
                                        ; implicit-def: $vgpr29
	s_and_saveexec_b32 s23, vcc_lo
	s_xor_b32 s23, exec_lo, s23
; %bb.2359:                             ;   in Loop: Header=BB8_2134 Depth=2
	v_bfe_u32 v29, v108, 16, 1
	s_delay_alu instid0(VALU_DEP_1)
	v_add3_u32 v29, v108, v29, 0x7fff
                                        ; implicit-def: $vgpr108
; %bb.2360:                             ;   in Loop: Header=BB8_2134 Depth=2
	s_and_not1_saveexec_b32 s23, s23
; %bb.2361:                             ;   in Loop: Header=BB8_2134 Depth=2
	v_and_b32_e32 v29, 0xffff, v108
	v_or_b32_e32 v109, 0x10000, v108
	s_delay_alu instid0(VALU_DEP_2) | instskip(NEXT) | instid1(VALU_DEP_2)
	v_cmp_eq_u32_e32 vcc_lo, 0, v29
	v_cndmask_b32_e32 v29, v109, v108, vcc_lo
; %bb.2362:                             ;   in Loop: Header=BB8_2134 Depth=2
	s_or_b32 exec_lo, exec_lo, s23
	s_wait_loadcnt 0x0
	v_lshlrev_b32_e32 v108, 16, v22
	s_delay_alu instid0(VALU_DEP_1) | instskip(NEXT) | instid1(VALU_DEP_1)
	v_mul_f32_e32 v109, v79, v108
	v_and_b32_e32 v108, 0x7f800000, v109
	s_delay_alu instid0(VALU_DEP_1) | instskip(SKIP_1) | instid1(SALU_CYCLE_1)
	v_cmp_ne_u32_e32 vcc_lo, 0x7f800000, v108
                                        ; implicit-def: $vgpr108
	s_and_saveexec_b32 s23, vcc_lo
	s_xor_b32 s23, exec_lo, s23
; %bb.2363:                             ;   in Loop: Header=BB8_2134 Depth=2
	v_bfe_u32 v108, v109, 16, 1
	s_delay_alu instid0(VALU_DEP_1)
	v_add3_u32 v108, v109, v108, 0x7fff
                                        ; implicit-def: $vgpr109
; %bb.2364:                             ;   in Loop: Header=BB8_2134 Depth=2
	s_and_not1_saveexec_b32 s23, s23
; %bb.2365:                             ;   in Loop: Header=BB8_2134 Depth=2
	v_and_b32_e32 v108, 0xffff, v109
	v_or_b32_e32 v110, 0x10000, v109
	s_delay_alu instid0(VALU_DEP_2) | instskip(NEXT) | instid1(VALU_DEP_2)
	v_cmp_eq_u32_e32 vcc_lo, 0, v108
	v_cndmask_b32_e32 v108, v110, v109, vcc_lo
; %bb.2366:                             ;   in Loop: Header=BB8_2134 Depth=2
	s_or_b32 exec_lo, exec_lo, s23
	v_and_b32_e32 v22, 0xffff0000, v22
	s_delay_alu instid0(VALU_DEP_1) | instskip(NEXT) | instid1(VALU_DEP_1)
	v_mul_f32_e32 v109, v79, v22
	v_and_b32_e32 v22, 0x7f800000, v109
	s_delay_alu instid0(VALU_DEP_1) | instskip(SKIP_1) | instid1(SALU_CYCLE_1)
	v_cmp_ne_u32_e32 vcc_lo, 0x7f800000, v22
                                        ; implicit-def: $vgpr22
	s_and_saveexec_b32 s23, vcc_lo
	s_xor_b32 s23, exec_lo, s23
; %bb.2367:                             ;   in Loop: Header=BB8_2134 Depth=2
	v_bfe_u32 v22, v109, 16, 1
	s_delay_alu instid0(VALU_DEP_1)
	v_add3_u32 v22, v109, v22, 0x7fff
                                        ; implicit-def: $vgpr109
; %bb.2368:                             ;   in Loop: Header=BB8_2134 Depth=2
	s_and_not1_saveexec_b32 s23, s23
; %bb.2369:                             ;   in Loop: Header=BB8_2134 Depth=2
	v_and_b32_e32 v22, 0xffff, v109
	v_or_b32_e32 v110, 0x10000, v109
	s_delay_alu instid0(VALU_DEP_2) | instskip(NEXT) | instid1(VALU_DEP_2)
	v_cmp_eq_u32_e32 vcc_lo, 0, v22
	v_cndmask_b32_e32 v22, v110, v109, vcc_lo
; %bb.2370:                             ;   in Loop: Header=BB8_2134 Depth=2
	s_or_b32 exec_lo, exec_lo, s23
	v_lshlrev_b32_e32 v109, 16, v23
	s_delay_alu instid0(VALU_DEP_1) | instskip(NEXT) | instid1(VALU_DEP_1)
	v_mul_f32_e32 v110, v79, v109
	v_and_b32_e32 v109, 0x7f800000, v110
	s_delay_alu instid0(VALU_DEP_1) | instskip(SKIP_1) | instid1(SALU_CYCLE_1)
	v_cmp_ne_u32_e32 vcc_lo, 0x7f800000, v109
                                        ; implicit-def: $vgpr109
	s_and_saveexec_b32 s23, vcc_lo
	s_xor_b32 s23, exec_lo, s23
; %bb.2371:                             ;   in Loop: Header=BB8_2134 Depth=2
	v_bfe_u32 v109, v110, 16, 1
	s_delay_alu instid0(VALU_DEP_1)
	v_add3_u32 v109, v110, v109, 0x7fff
                                        ; implicit-def: $vgpr110
; %bb.2372:                             ;   in Loop: Header=BB8_2134 Depth=2
	s_and_not1_saveexec_b32 s23, s23
; %bb.2373:                             ;   in Loop: Header=BB8_2134 Depth=2
	v_and_b32_e32 v109, 0xffff, v110
	v_or_b32_e32 v111, 0x10000, v110
	s_delay_alu instid0(VALU_DEP_2) | instskip(NEXT) | instid1(VALU_DEP_2)
	v_cmp_eq_u32_e32 vcc_lo, 0, v109
	v_cndmask_b32_e32 v109, v111, v110, vcc_lo
; %bb.2374:                             ;   in Loop: Header=BB8_2134 Depth=2
	s_or_b32 exec_lo, exec_lo, s23
	v_and_b32_e32 v23, 0xffff0000, v23
	s_delay_alu instid0(VALU_DEP_1) | instskip(NEXT) | instid1(VALU_DEP_1)
	v_mul_f32_e32 v110, v79, v23
	v_and_b32_e32 v23, 0x7f800000, v110
	s_delay_alu instid0(VALU_DEP_1) | instskip(SKIP_1) | instid1(SALU_CYCLE_1)
	v_cmp_ne_u32_e32 vcc_lo, 0x7f800000, v23
                                        ; implicit-def: $vgpr23
	s_and_saveexec_b32 s23, vcc_lo
	s_xor_b32 s23, exec_lo, s23
; %bb.2375:                             ;   in Loop: Header=BB8_2134 Depth=2
	v_bfe_u32 v23, v110, 16, 1
	s_delay_alu instid0(VALU_DEP_1)
	v_add3_u32 v23, v110, v23, 0x7fff
                                        ; implicit-def: $vgpr110
; %bb.2376:                             ;   in Loop: Header=BB8_2134 Depth=2
	s_and_not1_saveexec_b32 s23, s23
; %bb.2377:                             ;   in Loop: Header=BB8_2134 Depth=2
	v_and_b32_e32 v23, 0xffff, v110
	v_or_b32_e32 v111, 0x10000, v110
	s_delay_alu instid0(VALU_DEP_2) | instskip(NEXT) | instid1(VALU_DEP_2)
	v_cmp_eq_u32_e32 vcc_lo, 0, v23
	v_cndmask_b32_e32 v23, v111, v110, vcc_lo
; %bb.2378:                             ;   in Loop: Header=BB8_2134 Depth=2
	s_or_b32 exec_lo, exec_lo, s23
	v_lshlrev_b32_e32 v110, 16, v24
	s_delay_alu instid0(VALU_DEP_1) | instskip(NEXT) | instid1(VALU_DEP_1)
	v_mul_f32_e32 v111, v79, v110
	v_and_b32_e32 v110, 0x7f800000, v111
	s_delay_alu instid0(VALU_DEP_1) | instskip(SKIP_1) | instid1(SALU_CYCLE_1)
	v_cmp_ne_u32_e32 vcc_lo, 0x7f800000, v110
                                        ; implicit-def: $vgpr110
	s_and_saveexec_b32 s23, vcc_lo
	s_xor_b32 s23, exec_lo, s23
; %bb.2379:                             ;   in Loop: Header=BB8_2134 Depth=2
	v_bfe_u32 v110, v111, 16, 1
	s_delay_alu instid0(VALU_DEP_1)
	v_add3_u32 v110, v111, v110, 0x7fff
                                        ; implicit-def: $vgpr111
; %bb.2380:                             ;   in Loop: Header=BB8_2134 Depth=2
	s_and_not1_saveexec_b32 s23, s23
; %bb.2381:                             ;   in Loop: Header=BB8_2134 Depth=2
	v_and_b32_e32 v110, 0xffff, v111
	v_or_b32_e32 v120, 0x10000, v111
	s_delay_alu instid0(VALU_DEP_2) | instskip(NEXT) | instid1(VALU_DEP_2)
	v_cmp_eq_u32_e32 vcc_lo, 0, v110
	v_cndmask_b32_e32 v110, v120, v111, vcc_lo
; %bb.2382:                             ;   in Loop: Header=BB8_2134 Depth=2
	s_or_b32 exec_lo, exec_lo, s23
	v_and_b32_e32 v24, 0xffff0000, v24
	s_delay_alu instid0(VALU_DEP_1) | instskip(NEXT) | instid1(VALU_DEP_1)
	v_mul_f32_e32 v111, v79, v24
	v_and_b32_e32 v24, 0x7f800000, v111
	s_delay_alu instid0(VALU_DEP_1) | instskip(SKIP_1) | instid1(SALU_CYCLE_1)
	v_cmp_ne_u32_e32 vcc_lo, 0x7f800000, v24
                                        ; implicit-def: $vgpr24
	s_and_saveexec_b32 s23, vcc_lo
	s_xor_b32 s23, exec_lo, s23
; %bb.2383:                             ;   in Loop: Header=BB8_2134 Depth=2
	v_bfe_u32 v24, v111, 16, 1
	s_delay_alu instid0(VALU_DEP_1)
	v_add3_u32 v24, v111, v24, 0x7fff
                                        ; implicit-def: $vgpr111
; %bb.2384:                             ;   in Loop: Header=BB8_2134 Depth=2
	s_and_not1_saveexec_b32 s23, s23
; %bb.2385:                             ;   in Loop: Header=BB8_2134 Depth=2
	v_and_b32_e32 v24, 0xffff, v111
	v_or_b32_e32 v120, 0x10000, v111
	s_delay_alu instid0(VALU_DEP_2) | instskip(NEXT) | instid1(VALU_DEP_2)
	v_cmp_eq_u32_e32 vcc_lo, 0, v24
	v_cndmask_b32_e32 v24, v120, v111, vcc_lo
; %bb.2386:                             ;   in Loop: Header=BB8_2134 Depth=2
	s_or_b32 exec_lo, exec_lo, s23
	v_lshlrev_b32_e32 v111, 16, v25
	s_delay_alu instid0(VALU_DEP_1) | instskip(NEXT) | instid1(VALU_DEP_1)
	v_mul_f32_e32 v120, v79, v111
	v_and_b32_e32 v111, 0x7f800000, v120
	s_delay_alu instid0(VALU_DEP_1) | instskip(SKIP_1) | instid1(SALU_CYCLE_1)
	v_cmp_ne_u32_e32 vcc_lo, 0x7f800000, v111
                                        ; implicit-def: $vgpr111
	s_and_saveexec_b32 s23, vcc_lo
	s_xor_b32 s23, exec_lo, s23
; %bb.2387:                             ;   in Loop: Header=BB8_2134 Depth=2
	v_bfe_u32 v111, v120, 16, 1
	s_delay_alu instid0(VALU_DEP_1)
	v_add3_u32 v111, v120, v111, 0x7fff
                                        ; implicit-def: $vgpr120
; %bb.2388:                             ;   in Loop: Header=BB8_2134 Depth=2
	s_and_not1_saveexec_b32 s23, s23
; %bb.2389:                             ;   in Loop: Header=BB8_2134 Depth=2
	v_and_b32_e32 v111, 0xffff, v120
	v_or_b32_e32 v121, 0x10000, v120
	s_delay_alu instid0(VALU_DEP_2) | instskip(NEXT) | instid1(VALU_DEP_2)
	v_cmp_eq_u32_e32 vcc_lo, 0, v111
	v_cndmask_b32_e32 v111, v121, v120, vcc_lo
; %bb.2390:                             ;   in Loop: Header=BB8_2134 Depth=2
	s_or_b32 exec_lo, exec_lo, s23
	v_and_b32_e32 v25, 0xffff0000, v25
	s_delay_alu instid0(VALU_DEP_1) | instskip(NEXT) | instid1(VALU_DEP_1)
	v_mul_f32_e32 v120, v79, v25
	v_and_b32_e32 v25, 0x7f800000, v120
	s_delay_alu instid0(VALU_DEP_1) | instskip(SKIP_1) | instid1(SALU_CYCLE_1)
	v_cmp_ne_u32_e32 vcc_lo, 0x7f800000, v25
                                        ; implicit-def: $vgpr25
	s_and_saveexec_b32 s23, vcc_lo
	s_xor_b32 s23, exec_lo, s23
; %bb.2391:                             ;   in Loop: Header=BB8_2134 Depth=2
	v_bfe_u32 v25, v120, 16, 1
	s_delay_alu instid0(VALU_DEP_1)
	v_add3_u32 v25, v120, v25, 0x7fff
                                        ; implicit-def: $vgpr120
; %bb.2392:                             ;   in Loop: Header=BB8_2134 Depth=2
	s_and_not1_saveexec_b32 s23, s23
	s_cbranch_execz .LBB8_2133
; %bb.2393:                             ;   in Loop: Header=BB8_2134 Depth=2
	v_and_b32_e32 v25, 0xffff, v120
	v_or_b32_e32 v121, 0x10000, v120
	s_delay_alu instid0(VALU_DEP_2) | instskip(NEXT) | instid1(VALU_DEP_2)
	v_cmp_eq_u32_e32 vcc_lo, 0, v25
	v_cndmask_b32_e32 v25, v121, v120, vcc_lo
	s_branch .LBB8_2133
.LBB8_2394:                             ;   in Loop: Header=BB8_2057 Depth=1
	v_dual_mov_b32 v10, v0 :: v_dual_mov_b32 v15, v62
	s_and_saveexec_b32 s10, s19
	s_cbranch_execnz .LBB8_2639
	s_branch .LBB8_2767
.LBB8_2395:                             ;   in Loop: Header=BB8_2057 Depth=1
	s_or_b32 exec_lo, exec_lo, s20
	s_delay_alu instid0(SALU_CYCLE_1)
	s_and_b32 s20, s21, exec_lo
.LBB8_2396:                             ;   in Loop: Header=BB8_2057 Depth=1
	s_or_b32 exec_lo, exec_lo, s10
	s_and_saveexec_b32 s10, s20
	s_cbranch_execz .LBB8_2526
; %bb.2397:                             ;   in Loop: Header=BB8_2057 Depth=1
	s_trap 2
	ds_load_b32 v22, v0
	s_wait_dscnt 0x0
	v_dual_lshlrev_b32 v23, 16, v22 :: v_dual_lshlrev_b32 v22, 16, v32
	s_delay_alu instid0(VALU_DEP_1) | instskip(NEXT) | instid1(VALU_DEP_1)
	v_mov_b32_e32 v24, v23
	v_pk_mul_f32 v[24:25], v[24:25], v[22:23]
	s_delay_alu instid0(VALU_DEP_1) | instskip(NEXT) | instid1(VALU_DEP_1)
	v_and_b32_e32 v22, 0x7f800000, v24
	v_cmp_ne_u32_e32 vcc_lo, 0x7f800000, v22
                                        ; implicit-def: $vgpr22
	s_and_saveexec_b32 s20, vcc_lo
	s_delay_alu instid0(SALU_CYCLE_1)
	s_xor_b32 s20, exec_lo, s20
; %bb.2398:                             ;   in Loop: Header=BB8_2057 Depth=1
	v_bfe_u32 v22, v24, 16, 1
	s_delay_alu instid0(VALU_DEP_1)
	v_add3_u32 v22, v24, v22, 0x7fff
                                        ; implicit-def: $vgpr24_vgpr25
; %bb.2399:                             ;   in Loop: Header=BB8_2057 Depth=1
	s_and_not1_saveexec_b32 s20, s20
; %bb.2400:                             ;   in Loop: Header=BB8_2057 Depth=1
	v_and_b32_e32 v22, 0xffff, v24
	v_or_b32_e32 v25, 0x10000, v24
	s_delay_alu instid0(VALU_DEP_2) | instskip(NEXT) | instid1(VALU_DEP_2)
	v_cmp_eq_u32_e32 vcc_lo, 0, v22
	v_cndmask_b32_e32 v22, v25, v24, vcc_lo
; %bb.2401:                             ;   in Loop: Header=BB8_2057 Depth=1
	s_or_b32 exec_lo, exec_lo, s20
	v_and_b32_e32 v24, 0xffff0000, v32
	s_delay_alu instid0(VALU_DEP_1) | instskip(NEXT) | instid1(VALU_DEP_1)
	v_mul_f32_e32 v25, v23, v24
	v_and_b32_e32 v24, 0x7f800000, v25
	s_delay_alu instid0(VALU_DEP_1) | instskip(SKIP_1) | instid1(SALU_CYCLE_1)
	v_cmp_ne_u32_e32 vcc_lo, 0x7f800000, v24
                                        ; implicit-def: $vgpr24
	s_and_saveexec_b32 s20, vcc_lo
	s_xor_b32 s20, exec_lo, s20
; %bb.2402:                             ;   in Loop: Header=BB8_2057 Depth=1
	v_bfe_u32 v24, v25, 16, 1
	s_delay_alu instid0(VALU_DEP_1)
	v_add3_u32 v24, v25, v24, 0x7fff
                                        ; implicit-def: $vgpr25
; %bb.2403:                             ;   in Loop: Header=BB8_2057 Depth=1
	s_and_not1_saveexec_b32 s20, s20
; %bb.2404:                             ;   in Loop: Header=BB8_2057 Depth=1
	v_and_b32_e32 v24, 0xffff, v25
	v_or_b32_e32 v26, 0x10000, v25
	s_delay_alu instid0(VALU_DEP_2) | instskip(NEXT) | instid1(VALU_DEP_2)
	v_cmp_eq_u32_e32 vcc_lo, 0, v24
	v_cndmask_b32_e32 v24, v26, v25, vcc_lo
; %bb.2405:                             ;   in Loop: Header=BB8_2057 Depth=1
	s_or_b32 exec_lo, exec_lo, s20
	v_lshlrev_b32_e32 v25, 16, v33
	s_delay_alu instid0(VALU_DEP_1) | instskip(NEXT) | instid1(VALU_DEP_1)
	v_mul_f32_e32 v26, v23, v25
	v_and_b32_e32 v25, 0x7f800000, v26
	s_delay_alu instid0(VALU_DEP_1) | instskip(SKIP_1) | instid1(SALU_CYCLE_1)
	v_cmp_ne_u32_e32 vcc_lo, 0x7f800000, v25
                                        ; implicit-def: $vgpr25
	s_and_saveexec_b32 s20, vcc_lo
	s_xor_b32 s20, exec_lo, s20
; %bb.2406:                             ;   in Loop: Header=BB8_2057 Depth=1
	v_bfe_u32 v25, v26, 16, 1
	s_delay_alu instid0(VALU_DEP_1)
	v_add3_u32 v25, v26, v25, 0x7fff
                                        ; implicit-def: $vgpr26
; %bb.2407:                             ;   in Loop: Header=BB8_2057 Depth=1
	s_and_not1_saveexec_b32 s20, s20
; %bb.2408:                             ;   in Loop: Header=BB8_2057 Depth=1
	v_and_b32_e32 v25, 0xffff, v26
	v_or_b32_e32 v27, 0x10000, v26
	s_delay_alu instid0(VALU_DEP_2) | instskip(NEXT) | instid1(VALU_DEP_2)
	v_cmp_eq_u32_e32 vcc_lo, 0, v25
	v_cndmask_b32_e32 v25, v27, v26, vcc_lo
; %bb.2409:                             ;   in Loop: Header=BB8_2057 Depth=1
	s_or_b32 exec_lo, exec_lo, s20
	v_and_b32_e32 v26, 0xffff0000, v33
	s_delay_alu instid0(VALU_DEP_1) | instskip(NEXT) | instid1(VALU_DEP_1)
	v_mul_f32_e32 v27, v23, v26
	v_and_b32_e32 v26, 0x7f800000, v27
	s_delay_alu instid0(VALU_DEP_1) | instskip(SKIP_1) | instid1(SALU_CYCLE_1)
	v_cmp_ne_u32_e32 vcc_lo, 0x7f800000, v26
                                        ; implicit-def: $vgpr26
	s_and_saveexec_b32 s20, vcc_lo
	s_xor_b32 s20, exec_lo, s20
; %bb.2410:                             ;   in Loop: Header=BB8_2057 Depth=1
	v_bfe_u32 v26, v27, 16, 1
	s_delay_alu instid0(VALU_DEP_1)
	v_add3_u32 v26, v27, v26, 0x7fff
                                        ; implicit-def: $vgpr27
; %bb.2411:                             ;   in Loop: Header=BB8_2057 Depth=1
	s_and_not1_saveexec_b32 s20, s20
; %bb.2412:                             ;   in Loop: Header=BB8_2057 Depth=1
	v_and_b32_e32 v26, 0xffff, v27
	v_or_b32_e32 v28, 0x10000, v27
	s_delay_alu instid0(VALU_DEP_2) | instskip(NEXT) | instid1(VALU_DEP_2)
	v_cmp_eq_u32_e32 vcc_lo, 0, v26
	v_cndmask_b32_e32 v26, v28, v27, vcc_lo
; %bb.2413:                             ;   in Loop: Header=BB8_2057 Depth=1
	s_or_b32 exec_lo, exec_lo, s20
	v_lshlrev_b32_e32 v27, 16, v34
	s_delay_alu instid0(VALU_DEP_1) | instskip(NEXT) | instid1(VALU_DEP_1)
	v_mul_f32_e32 v28, v23, v27
	v_and_b32_e32 v27, 0x7f800000, v28
	s_delay_alu instid0(VALU_DEP_1) | instskip(SKIP_1) | instid1(SALU_CYCLE_1)
	v_cmp_ne_u32_e32 vcc_lo, 0x7f800000, v27
                                        ; implicit-def: $vgpr27
	s_and_saveexec_b32 s20, vcc_lo
	s_xor_b32 s20, exec_lo, s20
; %bb.2414:                             ;   in Loop: Header=BB8_2057 Depth=1
	v_bfe_u32 v27, v28, 16, 1
	s_delay_alu instid0(VALU_DEP_1)
	v_add3_u32 v27, v28, v27, 0x7fff
                                        ; implicit-def: $vgpr28
; %bb.2415:                             ;   in Loop: Header=BB8_2057 Depth=1
	s_and_not1_saveexec_b32 s20, s20
; %bb.2416:                             ;   in Loop: Header=BB8_2057 Depth=1
	v_and_b32_e32 v27, 0xffff, v28
	v_or_b32_e32 v29, 0x10000, v28
	s_delay_alu instid0(VALU_DEP_2) | instskip(NEXT) | instid1(VALU_DEP_2)
	v_cmp_eq_u32_e32 vcc_lo, 0, v27
	v_cndmask_b32_e32 v27, v29, v28, vcc_lo
; %bb.2417:                             ;   in Loop: Header=BB8_2057 Depth=1
	s_or_b32 exec_lo, exec_lo, s20
	v_and_b32_e32 v28, 0xffff0000, v34
	s_delay_alu instid0(VALU_DEP_1) | instskip(NEXT) | instid1(VALU_DEP_1)
	v_mul_f32_e32 v29, v23, v28
	v_and_b32_e32 v28, 0x7f800000, v29
	s_delay_alu instid0(VALU_DEP_1) | instskip(SKIP_1) | instid1(SALU_CYCLE_1)
	v_cmp_ne_u32_e32 vcc_lo, 0x7f800000, v28
                                        ; implicit-def: $vgpr28
	s_and_saveexec_b32 s20, vcc_lo
	s_xor_b32 s20, exec_lo, s20
; %bb.2418:                             ;   in Loop: Header=BB8_2057 Depth=1
	v_bfe_u32 v28, v29, 16, 1
	s_delay_alu instid0(VALU_DEP_1)
	v_add3_u32 v28, v29, v28, 0x7fff
                                        ; implicit-def: $vgpr29
; %bb.2419:                             ;   in Loop: Header=BB8_2057 Depth=1
	s_and_not1_saveexec_b32 s20, s20
; %bb.2420:                             ;   in Loop: Header=BB8_2057 Depth=1
	v_and_b32_e32 v28, 0xffff, v29
	v_or_b32_e32 v32, 0x10000, v29
	s_delay_alu instid0(VALU_DEP_2) | instskip(NEXT) | instid1(VALU_DEP_2)
	v_cmp_eq_u32_e32 vcc_lo, 0, v28
	v_cndmask_b32_e32 v28, v32, v29, vcc_lo
; %bb.2421:                             ;   in Loop: Header=BB8_2057 Depth=1
	s_or_b32 exec_lo, exec_lo, s20
	v_lshlrev_b32_e32 v29, 16, v35
	s_delay_alu instid0(VALU_DEP_1) | instskip(NEXT) | instid1(VALU_DEP_1)
	v_mul_f32_e32 v32, v23, v29
	v_and_b32_e32 v29, 0x7f800000, v32
	s_delay_alu instid0(VALU_DEP_1) | instskip(SKIP_1) | instid1(SALU_CYCLE_1)
	v_cmp_ne_u32_e32 vcc_lo, 0x7f800000, v29
                                        ; implicit-def: $vgpr29
	s_and_saveexec_b32 s20, vcc_lo
	s_xor_b32 s20, exec_lo, s20
; %bb.2422:                             ;   in Loop: Header=BB8_2057 Depth=1
	v_bfe_u32 v29, v32, 16, 1
	s_delay_alu instid0(VALU_DEP_1)
	v_add3_u32 v29, v32, v29, 0x7fff
                                        ; implicit-def: $vgpr32
; %bb.2423:                             ;   in Loop: Header=BB8_2057 Depth=1
	s_and_not1_saveexec_b32 s20, s20
; %bb.2424:                             ;   in Loop: Header=BB8_2057 Depth=1
	v_and_b32_e32 v29, 0xffff, v32
	v_or_b32_e32 v33, 0x10000, v32
	s_delay_alu instid0(VALU_DEP_2) | instskip(NEXT) | instid1(VALU_DEP_2)
	v_cmp_eq_u32_e32 vcc_lo, 0, v29
	v_cndmask_b32_e32 v29, v33, v32, vcc_lo
; %bb.2425:                             ;   in Loop: Header=BB8_2057 Depth=1
	s_or_b32 exec_lo, exec_lo, s20
	v_and_b32_e32 v32, 0xffff0000, v35
	s_delay_alu instid0(VALU_DEP_1) | instskip(NEXT) | instid1(VALU_DEP_1)
	v_mul_f32_e32 v33, v23, v32
	v_and_b32_e32 v32, 0x7f800000, v33
	s_delay_alu instid0(VALU_DEP_1) | instskip(SKIP_1) | instid1(SALU_CYCLE_1)
	v_cmp_ne_u32_e32 vcc_lo, 0x7f800000, v32
                                        ; implicit-def: $vgpr32
	s_and_saveexec_b32 s20, vcc_lo
	s_xor_b32 s20, exec_lo, s20
; %bb.2426:                             ;   in Loop: Header=BB8_2057 Depth=1
	v_bfe_u32 v32, v33, 16, 1
	s_delay_alu instid0(VALU_DEP_1)
	v_add3_u32 v32, v33, v32, 0x7fff
                                        ; implicit-def: $vgpr33
; %bb.2427:                             ;   in Loop: Header=BB8_2057 Depth=1
	s_and_not1_saveexec_b32 s20, s20
; %bb.2428:                             ;   in Loop: Header=BB8_2057 Depth=1
	v_and_b32_e32 v32, 0xffff, v33
	v_or_b32_e32 v34, 0x10000, v33
	s_delay_alu instid0(VALU_DEP_2) | instskip(NEXT) | instid1(VALU_DEP_2)
	v_cmp_eq_u32_e32 vcc_lo, 0, v32
	v_cndmask_b32_e32 v32, v34, v33, vcc_lo
; %bb.2429:                             ;   in Loop: Header=BB8_2057 Depth=1
	s_or_b32 exec_lo, exec_lo, s20
	v_lshlrev_b32_e32 v33, 16, v18
	s_delay_alu instid0(VALU_DEP_1) | instskip(NEXT) | instid1(VALU_DEP_1)
	v_mul_f32_e32 v34, v23, v33
	v_and_b32_e32 v33, 0x7f800000, v34
	s_delay_alu instid0(VALU_DEP_1) | instskip(SKIP_1) | instid1(SALU_CYCLE_1)
	v_cmp_ne_u32_e32 vcc_lo, 0x7f800000, v33
                                        ; implicit-def: $vgpr33
	s_and_saveexec_b32 s20, vcc_lo
	s_xor_b32 s20, exec_lo, s20
; %bb.2430:                             ;   in Loop: Header=BB8_2057 Depth=1
	v_bfe_u32 v33, v34, 16, 1
	s_delay_alu instid0(VALU_DEP_1)
	v_add3_u32 v33, v34, v33, 0x7fff
                                        ; implicit-def: $vgpr34
; %bb.2431:                             ;   in Loop: Header=BB8_2057 Depth=1
	s_and_not1_saveexec_b32 s20, s20
; %bb.2432:                             ;   in Loop: Header=BB8_2057 Depth=1
	v_and_b32_e32 v33, 0xffff, v34
	v_or_b32_e32 v35, 0x10000, v34
	s_delay_alu instid0(VALU_DEP_2) | instskip(NEXT) | instid1(VALU_DEP_2)
	v_cmp_eq_u32_e32 vcc_lo, 0, v33
	v_cndmask_b32_e32 v33, v35, v34, vcc_lo
; %bb.2433:                             ;   in Loop: Header=BB8_2057 Depth=1
	s_or_b32 exec_lo, exec_lo, s20
	v_and_b32_e32 v18, 0xffff0000, v18
	s_delay_alu instid0(VALU_DEP_1) | instskip(NEXT) | instid1(VALU_DEP_1)
	v_mul_f32_e32 v34, v23, v18
	v_and_b32_e32 v18, 0x7f800000, v34
	s_delay_alu instid0(VALU_DEP_1) | instskip(SKIP_1) | instid1(SALU_CYCLE_1)
	v_cmp_ne_u32_e32 vcc_lo, 0x7f800000, v18
                                        ; implicit-def: $vgpr18
	s_and_saveexec_b32 s20, vcc_lo
	s_xor_b32 s20, exec_lo, s20
; %bb.2434:                             ;   in Loop: Header=BB8_2057 Depth=1
	v_bfe_u32 v18, v34, 16, 1
	s_delay_alu instid0(VALU_DEP_1)
	v_add3_u32 v18, v34, v18, 0x7fff
                                        ; implicit-def: $vgpr34
; %bb.2435:                             ;   in Loop: Header=BB8_2057 Depth=1
	s_and_not1_saveexec_b32 s20, s20
; %bb.2436:                             ;   in Loop: Header=BB8_2057 Depth=1
	v_and_b32_e32 v18, 0xffff, v34
	v_or_b32_e32 v35, 0x10000, v34
	s_delay_alu instid0(VALU_DEP_2) | instskip(NEXT) | instid1(VALU_DEP_2)
	v_cmp_eq_u32_e32 vcc_lo, 0, v18
	v_cndmask_b32_e32 v18, v35, v34, vcc_lo
; %bb.2437:                             ;   in Loop: Header=BB8_2057 Depth=1
	s_or_b32 exec_lo, exec_lo, s20
	v_lshlrev_b32_e32 v34, 16, v19
	s_delay_alu instid0(VALU_DEP_1) | instskip(NEXT) | instid1(VALU_DEP_1)
	v_mul_f32_e32 v35, v23, v34
	v_and_b32_e32 v34, 0x7f800000, v35
	s_delay_alu instid0(VALU_DEP_1) | instskip(SKIP_1) | instid1(SALU_CYCLE_1)
	v_cmp_ne_u32_e32 vcc_lo, 0x7f800000, v34
                                        ; implicit-def: $vgpr34
	s_and_saveexec_b32 s20, vcc_lo
	s_xor_b32 s20, exec_lo, s20
; %bb.2438:                             ;   in Loop: Header=BB8_2057 Depth=1
	v_bfe_u32 v34, v35, 16, 1
	s_delay_alu instid0(VALU_DEP_1)
	v_add3_u32 v34, v35, v34, 0x7fff
                                        ; implicit-def: $vgpr35
; %bb.2439:                             ;   in Loop: Header=BB8_2057 Depth=1
	s_and_not1_saveexec_b32 s20, s20
; %bb.2440:                             ;   in Loop: Header=BB8_2057 Depth=1
	v_and_b32_e32 v34, 0xffff, v35
	v_or_b32_e32 v36, 0x10000, v35
	s_delay_alu instid0(VALU_DEP_2) | instskip(NEXT) | instid1(VALU_DEP_2)
	v_cmp_eq_u32_e32 vcc_lo, 0, v34
	v_cndmask_b32_e32 v34, v36, v35, vcc_lo
; %bb.2441:                             ;   in Loop: Header=BB8_2057 Depth=1
	s_or_b32 exec_lo, exec_lo, s20
	v_and_b32_e32 v19, 0xffff0000, v19
	s_delay_alu instid0(VALU_DEP_1) | instskip(NEXT) | instid1(VALU_DEP_1)
	v_mul_f32_e32 v35, v23, v19
	v_and_b32_e32 v19, 0x7f800000, v35
	s_delay_alu instid0(VALU_DEP_1) | instskip(SKIP_1) | instid1(SALU_CYCLE_1)
	v_cmp_ne_u32_e32 vcc_lo, 0x7f800000, v19
                                        ; implicit-def: $vgpr19
	s_and_saveexec_b32 s20, vcc_lo
	s_xor_b32 s20, exec_lo, s20
; %bb.2442:                             ;   in Loop: Header=BB8_2057 Depth=1
	v_bfe_u32 v19, v35, 16, 1
	s_delay_alu instid0(VALU_DEP_1)
	v_add3_u32 v19, v35, v19, 0x7fff
                                        ; implicit-def: $vgpr35
; %bb.2443:                             ;   in Loop: Header=BB8_2057 Depth=1
	s_and_not1_saveexec_b32 s20, s20
; %bb.2444:                             ;   in Loop: Header=BB8_2057 Depth=1
	v_and_b32_e32 v19, 0xffff, v35
	v_or_b32_e32 v36, 0x10000, v35
	s_delay_alu instid0(VALU_DEP_2) | instskip(NEXT) | instid1(VALU_DEP_2)
	v_cmp_eq_u32_e32 vcc_lo, 0, v19
	v_cndmask_b32_e32 v19, v36, v35, vcc_lo
; %bb.2445:                             ;   in Loop: Header=BB8_2057 Depth=1
	s_or_b32 exec_lo, exec_lo, s20
	v_lshlrev_b32_e32 v35, 16, v20
	s_delay_alu instid0(VALU_DEP_1) | instskip(NEXT) | instid1(VALU_DEP_1)
	v_mul_f32_e32 v36, v23, v35
	v_and_b32_e32 v35, 0x7f800000, v36
	s_delay_alu instid0(VALU_DEP_1) | instskip(SKIP_1) | instid1(SALU_CYCLE_1)
	v_cmp_ne_u32_e32 vcc_lo, 0x7f800000, v35
                                        ; implicit-def: $vgpr35
	s_and_saveexec_b32 s20, vcc_lo
	s_xor_b32 s20, exec_lo, s20
; %bb.2446:                             ;   in Loop: Header=BB8_2057 Depth=1
	v_bfe_u32 v35, v36, 16, 1
	s_delay_alu instid0(VALU_DEP_1)
	v_add3_u32 v35, v36, v35, 0x7fff
                                        ; implicit-def: $vgpr36
; %bb.2447:                             ;   in Loop: Header=BB8_2057 Depth=1
	s_and_not1_saveexec_b32 s20, s20
; %bb.2448:                             ;   in Loop: Header=BB8_2057 Depth=1
	v_and_b32_e32 v35, 0xffff, v36
	v_or_b32_e32 v37, 0x10000, v36
	s_delay_alu instid0(VALU_DEP_2) | instskip(NEXT) | instid1(VALU_DEP_2)
	v_cmp_eq_u32_e32 vcc_lo, 0, v35
	v_cndmask_b32_e32 v35, v37, v36, vcc_lo
; %bb.2449:                             ;   in Loop: Header=BB8_2057 Depth=1
	s_or_b32 exec_lo, exec_lo, s20
	v_and_b32_e32 v20, 0xffff0000, v20
	s_delay_alu instid0(VALU_DEP_1) | instskip(NEXT) | instid1(VALU_DEP_1)
	v_mul_f32_e32 v36, v23, v20
	v_and_b32_e32 v20, 0x7f800000, v36
	s_delay_alu instid0(VALU_DEP_1) | instskip(SKIP_1) | instid1(SALU_CYCLE_1)
	v_cmp_ne_u32_e32 vcc_lo, 0x7f800000, v20
                                        ; implicit-def: $vgpr20
	s_and_saveexec_b32 s20, vcc_lo
	s_xor_b32 s20, exec_lo, s20
; %bb.2450:                             ;   in Loop: Header=BB8_2057 Depth=1
	v_bfe_u32 v20, v36, 16, 1
	s_delay_alu instid0(VALU_DEP_1)
	v_add3_u32 v20, v36, v20, 0x7fff
                                        ; implicit-def: $vgpr36
; %bb.2451:                             ;   in Loop: Header=BB8_2057 Depth=1
	s_and_not1_saveexec_b32 s20, s20
; %bb.2452:                             ;   in Loop: Header=BB8_2057 Depth=1
	v_and_b32_e32 v20, 0xffff, v36
	v_or_b32_e32 v37, 0x10000, v36
	s_delay_alu instid0(VALU_DEP_2) | instskip(NEXT) | instid1(VALU_DEP_2)
	v_cmp_eq_u32_e32 vcc_lo, 0, v20
	v_cndmask_b32_e32 v20, v37, v36, vcc_lo
; %bb.2453:                             ;   in Loop: Header=BB8_2057 Depth=1
	s_or_b32 exec_lo, exec_lo, s20
	v_lshlrev_b32_e32 v36, 16, v21
	s_delay_alu instid0(VALU_DEP_1) | instskip(NEXT) | instid1(VALU_DEP_1)
	v_mul_f32_e32 v37, v23, v36
	v_and_b32_e32 v36, 0x7f800000, v37
	s_delay_alu instid0(VALU_DEP_1) | instskip(SKIP_1) | instid1(SALU_CYCLE_1)
	v_cmp_ne_u32_e32 vcc_lo, 0x7f800000, v36
                                        ; implicit-def: $vgpr36
	s_and_saveexec_b32 s20, vcc_lo
	s_xor_b32 s20, exec_lo, s20
; %bb.2454:                             ;   in Loop: Header=BB8_2057 Depth=1
	v_bfe_u32 v36, v37, 16, 1
	s_delay_alu instid0(VALU_DEP_1)
	v_add3_u32 v36, v37, v36, 0x7fff
                                        ; implicit-def: $vgpr37
; %bb.2455:                             ;   in Loop: Header=BB8_2057 Depth=1
	s_and_not1_saveexec_b32 s20, s20
; %bb.2456:                             ;   in Loop: Header=BB8_2057 Depth=1
	v_and_b32_e32 v36, 0xffff, v37
	v_or_b32_e32 v38, 0x10000, v37
	s_delay_alu instid0(VALU_DEP_2) | instskip(NEXT) | instid1(VALU_DEP_2)
	v_cmp_eq_u32_e32 vcc_lo, 0, v36
	v_cndmask_b32_e32 v36, v38, v37, vcc_lo
; %bb.2457:                             ;   in Loop: Header=BB8_2057 Depth=1
	s_or_b32 exec_lo, exec_lo, s20
	v_and_b32_e32 v21, 0xffff0000, v21
	s_delay_alu instid0(VALU_DEP_1) | instskip(NEXT) | instid1(VALU_DEP_1)
	v_mul_f32_e32 v37, v23, v21
	v_and_b32_e32 v21, 0x7f800000, v37
	s_delay_alu instid0(VALU_DEP_1) | instskip(SKIP_1) | instid1(SALU_CYCLE_1)
	v_cmp_ne_u32_e32 vcc_lo, 0x7f800000, v21
                                        ; implicit-def: $vgpr21
	s_and_saveexec_b32 s20, vcc_lo
	s_xor_b32 s20, exec_lo, s20
; %bb.2458:                             ;   in Loop: Header=BB8_2057 Depth=1
	v_bfe_u32 v21, v37, 16, 1
	s_delay_alu instid0(VALU_DEP_1)
	v_add3_u32 v21, v37, v21, 0x7fff
                                        ; implicit-def: $vgpr37
; %bb.2459:                             ;   in Loop: Header=BB8_2057 Depth=1
	s_and_not1_saveexec_b32 s20, s20
; %bb.2460:                             ;   in Loop: Header=BB8_2057 Depth=1
	v_and_b32_e32 v21, 0xffff, v37
	v_or_b32_e32 v38, 0x10000, v37
	s_delay_alu instid0(VALU_DEP_2) | instskip(NEXT) | instid1(VALU_DEP_2)
	v_cmp_eq_u32_e32 vcc_lo, 0, v21
	v_cndmask_b32_e32 v21, v38, v37, vcc_lo
; %bb.2461:                             ;   in Loop: Header=BB8_2057 Depth=1
	s_or_b32 exec_lo, exec_lo, s20
	v_lshlrev_b32_e32 v37, 16, v14
	s_delay_alu instid0(VALU_DEP_1) | instskip(NEXT) | instid1(VALU_DEP_1)
	v_mul_f32_e32 v38, v23, v37
	v_and_b32_e32 v37, 0x7f800000, v38
	s_delay_alu instid0(VALU_DEP_1) | instskip(SKIP_1) | instid1(SALU_CYCLE_1)
	v_cmp_ne_u32_e32 vcc_lo, 0x7f800000, v37
                                        ; implicit-def: $vgpr37
	s_and_saveexec_b32 s20, vcc_lo
	s_xor_b32 s20, exec_lo, s20
; %bb.2462:                             ;   in Loop: Header=BB8_2057 Depth=1
	v_bfe_u32 v37, v38, 16, 1
	s_delay_alu instid0(VALU_DEP_1)
	v_add3_u32 v37, v38, v37, 0x7fff
                                        ; implicit-def: $vgpr38
; %bb.2463:                             ;   in Loop: Header=BB8_2057 Depth=1
	s_and_not1_saveexec_b32 s20, s20
; %bb.2464:                             ;   in Loop: Header=BB8_2057 Depth=1
	v_and_b32_e32 v37, 0xffff, v38
	v_or_b32_e32 v39, 0x10000, v38
	s_delay_alu instid0(VALU_DEP_2) | instskip(NEXT) | instid1(VALU_DEP_2)
	v_cmp_eq_u32_e32 vcc_lo, 0, v37
	v_cndmask_b32_e32 v37, v39, v38, vcc_lo
; %bb.2465:                             ;   in Loop: Header=BB8_2057 Depth=1
	s_or_b32 exec_lo, exec_lo, s20
	v_and_b32_e32 v14, 0xffff0000, v14
	s_delay_alu instid0(VALU_DEP_1) | instskip(NEXT) | instid1(VALU_DEP_1)
	v_mul_f32_e32 v38, v23, v14
	v_and_b32_e32 v14, 0x7f800000, v38
	s_delay_alu instid0(VALU_DEP_1) | instskip(SKIP_1) | instid1(SALU_CYCLE_1)
	v_cmp_ne_u32_e32 vcc_lo, 0x7f800000, v14
                                        ; implicit-def: $vgpr14
	s_and_saveexec_b32 s20, vcc_lo
	s_xor_b32 s20, exec_lo, s20
; %bb.2466:                             ;   in Loop: Header=BB8_2057 Depth=1
	v_bfe_u32 v14, v38, 16, 1
	s_delay_alu instid0(VALU_DEP_1)
	v_add3_u32 v14, v38, v14, 0x7fff
                                        ; implicit-def: $vgpr38
; %bb.2467:                             ;   in Loop: Header=BB8_2057 Depth=1
	s_and_not1_saveexec_b32 s20, s20
; %bb.2468:                             ;   in Loop: Header=BB8_2057 Depth=1
	v_and_b32_e32 v14, 0xffff, v38
	v_or_b32_e32 v39, 0x10000, v38
	s_delay_alu instid0(VALU_DEP_2) | instskip(NEXT) | instid1(VALU_DEP_2)
	v_cmp_eq_u32_e32 vcc_lo, 0, v14
	v_cndmask_b32_e32 v14, v39, v38, vcc_lo
; %bb.2469:                             ;   in Loop: Header=BB8_2057 Depth=1
	s_or_b32 exec_lo, exec_lo, s20
	v_lshlrev_b32_e32 v38, 16, v15
	s_delay_alu instid0(VALU_DEP_1) | instskip(NEXT) | instid1(VALU_DEP_1)
	v_mul_f32_e32 v39, v23, v38
	v_and_b32_e32 v38, 0x7f800000, v39
	s_delay_alu instid0(VALU_DEP_1) | instskip(SKIP_1) | instid1(SALU_CYCLE_1)
	v_cmp_ne_u32_e32 vcc_lo, 0x7f800000, v38
                                        ; implicit-def: $vgpr38
	s_and_saveexec_b32 s20, vcc_lo
	s_xor_b32 s20, exec_lo, s20
; %bb.2470:                             ;   in Loop: Header=BB8_2057 Depth=1
	v_bfe_u32 v38, v39, 16, 1
	s_delay_alu instid0(VALU_DEP_1)
	v_add3_u32 v38, v39, v38, 0x7fff
                                        ; implicit-def: $vgpr39
; %bb.2471:                             ;   in Loop: Header=BB8_2057 Depth=1
	s_and_not1_saveexec_b32 s20, s20
; %bb.2472:                             ;   in Loop: Header=BB8_2057 Depth=1
	v_and_b32_e32 v38, 0xffff, v39
	v_or_b32_e32 v48, 0x10000, v39
	s_delay_alu instid0(VALU_DEP_2) | instskip(NEXT) | instid1(VALU_DEP_2)
	v_cmp_eq_u32_e32 vcc_lo, 0, v38
	v_cndmask_b32_e32 v38, v48, v39, vcc_lo
; %bb.2473:                             ;   in Loop: Header=BB8_2057 Depth=1
	s_or_b32 exec_lo, exec_lo, s20
	v_and_b32_e32 v15, 0xffff0000, v15
	s_delay_alu instid0(VALU_DEP_1) | instskip(NEXT) | instid1(VALU_DEP_1)
	v_mul_f32_e32 v39, v23, v15
	v_and_b32_e32 v15, 0x7f800000, v39
	s_delay_alu instid0(VALU_DEP_1) | instskip(SKIP_1) | instid1(SALU_CYCLE_1)
	v_cmp_ne_u32_e32 vcc_lo, 0x7f800000, v15
                                        ; implicit-def: $vgpr15
	s_and_saveexec_b32 s20, vcc_lo
	s_xor_b32 s20, exec_lo, s20
; %bb.2474:                             ;   in Loop: Header=BB8_2057 Depth=1
	v_bfe_u32 v15, v39, 16, 1
	s_delay_alu instid0(VALU_DEP_1)
	v_add3_u32 v15, v39, v15, 0x7fff
                                        ; implicit-def: $vgpr39
; %bb.2475:                             ;   in Loop: Header=BB8_2057 Depth=1
	s_and_not1_saveexec_b32 s20, s20
; %bb.2476:                             ;   in Loop: Header=BB8_2057 Depth=1
	v_and_b32_e32 v15, 0xffff, v39
	v_or_b32_e32 v48, 0x10000, v39
	s_delay_alu instid0(VALU_DEP_2) | instskip(NEXT) | instid1(VALU_DEP_2)
	v_cmp_eq_u32_e32 vcc_lo, 0, v15
	v_cndmask_b32_e32 v15, v48, v39, vcc_lo
; %bb.2477:                             ;   in Loop: Header=BB8_2057 Depth=1
	s_or_b32 exec_lo, exec_lo, s20
	v_lshlrev_b32_e32 v39, 16, v16
	s_delay_alu instid0(VALU_DEP_1) | instskip(NEXT) | instid1(VALU_DEP_1)
	v_mul_f32_e32 v48, v23, v39
	v_and_b32_e32 v39, 0x7f800000, v48
	s_delay_alu instid0(VALU_DEP_1) | instskip(SKIP_1) | instid1(SALU_CYCLE_1)
	v_cmp_ne_u32_e32 vcc_lo, 0x7f800000, v39
                                        ; implicit-def: $vgpr39
	s_and_saveexec_b32 s20, vcc_lo
	s_xor_b32 s20, exec_lo, s20
; %bb.2478:                             ;   in Loop: Header=BB8_2057 Depth=1
	v_bfe_u32 v39, v48, 16, 1
	s_delay_alu instid0(VALU_DEP_1)
	v_add3_u32 v39, v48, v39, 0x7fff
                                        ; implicit-def: $vgpr48
; %bb.2479:                             ;   in Loop: Header=BB8_2057 Depth=1
	s_and_not1_saveexec_b32 s20, s20
; %bb.2480:                             ;   in Loop: Header=BB8_2057 Depth=1
	v_and_b32_e32 v39, 0xffff, v48
	v_or_b32_e32 v49, 0x10000, v48
	s_delay_alu instid0(VALU_DEP_2) | instskip(NEXT) | instid1(VALU_DEP_2)
	v_cmp_eq_u32_e32 vcc_lo, 0, v39
	v_cndmask_b32_e32 v39, v49, v48, vcc_lo
; %bb.2481:                             ;   in Loop: Header=BB8_2057 Depth=1
	s_or_b32 exec_lo, exec_lo, s20
	v_and_b32_e32 v16, 0xffff0000, v16
	s_delay_alu instid0(VALU_DEP_1) | instskip(NEXT) | instid1(VALU_DEP_1)
	v_mul_f32_e32 v48, v23, v16
	v_and_b32_e32 v16, 0x7f800000, v48
	s_delay_alu instid0(VALU_DEP_1) | instskip(SKIP_1) | instid1(SALU_CYCLE_1)
	v_cmp_ne_u32_e32 vcc_lo, 0x7f800000, v16
                                        ; implicit-def: $vgpr16
	s_and_saveexec_b32 s20, vcc_lo
	s_xor_b32 s20, exec_lo, s20
; %bb.2482:                             ;   in Loop: Header=BB8_2057 Depth=1
	v_bfe_u32 v16, v48, 16, 1
	s_delay_alu instid0(VALU_DEP_1)
	v_add3_u32 v16, v48, v16, 0x7fff
                                        ; implicit-def: $vgpr48
; %bb.2483:                             ;   in Loop: Header=BB8_2057 Depth=1
	s_and_not1_saveexec_b32 s20, s20
; %bb.2484:                             ;   in Loop: Header=BB8_2057 Depth=1
	v_and_b32_e32 v16, 0xffff, v48
	v_or_b32_e32 v49, 0x10000, v48
	s_delay_alu instid0(VALU_DEP_2) | instskip(NEXT) | instid1(VALU_DEP_2)
	v_cmp_eq_u32_e32 vcc_lo, 0, v16
	v_cndmask_b32_e32 v16, v49, v48, vcc_lo
; %bb.2485:                             ;   in Loop: Header=BB8_2057 Depth=1
	s_or_b32 exec_lo, exec_lo, s20
	v_lshlrev_b32_e32 v48, 16, v17
	s_delay_alu instid0(VALU_DEP_1) | instskip(NEXT) | instid1(VALU_DEP_1)
	v_mul_f32_e32 v49, v23, v48
	v_and_b32_e32 v48, 0x7f800000, v49
	s_delay_alu instid0(VALU_DEP_1) | instskip(SKIP_1) | instid1(SALU_CYCLE_1)
	v_cmp_ne_u32_e32 vcc_lo, 0x7f800000, v48
                                        ; implicit-def: $vgpr48
	s_and_saveexec_b32 s20, vcc_lo
	s_xor_b32 s20, exec_lo, s20
; %bb.2486:                             ;   in Loop: Header=BB8_2057 Depth=1
	v_bfe_u32 v48, v49, 16, 1
	s_delay_alu instid0(VALU_DEP_1)
	v_add3_u32 v48, v49, v48, 0x7fff
                                        ; implicit-def: $vgpr49
; %bb.2487:                             ;   in Loop: Header=BB8_2057 Depth=1
	s_and_not1_saveexec_b32 s20, s20
; %bb.2488:                             ;   in Loop: Header=BB8_2057 Depth=1
	v_and_b32_e32 v48, 0xffff, v49
	v_or_b32_e32 v50, 0x10000, v49
	s_delay_alu instid0(VALU_DEP_2) | instskip(NEXT) | instid1(VALU_DEP_2)
	v_cmp_eq_u32_e32 vcc_lo, 0, v48
	v_cndmask_b32_e32 v48, v50, v49, vcc_lo
; %bb.2489:                             ;   in Loop: Header=BB8_2057 Depth=1
	s_or_b32 exec_lo, exec_lo, s20
	v_and_b32_e32 v17, 0xffff0000, v17
	s_delay_alu instid0(VALU_DEP_1) | instskip(NEXT) | instid1(VALU_DEP_1)
	v_mul_f32_e32 v49, v23, v17
	v_and_b32_e32 v17, 0x7f800000, v49
	s_delay_alu instid0(VALU_DEP_1) | instskip(SKIP_1) | instid1(SALU_CYCLE_1)
	v_cmp_ne_u32_e32 vcc_lo, 0x7f800000, v17
                                        ; implicit-def: $vgpr17
	s_and_saveexec_b32 s20, vcc_lo
	s_xor_b32 s20, exec_lo, s20
; %bb.2490:                             ;   in Loop: Header=BB8_2057 Depth=1
	v_bfe_u32 v17, v49, 16, 1
	s_delay_alu instid0(VALU_DEP_1)
	v_add3_u32 v17, v49, v17, 0x7fff
                                        ; implicit-def: $vgpr49
; %bb.2491:                             ;   in Loop: Header=BB8_2057 Depth=1
	s_and_not1_saveexec_b32 s20, s20
; %bb.2492:                             ;   in Loop: Header=BB8_2057 Depth=1
	v_and_b32_e32 v17, 0xffff, v49
	v_or_b32_e32 v50, 0x10000, v49
	s_delay_alu instid0(VALU_DEP_2) | instskip(NEXT) | instid1(VALU_DEP_2)
	v_cmp_eq_u32_e32 vcc_lo, 0, v17
	v_cndmask_b32_e32 v17, v50, v49, vcc_lo
; %bb.2493:                             ;   in Loop: Header=BB8_2057 Depth=1
	s_or_b32 exec_lo, exec_lo, s20
	v_lshlrev_b32_e32 v49, 16, v10
	s_delay_alu instid0(VALU_DEP_1) | instskip(NEXT) | instid1(VALU_DEP_1)
	v_mul_f32_e32 v50, v23, v49
	v_and_b32_e32 v49, 0x7f800000, v50
	s_delay_alu instid0(VALU_DEP_1) | instskip(SKIP_1) | instid1(SALU_CYCLE_1)
	v_cmp_ne_u32_e32 vcc_lo, 0x7f800000, v49
                                        ; implicit-def: $vgpr49
	s_and_saveexec_b32 s20, vcc_lo
	s_xor_b32 s20, exec_lo, s20
; %bb.2494:                             ;   in Loop: Header=BB8_2057 Depth=1
	v_bfe_u32 v49, v50, 16, 1
	s_delay_alu instid0(VALU_DEP_1)
	v_add3_u32 v49, v50, v49, 0x7fff
                                        ; implicit-def: $vgpr50
; %bb.2495:                             ;   in Loop: Header=BB8_2057 Depth=1
	s_and_not1_saveexec_b32 s20, s20
; %bb.2496:                             ;   in Loop: Header=BB8_2057 Depth=1
	v_and_b32_e32 v49, 0xffff, v50
	v_or_b32_e32 v51, 0x10000, v50
	s_delay_alu instid0(VALU_DEP_2) | instskip(NEXT) | instid1(VALU_DEP_2)
	v_cmp_eq_u32_e32 vcc_lo, 0, v49
	v_cndmask_b32_e32 v49, v51, v50, vcc_lo
; %bb.2497:                             ;   in Loop: Header=BB8_2057 Depth=1
	s_or_b32 exec_lo, exec_lo, s20
	v_and_b32_e32 v10, 0xffff0000, v10
	s_delay_alu instid0(VALU_DEP_1) | instskip(NEXT) | instid1(VALU_DEP_1)
	v_mul_f32_e32 v50, v23, v10
	v_and_b32_e32 v10, 0x7f800000, v50
	s_delay_alu instid0(VALU_DEP_1) | instskip(SKIP_1) | instid1(SALU_CYCLE_1)
	v_cmp_ne_u32_e32 vcc_lo, 0x7f800000, v10
                                        ; implicit-def: $vgpr10
	s_and_saveexec_b32 s20, vcc_lo
	s_xor_b32 s20, exec_lo, s20
; %bb.2498:                             ;   in Loop: Header=BB8_2057 Depth=1
	v_bfe_u32 v10, v50, 16, 1
	s_delay_alu instid0(VALU_DEP_1)
	v_add3_u32 v10, v50, v10, 0x7fff
                                        ; implicit-def: $vgpr50
; %bb.2499:                             ;   in Loop: Header=BB8_2057 Depth=1
	s_and_not1_saveexec_b32 s20, s20
; %bb.2500:                             ;   in Loop: Header=BB8_2057 Depth=1
	v_and_b32_e32 v10, 0xffff, v50
	v_or_b32_e32 v51, 0x10000, v50
	s_delay_alu instid0(VALU_DEP_2) | instskip(NEXT) | instid1(VALU_DEP_2)
	v_cmp_eq_u32_e32 vcc_lo, 0, v10
	v_cndmask_b32_e32 v10, v51, v50, vcc_lo
; %bb.2501:                             ;   in Loop: Header=BB8_2057 Depth=1
	s_or_b32 exec_lo, exec_lo, s20
	v_lshlrev_b32_e32 v50, 16, v11
	s_delay_alu instid0(VALU_DEP_1) | instskip(NEXT) | instid1(VALU_DEP_1)
	v_mul_f32_e32 v51, v23, v50
	v_and_b32_e32 v50, 0x7f800000, v51
	s_delay_alu instid0(VALU_DEP_1) | instskip(SKIP_1) | instid1(SALU_CYCLE_1)
	v_cmp_ne_u32_e32 vcc_lo, 0x7f800000, v50
                                        ; implicit-def: $vgpr50
	s_and_saveexec_b32 s20, vcc_lo
	s_xor_b32 s20, exec_lo, s20
; %bb.2502:                             ;   in Loop: Header=BB8_2057 Depth=1
	v_bfe_u32 v50, v51, 16, 1
	s_delay_alu instid0(VALU_DEP_1)
	v_add3_u32 v50, v51, v50, 0x7fff
                                        ; implicit-def: $vgpr51
; %bb.2503:                             ;   in Loop: Header=BB8_2057 Depth=1
	s_and_not1_saveexec_b32 s20, s20
; %bb.2504:                             ;   in Loop: Header=BB8_2057 Depth=1
	v_and_b32_e32 v50, 0xffff, v51
	v_or_b32_e32 v60, 0x10000, v51
	s_delay_alu instid0(VALU_DEP_2) | instskip(NEXT) | instid1(VALU_DEP_2)
	v_cmp_eq_u32_e32 vcc_lo, 0, v50
	v_cndmask_b32_e32 v50, v60, v51, vcc_lo
; %bb.2505:                             ;   in Loop: Header=BB8_2057 Depth=1
	s_or_b32 exec_lo, exec_lo, s20
	v_and_b32_e32 v11, 0xffff0000, v11
	s_delay_alu instid0(VALU_DEP_1) | instskip(NEXT) | instid1(VALU_DEP_1)
	v_mul_f32_e32 v51, v23, v11
	v_and_b32_e32 v11, 0x7f800000, v51
	s_delay_alu instid0(VALU_DEP_1) | instskip(SKIP_1) | instid1(SALU_CYCLE_1)
	v_cmp_ne_u32_e32 vcc_lo, 0x7f800000, v11
                                        ; implicit-def: $vgpr11
	s_and_saveexec_b32 s20, vcc_lo
	s_xor_b32 s20, exec_lo, s20
; %bb.2506:                             ;   in Loop: Header=BB8_2057 Depth=1
	v_bfe_u32 v11, v51, 16, 1
	s_delay_alu instid0(VALU_DEP_1)
	v_add3_u32 v11, v51, v11, 0x7fff
                                        ; implicit-def: $vgpr51
; %bb.2507:                             ;   in Loop: Header=BB8_2057 Depth=1
	s_and_not1_saveexec_b32 s20, s20
; %bb.2508:                             ;   in Loop: Header=BB8_2057 Depth=1
	v_and_b32_e32 v11, 0xffff, v51
	v_or_b32_e32 v60, 0x10000, v51
	s_delay_alu instid0(VALU_DEP_2) | instskip(NEXT) | instid1(VALU_DEP_2)
	v_cmp_eq_u32_e32 vcc_lo, 0, v11
	v_cndmask_b32_e32 v11, v60, v51, vcc_lo
; %bb.2509:                             ;   in Loop: Header=BB8_2057 Depth=1
	s_or_b32 exec_lo, exec_lo, s20
	v_lshlrev_b32_e32 v51, 16, v12
	s_delay_alu instid0(VALU_DEP_1) | instskip(NEXT) | instid1(VALU_DEP_1)
	v_mul_f32_e32 v60, v23, v51
	v_and_b32_e32 v51, 0x7f800000, v60
	s_delay_alu instid0(VALU_DEP_1) | instskip(SKIP_1) | instid1(SALU_CYCLE_1)
	v_cmp_ne_u32_e32 vcc_lo, 0x7f800000, v51
                                        ; implicit-def: $vgpr51
	s_and_saveexec_b32 s20, vcc_lo
	s_xor_b32 s20, exec_lo, s20
; %bb.2510:                             ;   in Loop: Header=BB8_2057 Depth=1
	v_bfe_u32 v51, v60, 16, 1
	s_delay_alu instid0(VALU_DEP_1)
	v_add3_u32 v51, v60, v51, 0x7fff
                                        ; implicit-def: $vgpr60
; %bb.2511:                             ;   in Loop: Header=BB8_2057 Depth=1
	s_and_not1_saveexec_b32 s20, s20
; %bb.2512:                             ;   in Loop: Header=BB8_2057 Depth=1
	v_and_b32_e32 v51, 0xffff, v60
	v_or_b32_e32 v61, 0x10000, v60
	s_delay_alu instid0(VALU_DEP_2) | instskip(NEXT) | instid1(VALU_DEP_2)
	v_cmp_eq_u32_e32 vcc_lo, 0, v51
	v_cndmask_b32_e32 v51, v61, v60, vcc_lo
; %bb.2513:                             ;   in Loop: Header=BB8_2057 Depth=1
	s_or_b32 exec_lo, exec_lo, s20
	v_and_b32_e32 v12, 0xffff0000, v12
	s_delay_alu instid0(VALU_DEP_1) | instskip(NEXT) | instid1(VALU_DEP_1)
	v_mul_f32_e32 v60, v23, v12
	v_and_b32_e32 v12, 0x7f800000, v60
	s_delay_alu instid0(VALU_DEP_1) | instskip(SKIP_1) | instid1(SALU_CYCLE_1)
	v_cmp_ne_u32_e32 vcc_lo, 0x7f800000, v12
                                        ; implicit-def: $vgpr12
	s_and_saveexec_b32 s20, vcc_lo
	s_xor_b32 s20, exec_lo, s20
; %bb.2514:                             ;   in Loop: Header=BB8_2057 Depth=1
	v_bfe_u32 v12, v60, 16, 1
	s_delay_alu instid0(VALU_DEP_1)
	v_add3_u32 v12, v60, v12, 0x7fff
                                        ; implicit-def: $vgpr60
; %bb.2515:                             ;   in Loop: Header=BB8_2057 Depth=1
	s_and_not1_saveexec_b32 s20, s20
; %bb.2516:                             ;   in Loop: Header=BB8_2057 Depth=1
	v_and_b32_e32 v12, 0xffff, v60
	v_or_b32_e32 v61, 0x10000, v60
	s_delay_alu instid0(VALU_DEP_2) | instskip(NEXT) | instid1(VALU_DEP_2)
	v_cmp_eq_u32_e32 vcc_lo, 0, v12
	v_cndmask_b32_e32 v12, v61, v60, vcc_lo
; %bb.2517:                             ;   in Loop: Header=BB8_2057 Depth=1
	s_or_b32 exec_lo, exec_lo, s20
	v_lshlrev_b32_e32 v60, 16, v13
	s_delay_alu instid0(VALU_DEP_1) | instskip(NEXT) | instid1(VALU_DEP_1)
	v_mul_f32_e32 v61, v23, v60
	v_and_b32_e32 v60, 0x7f800000, v61
	s_delay_alu instid0(VALU_DEP_1) | instskip(SKIP_1) | instid1(SALU_CYCLE_1)
	v_cmp_ne_u32_e32 vcc_lo, 0x7f800000, v60
                                        ; implicit-def: $vgpr60
	s_and_saveexec_b32 s20, vcc_lo
	s_xor_b32 s20, exec_lo, s20
; %bb.2518:                             ;   in Loop: Header=BB8_2057 Depth=1
	v_bfe_u32 v60, v61, 16, 1
	s_delay_alu instid0(VALU_DEP_1)
	v_add3_u32 v60, v61, v60, 0x7fff
                                        ; implicit-def: $vgpr61
; %bb.2519:                             ;   in Loop: Header=BB8_2057 Depth=1
	s_and_not1_saveexec_b32 s20, s20
; %bb.2520:                             ;   in Loop: Header=BB8_2057 Depth=1
	v_and_b32_e32 v60, 0xffff, v61
	v_or_b32_e32 v79, 0x10000, v61
	s_delay_alu instid0(VALU_DEP_2) | instskip(NEXT) | instid1(VALU_DEP_2)
	v_cmp_eq_u32_e32 vcc_lo, 0, v60
	v_cndmask_b32_e32 v60, v79, v61, vcc_lo
; %bb.2521:                             ;   in Loop: Header=BB8_2057 Depth=1
	s_or_b32 exec_lo, exec_lo, s20
	v_and_b32_e32 v13, 0xffff0000, v13
	s_delay_alu instid0(VALU_DEP_1) | instskip(NEXT) | instid1(VALU_DEP_1)
	v_mul_f32_e32 v23, v23, v13
	v_and_b32_e32 v13, 0x7f800000, v23
	s_delay_alu instid0(VALU_DEP_1) | instskip(SKIP_1) | instid1(SALU_CYCLE_1)
	v_cmp_ne_u32_e32 vcc_lo, 0x7f800000, v13
                                        ; implicit-def: $vgpr13
	s_and_saveexec_b32 s20, vcc_lo
	s_xor_b32 s20, exec_lo, s20
; %bb.2522:                             ;   in Loop: Header=BB8_2057 Depth=1
	v_bfe_u32 v13, v23, 16, 1
	s_delay_alu instid0(VALU_DEP_1)
	v_add3_u32 v13, v23, v13, 0x7fff
                                        ; implicit-def: $vgpr23
; %bb.2523:                             ;   in Loop: Header=BB8_2057 Depth=1
	s_and_not1_saveexec_b32 s20, s20
; %bb.2524:                             ;   in Loop: Header=BB8_2057 Depth=1
	v_and_b32_e32 v13, 0xffff, v23
	v_or_b32_e32 v61, 0x10000, v23
	s_delay_alu instid0(VALU_DEP_2) | instskip(NEXT) | instid1(VALU_DEP_2)
	v_cmp_eq_u32_e32 vcc_lo, 0, v13
	v_cndmask_b32_e32 v13, v61, v23, vcc_lo
; %bb.2525:                             ;   in Loop: Header=BB8_2057 Depth=1
	s_or_b32 exec_lo, exec_lo, s20
	v_dual_lshrrev_b32 v23, 16, v38 :: v_dual_lshrrev_b32 v37, 16, v37
	v_dual_lshrrev_b32 v34, 16, v34 :: v_dual_lshrrev_b32 v25, 16, v25
	v_lshrrev_b32_e32 v22, 16, v22
	s_delay_alu instid0(VALU_DEP_3) | instskip(SKIP_3) | instid1(VALU_DEP_3)
	v_and_or_b32 v15, 0xffff0000, v15, v23
	v_dual_lshrrev_b32 v23, 16, v33 :: v_dual_lshrrev_b32 v27, 16, v27
	v_dual_lshrrev_b32 v38, 16, v39 :: v_dual_lshrrev_b32 v39, 16, v48
	v_lshrrev_b32_e32 v33, 16, v36
	v_and_or_b32 v18, 0xffff0000, v18, v23
	v_lshrrev_b32_e32 v23, 16, v35
	v_and_or_b32 v22, 0xffff0000, v24, v22
	v_and_or_b32 v19, 0xffff0000, v19, v34
	;; [unrolled: 1-line block ×6, first 2 shown]
	v_lshrrev_b32_e32 v25, 16, v29
	v_and_or_b32 v24, 0xffff0000, v28, v27
	v_dual_lshrrev_b32 v26, 16, v50 :: v_dual_lshrrev_b32 v27, 16, v49
	v_dual_lshrrev_b32 v28, 16, v51 :: v_dual_lshrrev_b32 v29, 16, v60
	s_delay_alu instid0(VALU_DEP_4)
	v_and_or_b32 v25, 0xffff0000, v32, v25
	v_and_or_b32 v16, 0xffff0000, v16, v38
	;; [unrolled: 1-line block ×7, first 2 shown]
	s_clause 0x3
	global_store_b128 v[58:59], v[22:25], off th:TH_STORE_NT
	global_store_b128 v[58:59], v[18:21], off offset:512 th:TH_STORE_NT
	global_store_b128 v[58:59], v[14:17], off offset:1024 th:TH_STORE_NT
	;; [unrolled: 1-line block ×3, first 2 shown]
.LBB8_2526:                             ;   in Loop: Header=BB8_2057 Depth=1
	s_wait_xcnt 0x0
	s_or_b32 exec_lo, exec_lo, s10
	v_lshlrev_b32_e32 v22, 11, v77
	s_mov_b32 s20, exec_lo
                                        ; implicit-def: $vgpr14
                                        ; implicit-def: $vgpr10
                                        ; implicit-def: $vgpr15
	s_delay_alu instid0(VALU_DEP_1)
	v_cmpx_ne_u32_e64 v76, v22
	s_cbranch_execz .LBB8_2638
; %bb.2527:                             ;   in Loop: Header=BB8_2057 Depth=1
	v_lshlrev_b32_e32 v10, 5, v78
	s_mov_b32 s22, 0
	s_mov_b32 s21, exec_lo
	v_sub_nc_u32_e32 v14, v76, v22
	s_delay_alu instid0(VALU_DEP_2) | instskip(NEXT) | instid1(VALU_DEP_1)
	v_sub_nc_u32_e32 v10, v62, v10
	v_ashrrev_i32_e32 v11, 31, v10
	s_delay_alu instid0(VALU_DEP_1) | instskip(NEXT) | instid1(VALU_DEP_1)
	v_lshrrev_b32_e32 v11, 27, v11
	v_add_nc_u32_e32 v11, v10, v11
	s_delay_alu instid0(VALU_DEP_1) | instskip(NEXT) | instid1(VALU_DEP_1)
	v_and_b32_e32 v12, 0xffffffe0, v11
	v_dual_ashrrev_i32 v11, 5, v11 :: v_dual_sub_nc_u32 v23, v10, v12
	s_delay_alu instid0(VALU_DEP_1) | instskip(NEXT) | instid1(VALU_DEP_1)
	v_dual_ashrrev_i32 v13, 31, v14 :: v_dual_lshlrev_b32 v12, 4, v23
	v_lshl_add_u32 v15, v11, 9, v12
	s_delay_alu instid0(VALU_DEP_1) | instskip(NEXT) | instid1(VALU_DEP_1)
	v_dual_lshrrev_b32 v10, 23, v13 :: v_dual_add_nc_u32 v12, v15, v22
	v_dual_add_nc_u32 v10, v14, v10 :: v_dual_sub_nc_u32 v27, v14, v15
	s_delay_alu instid0(VALU_DEP_2) | instskip(NEXT) | instid1(VALU_DEP_2)
	v_ashrrev_i32_e32 v13, 31, v12
	v_and_b32_e32 v24, 0xfffffe00, v10
	s_delay_alu instid0(VALU_DEP_2) | instskip(NEXT) | instid1(VALU_DEP_2)
	v_add_nc_u64_e32 v[18:19], v[12:13], v[56:57]
	v_dual_sub_nc_u32 v25, v14, v24 :: v_dual_ashrrev_i32 v10, 9, v10
	s_delay_alu instid0(VALU_DEP_1) | instskip(NEXT) | instid1(VALU_DEP_2)
	v_cmp_lt_i32_e32 vcc_lo, 15, v25
	v_add_co_ci_u32_e64 v10, null, 0, v10, vcc_lo
	s_delay_alu instid0(VALU_DEP_1)
	v_sub_nc_u32_e32 v26, v10, v11
                                        ; implicit-def: $vgpr10_vgpr11
	v_cmpx_lt_i32_e32 15, v27
	s_cbranch_execz .LBB8_2601
; %bb.2528:                             ;   in Loop: Header=BB8_2057 Depth=1
	s_trap 2
	ds_load_b32 v10, v0
	v_add_nc_u64_e32 v[20:21], v[12:13], v[46:47]
	s_mov_b32 s24, 0
                                        ; implicit-def: $sgpr23
	s_wait_dscnt 0x0
	v_lshlrev_b32_e32 v28, 16, v10
                                        ; implicit-def: $vgpr10_vgpr11
	s_branch .LBB8_2530
.LBB8_2529:                             ;   in Loop: Header=BB8_2530 Depth=2
	s_or_b32 exec_lo, exec_lo, s10
	s_delay_alu instid0(VALU_DEP_1) | instskip(SKIP_3) | instid1(SALU_CYCLE_1)
	v_cmp_gt_i32_e64 s10, 16, v27
	s_or_b32 s22, s10, s22
	s_and_not1_b32 s10, s23, exec_lo
	s_and_b32 s23, s24, exec_lo
	s_or_b32 s23, s10, s23
	s_and_not1_b32 exec_lo, exec_lo, s22
	s_cbranch_execz .LBB8_2600
.LBB8_2530:                             ;   Parent Loop BB8_2057 Depth=1
                                        ; =>  This Inner Loop Header: Depth=2
	global_load_b128 v[14:17], v[20:21], off th:TH_LOAD_NT
	s_wait_xcnt 0x0
	s_and_saveexec_b32 s25, s24
	s_cbranch_execz .LBB8_2564
; %bb.2531:                             ;   in Loop: Header=BB8_2530 Depth=2
	v_lshlrev_b32_e32 v29, 16, v10
	s_delay_alu instid0(VALU_DEP_1) | instskip(NEXT) | instid1(VALU_DEP_1)
	v_mul_f32_e32 v32, v28, v29
	v_and_b32_e32 v29, 0x7f800000, v32
	s_delay_alu instid0(VALU_DEP_1) | instskip(SKIP_1) | instid1(SALU_CYCLE_1)
	v_cmp_ne_u32_e64 s10, 0x7f800000, v29
                                        ; implicit-def: $vgpr29
	s_and_saveexec_b32 s24, s10
	s_xor_b32 s10, exec_lo, s24
; %bb.2532:                             ;   in Loop: Header=BB8_2530 Depth=2
	v_bfe_u32 v29, v32, 16, 1
	s_delay_alu instid0(VALU_DEP_1)
	v_add3_u32 v29, v32, v29, 0x7fff
                                        ; implicit-def: $vgpr32
; %bb.2533:                             ;   in Loop: Header=BB8_2530 Depth=2
	s_and_not1_saveexec_b32 s24, s10
; %bb.2534:                             ;   in Loop: Header=BB8_2530 Depth=2
	v_and_b32_e32 v29, 0xffff, v32
	v_or_b32_e32 v33, 0x10000, v32
	s_delay_alu instid0(VALU_DEP_2) | instskip(NEXT) | instid1(VALU_DEP_1)
	v_cmp_eq_u32_e64 s10, 0, v29
	v_cndmask_b32_e64 v29, v33, v32, s10
; %bb.2535:                             ;   in Loop: Header=BB8_2530 Depth=2
	s_or_b32 exec_lo, exec_lo, s24
	v_and_b32_e32 v10, 0xffff0000, v10
	s_delay_alu instid0(VALU_DEP_1) | instskip(NEXT) | instid1(VALU_DEP_1)
	v_mul_f32_e32 v32, v28, v10
	v_and_b32_e32 v10, 0x7f800000, v32
	s_delay_alu instid0(VALU_DEP_1) | instskip(SKIP_1) | instid1(SALU_CYCLE_1)
	v_cmp_ne_u32_e64 s10, 0x7f800000, v10
                                        ; implicit-def: $vgpr10
	s_and_saveexec_b32 s24, s10
	s_xor_b32 s10, exec_lo, s24
; %bb.2536:                             ;   in Loop: Header=BB8_2530 Depth=2
	v_bfe_u32 v10, v32, 16, 1
	s_delay_alu instid0(VALU_DEP_1)
	v_add3_u32 v10, v32, v10, 0x7fff
                                        ; implicit-def: $vgpr32
; %bb.2537:                             ;   in Loop: Header=BB8_2530 Depth=2
	s_and_not1_saveexec_b32 s24, s10
; %bb.2538:                             ;   in Loop: Header=BB8_2530 Depth=2
	v_and_b32_e32 v10, 0xffff, v32
	v_or_b32_e32 v33, 0x10000, v32
	s_delay_alu instid0(VALU_DEP_2) | instskip(NEXT) | instid1(VALU_DEP_1)
	v_cmp_eq_u32_e64 s10, 0, v10
	v_cndmask_b32_e64 v10, v33, v32, s10
; %bb.2539:                             ;   in Loop: Header=BB8_2530 Depth=2
	s_or_b32 exec_lo, exec_lo, s24
	v_lshlrev_b32_e32 v32, 16, v11
	s_delay_alu instid0(VALU_DEP_1) | instskip(NEXT) | instid1(VALU_DEP_1)
	v_mul_f32_e32 v33, v28, v32
	v_and_b32_e32 v32, 0x7f800000, v33
	s_delay_alu instid0(VALU_DEP_1) | instskip(SKIP_1) | instid1(SALU_CYCLE_1)
	v_cmp_ne_u32_e64 s10, 0x7f800000, v32
                                        ; implicit-def: $vgpr32
	s_and_saveexec_b32 s24, s10
	s_xor_b32 s10, exec_lo, s24
; %bb.2540:                             ;   in Loop: Header=BB8_2530 Depth=2
	v_bfe_u32 v32, v33, 16, 1
	s_delay_alu instid0(VALU_DEP_1)
	v_add3_u32 v32, v33, v32, 0x7fff
                                        ; implicit-def: $vgpr33
; %bb.2541:                             ;   in Loop: Header=BB8_2530 Depth=2
	s_and_not1_saveexec_b32 s24, s10
; %bb.2542:                             ;   in Loop: Header=BB8_2530 Depth=2
	v_and_b32_e32 v32, 0xffff, v33
	v_or_b32_e32 v34, 0x10000, v33
	s_delay_alu instid0(VALU_DEP_2) | instskip(NEXT) | instid1(VALU_DEP_1)
	v_cmp_eq_u32_e64 s10, 0, v32
	v_cndmask_b32_e64 v32, v34, v33, s10
; %bb.2543:                             ;   in Loop: Header=BB8_2530 Depth=2
	s_or_b32 exec_lo, exec_lo, s24
	v_and_b32_e32 v11, 0xffff0000, v11
	s_delay_alu instid0(VALU_DEP_1) | instskip(NEXT) | instid1(VALU_DEP_1)
	v_mul_f32_e32 v33, v28, v11
	v_and_b32_e32 v11, 0x7f800000, v33
	s_delay_alu instid0(VALU_DEP_1) | instskip(SKIP_1) | instid1(SALU_CYCLE_1)
	v_cmp_ne_u32_e64 s10, 0x7f800000, v11
                                        ; implicit-def: $vgpr11
	s_and_saveexec_b32 s24, s10
	s_xor_b32 s10, exec_lo, s24
; %bb.2544:                             ;   in Loop: Header=BB8_2530 Depth=2
	v_bfe_u32 v11, v33, 16, 1
	s_delay_alu instid0(VALU_DEP_1)
	v_add3_u32 v11, v33, v11, 0x7fff
                                        ; implicit-def: $vgpr33
; %bb.2545:                             ;   in Loop: Header=BB8_2530 Depth=2
	s_and_not1_saveexec_b32 s24, s10
; %bb.2546:                             ;   in Loop: Header=BB8_2530 Depth=2
	v_and_b32_e32 v11, 0xffff, v33
	v_or_b32_e32 v34, 0x10000, v33
	s_delay_alu instid0(VALU_DEP_2) | instskip(NEXT) | instid1(VALU_DEP_1)
	v_cmp_eq_u32_e64 s10, 0, v11
	v_cndmask_b32_e64 v11, v34, v33, s10
; %bb.2547:                             ;   in Loop: Header=BB8_2530 Depth=2
	s_or_b32 exec_lo, exec_lo, s24
	v_lshlrev_b32_e32 v33, 16, v12
	s_delay_alu instid0(VALU_DEP_1) | instskip(NEXT) | instid1(VALU_DEP_1)
	v_mul_f32_e32 v34, v28, v33
	v_and_b32_e32 v33, 0x7f800000, v34
	s_delay_alu instid0(VALU_DEP_1) | instskip(SKIP_1) | instid1(SALU_CYCLE_1)
	v_cmp_ne_u32_e64 s10, 0x7f800000, v33
                                        ; implicit-def: $vgpr33
	s_and_saveexec_b32 s24, s10
	s_xor_b32 s10, exec_lo, s24
; %bb.2548:                             ;   in Loop: Header=BB8_2530 Depth=2
	v_bfe_u32 v33, v34, 16, 1
	s_delay_alu instid0(VALU_DEP_1)
	v_add3_u32 v33, v34, v33, 0x7fff
                                        ; implicit-def: $vgpr34
; %bb.2549:                             ;   in Loop: Header=BB8_2530 Depth=2
	s_and_not1_saveexec_b32 s24, s10
; %bb.2550:                             ;   in Loop: Header=BB8_2530 Depth=2
	v_and_b32_e32 v33, 0xffff, v34
	v_or_b32_e32 v35, 0x10000, v34
	s_delay_alu instid0(VALU_DEP_2) | instskip(NEXT) | instid1(VALU_DEP_1)
	v_cmp_eq_u32_e64 s10, 0, v33
	v_cndmask_b32_e64 v33, v35, v34, s10
; %bb.2551:                             ;   in Loop: Header=BB8_2530 Depth=2
	s_or_b32 exec_lo, exec_lo, s24
	v_and_b32_e32 v12, 0xffff0000, v12
	s_delay_alu instid0(VALU_DEP_1) | instskip(NEXT) | instid1(VALU_DEP_1)
	v_mul_f32_e32 v34, v28, v12
	v_and_b32_e32 v12, 0x7f800000, v34
	s_delay_alu instid0(VALU_DEP_1) | instskip(SKIP_1) | instid1(SALU_CYCLE_1)
	v_cmp_ne_u32_e64 s10, 0x7f800000, v12
                                        ; implicit-def: $vgpr12
	s_and_saveexec_b32 s24, s10
	s_xor_b32 s10, exec_lo, s24
; %bb.2552:                             ;   in Loop: Header=BB8_2530 Depth=2
	v_bfe_u32 v12, v34, 16, 1
	s_delay_alu instid0(VALU_DEP_1)
	v_add3_u32 v12, v34, v12, 0x7fff
                                        ; implicit-def: $vgpr34
; %bb.2553:                             ;   in Loop: Header=BB8_2530 Depth=2
	s_and_not1_saveexec_b32 s24, s10
; %bb.2554:                             ;   in Loop: Header=BB8_2530 Depth=2
	v_and_b32_e32 v12, 0xffff, v34
	v_or_b32_e32 v35, 0x10000, v34
	s_delay_alu instid0(VALU_DEP_2) | instskip(NEXT) | instid1(VALU_DEP_1)
	v_cmp_eq_u32_e64 s10, 0, v12
	v_cndmask_b32_e64 v12, v35, v34, s10
; %bb.2555:                             ;   in Loop: Header=BB8_2530 Depth=2
	s_or_b32 exec_lo, exec_lo, s24
	v_lshlrev_b32_e32 v34, 16, v13
	s_delay_alu instid0(VALU_DEP_1) | instskip(NEXT) | instid1(VALU_DEP_1)
	v_mul_f32_e32 v35, v28, v34
	v_and_b32_e32 v34, 0x7f800000, v35
	s_delay_alu instid0(VALU_DEP_1) | instskip(SKIP_1) | instid1(SALU_CYCLE_1)
	v_cmp_ne_u32_e64 s10, 0x7f800000, v34
                                        ; implicit-def: $vgpr34
	s_and_saveexec_b32 s24, s10
	s_xor_b32 s10, exec_lo, s24
; %bb.2556:                             ;   in Loop: Header=BB8_2530 Depth=2
	v_bfe_u32 v34, v35, 16, 1
	s_delay_alu instid0(VALU_DEP_1)
	v_add3_u32 v34, v35, v34, 0x7fff
                                        ; implicit-def: $vgpr35
; %bb.2557:                             ;   in Loop: Header=BB8_2530 Depth=2
	s_and_not1_saveexec_b32 s24, s10
; %bb.2558:                             ;   in Loop: Header=BB8_2530 Depth=2
	v_and_b32_e32 v34, 0xffff, v35
	v_or_b32_e32 v36, 0x10000, v35
	s_delay_alu instid0(VALU_DEP_2) | instskip(NEXT) | instid1(VALU_DEP_1)
	v_cmp_eq_u32_e64 s10, 0, v34
	v_cndmask_b32_e64 v34, v36, v35, s10
; %bb.2559:                             ;   in Loop: Header=BB8_2530 Depth=2
	s_or_b32 exec_lo, exec_lo, s24
	v_and_b32_e32 v13, 0xffff0000, v13
	s_delay_alu instid0(VALU_DEP_1) | instskip(NEXT) | instid1(VALU_DEP_1)
	v_mul_f32_e32 v35, v28, v13
	v_and_b32_e32 v13, 0x7f800000, v35
	s_delay_alu instid0(VALU_DEP_1) | instskip(SKIP_1) | instid1(SALU_CYCLE_1)
	v_cmp_ne_u32_e64 s10, 0x7f800000, v13
                                        ; implicit-def: $vgpr13
	s_and_saveexec_b32 s24, s10
	s_xor_b32 s10, exec_lo, s24
; %bb.2560:                             ;   in Loop: Header=BB8_2530 Depth=2
	v_bfe_u32 v13, v35, 16, 1
	s_delay_alu instid0(VALU_DEP_1)
	v_add3_u32 v13, v35, v13, 0x7fff
                                        ; implicit-def: $vgpr35
; %bb.2561:                             ;   in Loop: Header=BB8_2530 Depth=2
	s_and_not1_saveexec_b32 s24, s10
; %bb.2562:                             ;   in Loop: Header=BB8_2530 Depth=2
	v_and_b32_e32 v13, 0xffff, v35
	v_or_b32_e32 v36, 0x10000, v35
	s_delay_alu instid0(VALU_DEP_2) | instskip(NEXT) | instid1(VALU_DEP_1)
	v_cmp_eq_u32_e64 s10, 0, v13
	v_cndmask_b32_e64 v13, v36, v35, s10
; %bb.2563:                             ;   in Loop: Header=BB8_2530 Depth=2
	s_or_b32 exec_lo, exec_lo, s24
	v_dual_lshrrev_b32 v32, 16, v32 :: v_dual_lshrrev_b32 v29, 16, v29
	v_dual_lshrrev_b32 v33, 16, v33 :: v_dual_lshrrev_b32 v34, 16, v34
	s_delay_alu instid0(VALU_DEP_2) | instskip(NEXT) | instid1(VALU_DEP_3)
	v_and_or_b32 v11, 0xffff0000, v11, v32
	v_and_or_b32 v10, 0xffff0000, v10, v29
	s_delay_alu instid0(VALU_DEP_3) | instskip(NEXT) | instid1(VALU_DEP_4)
	v_and_or_b32 v12, 0xffff0000, v12, v33
	v_and_or_b32 v13, 0xffff0000, v13, v34
	global_store_b128 v[18:19], v[10:13], off th:TH_STORE_NT
	s_wait_xcnt 0x0
	v_add_nc_u64_e32 v[18:19], v[18:19], v[116:117]
.LBB8_2564:                             ;   in Loop: Header=BB8_2530 Depth=2
	s_or_b32 exec_lo, exec_lo, s25
	v_sub_nc_u32_e32 v27, v27, v63
	v_add_nc_u64_e32 v[20:21], v[20:21], v[116:117]
	s_delay_alu instid0(VALU_DEP_2)
	v_cmp_lt_i32_e64 s24, 15, v27
	s_and_saveexec_b32 s10, s24
	s_cbranch_execz .LBB8_2566
; %bb.2565:                             ;   in Loop: Header=BB8_2530 Depth=2
	global_load_b128 v[10:13], v[20:21], off th:TH_LOAD_NT
	s_wait_xcnt 0x0
	v_add_nc_u64_e32 v[20:21], 0x200, v[20:21]
.LBB8_2566:                             ;   in Loop: Header=BB8_2530 Depth=2
	s_or_b32 exec_lo, exec_lo, s10
	s_wait_loadcnt 0x0
	v_lshlrev_b32_e32 v29, 16, v14
	s_delay_alu instid0(VALU_DEP_1) | instskip(NEXT) | instid1(VALU_DEP_1)
	v_mul_f32_e32 v32, v28, v29
	v_and_b32_e32 v29, 0x7f800000, v32
	s_delay_alu instid0(VALU_DEP_1) | instskip(SKIP_1) | instid1(SALU_CYCLE_1)
	v_cmp_ne_u32_e64 s10, 0x7f800000, v29
                                        ; implicit-def: $vgpr29
	s_and_saveexec_b32 s25, s10
	s_xor_b32 s10, exec_lo, s25
; %bb.2567:                             ;   in Loop: Header=BB8_2530 Depth=2
	v_bfe_u32 v29, v32, 16, 1
	s_delay_alu instid0(VALU_DEP_1)
	v_add3_u32 v29, v32, v29, 0x7fff
                                        ; implicit-def: $vgpr32
; %bb.2568:                             ;   in Loop: Header=BB8_2530 Depth=2
	s_and_not1_saveexec_b32 s25, s10
; %bb.2569:                             ;   in Loop: Header=BB8_2530 Depth=2
	v_and_b32_e32 v29, 0xffff, v32
	v_or_b32_e32 v33, 0x10000, v32
	s_delay_alu instid0(VALU_DEP_2) | instskip(NEXT) | instid1(VALU_DEP_1)
	v_cmp_eq_u32_e64 s10, 0, v29
	v_cndmask_b32_e64 v29, v33, v32, s10
; %bb.2570:                             ;   in Loop: Header=BB8_2530 Depth=2
	s_or_b32 exec_lo, exec_lo, s25
	v_and_b32_e32 v14, 0xffff0000, v14
	s_delay_alu instid0(VALU_DEP_1) | instskip(NEXT) | instid1(VALU_DEP_1)
	v_mul_f32_e32 v32, v28, v14
	v_and_b32_e32 v14, 0x7f800000, v32
	s_delay_alu instid0(VALU_DEP_1) | instskip(SKIP_1) | instid1(SALU_CYCLE_1)
	v_cmp_ne_u32_e64 s10, 0x7f800000, v14
                                        ; implicit-def: $vgpr14
	s_and_saveexec_b32 s25, s10
	s_xor_b32 s10, exec_lo, s25
; %bb.2571:                             ;   in Loop: Header=BB8_2530 Depth=2
	v_bfe_u32 v14, v32, 16, 1
	s_delay_alu instid0(VALU_DEP_1)
	v_add3_u32 v14, v32, v14, 0x7fff
                                        ; implicit-def: $vgpr32
; %bb.2572:                             ;   in Loop: Header=BB8_2530 Depth=2
	s_and_not1_saveexec_b32 s25, s10
; %bb.2573:                             ;   in Loop: Header=BB8_2530 Depth=2
	v_and_b32_e32 v14, 0xffff, v32
	v_or_b32_e32 v33, 0x10000, v32
	s_delay_alu instid0(VALU_DEP_2) | instskip(NEXT) | instid1(VALU_DEP_1)
	v_cmp_eq_u32_e64 s10, 0, v14
	v_cndmask_b32_e64 v14, v33, v32, s10
; %bb.2574:                             ;   in Loop: Header=BB8_2530 Depth=2
	s_or_b32 exec_lo, exec_lo, s25
	v_lshlrev_b32_e32 v32, 16, v15
	s_delay_alu instid0(VALU_DEP_1) | instskip(NEXT) | instid1(VALU_DEP_1)
	v_mul_f32_e32 v33, v28, v32
	v_and_b32_e32 v32, 0x7f800000, v33
	s_delay_alu instid0(VALU_DEP_1) | instskip(SKIP_1) | instid1(SALU_CYCLE_1)
	v_cmp_ne_u32_e64 s10, 0x7f800000, v32
                                        ; implicit-def: $vgpr32
	s_and_saveexec_b32 s25, s10
	s_xor_b32 s10, exec_lo, s25
; %bb.2575:                             ;   in Loop: Header=BB8_2530 Depth=2
	v_bfe_u32 v32, v33, 16, 1
	s_delay_alu instid0(VALU_DEP_1)
	v_add3_u32 v32, v33, v32, 0x7fff
                                        ; implicit-def: $vgpr33
; %bb.2576:                             ;   in Loop: Header=BB8_2530 Depth=2
	s_and_not1_saveexec_b32 s25, s10
; %bb.2577:                             ;   in Loop: Header=BB8_2530 Depth=2
	v_and_b32_e32 v32, 0xffff, v33
	v_or_b32_e32 v34, 0x10000, v33
	s_delay_alu instid0(VALU_DEP_2) | instskip(NEXT) | instid1(VALU_DEP_1)
	v_cmp_eq_u32_e64 s10, 0, v32
	v_cndmask_b32_e64 v32, v34, v33, s10
; %bb.2578:                             ;   in Loop: Header=BB8_2530 Depth=2
	s_or_b32 exec_lo, exec_lo, s25
	v_and_b32_e32 v15, 0xffff0000, v15
	s_delay_alu instid0(VALU_DEP_1) | instskip(NEXT) | instid1(VALU_DEP_1)
	v_mul_f32_e32 v33, v28, v15
	v_and_b32_e32 v15, 0x7f800000, v33
	s_delay_alu instid0(VALU_DEP_1) | instskip(SKIP_1) | instid1(SALU_CYCLE_1)
	v_cmp_ne_u32_e64 s10, 0x7f800000, v15
                                        ; implicit-def: $vgpr15
	s_and_saveexec_b32 s25, s10
	s_xor_b32 s10, exec_lo, s25
; %bb.2579:                             ;   in Loop: Header=BB8_2530 Depth=2
	v_bfe_u32 v15, v33, 16, 1
	s_delay_alu instid0(VALU_DEP_1)
	v_add3_u32 v15, v33, v15, 0x7fff
                                        ; implicit-def: $vgpr33
; %bb.2580:                             ;   in Loop: Header=BB8_2530 Depth=2
	s_and_not1_saveexec_b32 s25, s10
; %bb.2581:                             ;   in Loop: Header=BB8_2530 Depth=2
	v_and_b32_e32 v15, 0xffff, v33
	v_or_b32_e32 v34, 0x10000, v33
	s_delay_alu instid0(VALU_DEP_2) | instskip(NEXT) | instid1(VALU_DEP_1)
	v_cmp_eq_u32_e64 s10, 0, v15
	v_cndmask_b32_e64 v15, v34, v33, s10
; %bb.2582:                             ;   in Loop: Header=BB8_2530 Depth=2
	s_or_b32 exec_lo, exec_lo, s25
	v_lshlrev_b32_e32 v33, 16, v16
	s_delay_alu instid0(VALU_DEP_1) | instskip(NEXT) | instid1(VALU_DEP_1)
	v_mul_f32_e32 v34, v28, v33
	v_and_b32_e32 v33, 0x7f800000, v34
	s_delay_alu instid0(VALU_DEP_1) | instskip(SKIP_1) | instid1(SALU_CYCLE_1)
	v_cmp_ne_u32_e64 s10, 0x7f800000, v33
                                        ; implicit-def: $vgpr33
	s_and_saveexec_b32 s25, s10
	s_xor_b32 s10, exec_lo, s25
; %bb.2583:                             ;   in Loop: Header=BB8_2530 Depth=2
	v_bfe_u32 v33, v34, 16, 1
	s_delay_alu instid0(VALU_DEP_1)
	v_add3_u32 v33, v34, v33, 0x7fff
                                        ; implicit-def: $vgpr34
; %bb.2584:                             ;   in Loop: Header=BB8_2530 Depth=2
	s_and_not1_saveexec_b32 s25, s10
; %bb.2585:                             ;   in Loop: Header=BB8_2530 Depth=2
	v_and_b32_e32 v33, 0xffff, v34
	v_or_b32_e32 v35, 0x10000, v34
	s_delay_alu instid0(VALU_DEP_2) | instskip(NEXT) | instid1(VALU_DEP_1)
	v_cmp_eq_u32_e64 s10, 0, v33
	v_cndmask_b32_e64 v33, v35, v34, s10
; %bb.2586:                             ;   in Loop: Header=BB8_2530 Depth=2
	s_or_b32 exec_lo, exec_lo, s25
	v_and_b32_e32 v16, 0xffff0000, v16
	s_delay_alu instid0(VALU_DEP_1) | instskip(NEXT) | instid1(VALU_DEP_1)
	v_mul_f32_e32 v34, v28, v16
	v_and_b32_e32 v16, 0x7f800000, v34
	s_delay_alu instid0(VALU_DEP_1) | instskip(SKIP_1) | instid1(SALU_CYCLE_1)
	v_cmp_ne_u32_e64 s10, 0x7f800000, v16
                                        ; implicit-def: $vgpr16
	s_and_saveexec_b32 s25, s10
	s_xor_b32 s10, exec_lo, s25
; %bb.2587:                             ;   in Loop: Header=BB8_2530 Depth=2
	v_bfe_u32 v16, v34, 16, 1
	s_delay_alu instid0(VALU_DEP_1)
	v_add3_u32 v16, v34, v16, 0x7fff
                                        ; implicit-def: $vgpr34
; %bb.2588:                             ;   in Loop: Header=BB8_2530 Depth=2
	s_and_not1_saveexec_b32 s25, s10
; %bb.2589:                             ;   in Loop: Header=BB8_2530 Depth=2
	v_and_b32_e32 v16, 0xffff, v34
	v_or_b32_e32 v35, 0x10000, v34
	s_delay_alu instid0(VALU_DEP_2) | instskip(NEXT) | instid1(VALU_DEP_1)
	v_cmp_eq_u32_e64 s10, 0, v16
	v_cndmask_b32_e64 v16, v35, v34, s10
; %bb.2590:                             ;   in Loop: Header=BB8_2530 Depth=2
	s_or_b32 exec_lo, exec_lo, s25
	v_lshlrev_b32_e32 v34, 16, v17
	s_delay_alu instid0(VALU_DEP_1) | instskip(NEXT) | instid1(VALU_DEP_1)
	v_mul_f32_e32 v35, v28, v34
	v_and_b32_e32 v34, 0x7f800000, v35
	s_delay_alu instid0(VALU_DEP_1) | instskip(SKIP_1) | instid1(SALU_CYCLE_1)
	v_cmp_ne_u32_e64 s10, 0x7f800000, v34
                                        ; implicit-def: $vgpr34
	s_and_saveexec_b32 s25, s10
	s_xor_b32 s10, exec_lo, s25
; %bb.2591:                             ;   in Loop: Header=BB8_2530 Depth=2
	v_bfe_u32 v34, v35, 16, 1
	s_delay_alu instid0(VALU_DEP_1)
	v_add3_u32 v34, v35, v34, 0x7fff
                                        ; implicit-def: $vgpr35
; %bb.2592:                             ;   in Loop: Header=BB8_2530 Depth=2
	s_and_not1_saveexec_b32 s25, s10
; %bb.2593:                             ;   in Loop: Header=BB8_2530 Depth=2
	v_and_b32_e32 v34, 0xffff, v35
	v_or_b32_e32 v36, 0x10000, v35
	s_delay_alu instid0(VALU_DEP_2) | instskip(NEXT) | instid1(VALU_DEP_1)
	v_cmp_eq_u32_e64 s10, 0, v34
	v_cndmask_b32_e64 v34, v36, v35, s10
; %bb.2594:                             ;   in Loop: Header=BB8_2530 Depth=2
	s_or_b32 exec_lo, exec_lo, s25
	v_and_b32_e32 v17, 0xffff0000, v17
	s_delay_alu instid0(VALU_DEP_1) | instskip(NEXT) | instid1(VALU_DEP_1)
	v_mul_f32_e32 v35, v28, v17
	v_and_b32_e32 v17, 0x7f800000, v35
	s_delay_alu instid0(VALU_DEP_1) | instskip(SKIP_1) | instid1(SALU_CYCLE_1)
	v_cmp_ne_u32_e64 s10, 0x7f800000, v17
                                        ; implicit-def: $vgpr17
	s_and_saveexec_b32 s25, s10
	s_xor_b32 s10, exec_lo, s25
; %bb.2595:                             ;   in Loop: Header=BB8_2530 Depth=2
	v_bfe_u32 v17, v35, 16, 1
	s_delay_alu instid0(VALU_DEP_1)
	v_add3_u32 v17, v35, v17, 0x7fff
                                        ; implicit-def: $vgpr35
; %bb.2596:                             ;   in Loop: Header=BB8_2530 Depth=2
	s_and_not1_saveexec_b32 s25, s10
; %bb.2597:                             ;   in Loop: Header=BB8_2530 Depth=2
	v_and_b32_e32 v17, 0xffff, v35
	v_or_b32_e32 v36, 0x10000, v35
	s_delay_alu instid0(VALU_DEP_2) | instskip(NEXT) | instid1(VALU_DEP_1)
	v_cmp_eq_u32_e64 s10, 0, v17
	v_cndmask_b32_e64 v17, v36, v35, s10
; %bb.2598:                             ;   in Loop: Header=BB8_2530 Depth=2
	s_or_b32 exec_lo, exec_lo, s25
	v_dual_lshrrev_b32 v32, 16, v32 :: v_dual_lshrrev_b32 v29, 16, v29
	v_dual_lshrrev_b32 v33, 16, v33 :: v_dual_lshrrev_b32 v34, 16, v34
	v_sub_nc_u32_e32 v26, v26, v86
	s_delay_alu instid0(VALU_DEP_3) | instskip(NEXT) | instid1(VALU_DEP_4)
	v_and_or_b32 v15, 0xffff0000, v15, v32
	v_and_or_b32 v14, 0xffff0000, v14, v29
	s_delay_alu instid0(VALU_DEP_4)
	v_and_or_b32 v16, 0xffff0000, v16, v33
	v_and_or_b32 v17, 0xffff0000, v17, v34
	global_store_b128 v[18:19], v[14:17], off th:TH_STORE_NT
	s_wait_xcnt 0x0
	v_add_nc_u64_e32 v[18:19], 0x200, v[18:19]
	s_and_saveexec_b32 s10, s24
	s_cbranch_execz .LBB8_2529
; %bb.2599:                             ;   in Loop: Header=BB8_2530 Depth=2
	v_add_nc_u64_e32 v[20:21], v[20:21], v[100:101]
	s_delay_alu instid0(VALU_DEP_2)
	v_add_nc_u64_e32 v[18:19], v[18:19], v[100:101]
	v_dual_sub_nc_u32 v26, v26, v86 :: v_dual_sub_nc_u32 v27, v27, v63
	s_branch .LBB8_2529
.LBB8_2600:                             ;   in Loop: Header=BB8_2057 Depth=1
	s_or_b32 exec_lo, exec_lo, s22
	s_delay_alu instid0(SALU_CYCLE_1)
	s_and_b32 s22, s23, exec_lo
.LBB8_2601:                             ;   in Loop: Header=BB8_2057 Depth=1
	s_or_b32 exec_lo, exec_lo, s21
	s_and_saveexec_b32 s21, s22
	s_cbranch_execz .LBB8_2635
; %bb.2602:                             ;   in Loop: Header=BB8_2057 Depth=1
	s_trap 2
	ds_load_b32 v14, v0
	s_wait_dscnt 0x0
	v_lshlrev_b32_e32 v15, 16, v14
	s_delay_alu instid0(VALU_DEP_1) | instskip(NEXT) | instid1(VALU_DEP_1)
	v_dual_lshlrev_b32 v14, 16, v10 :: v_dual_mov_b32 v16, v15
	v_pk_mul_f32 v[16:17], v[16:17], v[14:15]
	s_delay_alu instid0(VALU_DEP_1) | instskip(NEXT) | instid1(VALU_DEP_1)
	v_and_b32_e32 v14, 0x7f800000, v16
	v_cmp_ne_u32_e64 s10, 0x7f800000, v14
                                        ; implicit-def: $vgpr14
	s_and_saveexec_b32 s22, s10
	s_delay_alu instid0(SALU_CYCLE_1)
	s_xor_b32 s10, exec_lo, s22
; %bb.2603:                             ;   in Loop: Header=BB8_2057 Depth=1
	v_bfe_u32 v14, v16, 16, 1
	s_delay_alu instid0(VALU_DEP_1)
	v_add3_u32 v14, v16, v14, 0x7fff
                                        ; implicit-def: $vgpr16_vgpr17
; %bb.2604:                             ;   in Loop: Header=BB8_2057 Depth=1
	s_and_not1_saveexec_b32 s22, s10
; %bb.2605:                             ;   in Loop: Header=BB8_2057 Depth=1
	v_and_b32_e32 v14, 0xffff, v16
	v_or_b32_e32 v17, 0x10000, v16
	s_delay_alu instid0(VALU_DEP_2) | instskip(NEXT) | instid1(VALU_DEP_1)
	v_cmp_eq_u32_e64 s10, 0, v14
	v_cndmask_b32_e64 v14, v17, v16, s10
; %bb.2606:                             ;   in Loop: Header=BB8_2057 Depth=1
	s_or_b32 exec_lo, exec_lo, s22
	v_and_b32_e32 v10, 0xffff0000, v10
	s_delay_alu instid0(VALU_DEP_1) | instskip(NEXT) | instid1(VALU_DEP_1)
	v_mul_f32_e32 v16, v15, v10
	v_and_b32_e32 v10, 0x7f800000, v16
	s_delay_alu instid0(VALU_DEP_1) | instskip(SKIP_1) | instid1(SALU_CYCLE_1)
	v_cmp_ne_u32_e64 s10, 0x7f800000, v10
                                        ; implicit-def: $vgpr10
	s_and_saveexec_b32 s22, s10
	s_xor_b32 s10, exec_lo, s22
; %bb.2607:                             ;   in Loop: Header=BB8_2057 Depth=1
	v_bfe_u32 v10, v16, 16, 1
	s_delay_alu instid0(VALU_DEP_1)
	v_add3_u32 v10, v16, v10, 0x7fff
                                        ; implicit-def: $vgpr16
; %bb.2608:                             ;   in Loop: Header=BB8_2057 Depth=1
	s_and_not1_saveexec_b32 s22, s10
; %bb.2609:                             ;   in Loop: Header=BB8_2057 Depth=1
	v_and_b32_e32 v10, 0xffff, v16
	v_or_b32_e32 v17, 0x10000, v16
	s_delay_alu instid0(VALU_DEP_2) | instskip(NEXT) | instid1(VALU_DEP_1)
	v_cmp_eq_u32_e64 s10, 0, v10
	v_cndmask_b32_e64 v10, v17, v16, s10
; %bb.2610:                             ;   in Loop: Header=BB8_2057 Depth=1
	s_or_b32 exec_lo, exec_lo, s22
	v_lshlrev_b32_e32 v16, 16, v11
	s_delay_alu instid0(VALU_DEP_1) | instskip(NEXT) | instid1(VALU_DEP_1)
	v_mul_f32_e32 v17, v15, v16
	v_and_b32_e32 v16, 0x7f800000, v17
	s_delay_alu instid0(VALU_DEP_1) | instskip(SKIP_1) | instid1(SALU_CYCLE_1)
	v_cmp_ne_u32_e64 s10, 0x7f800000, v16
                                        ; implicit-def: $vgpr16
	s_and_saveexec_b32 s22, s10
	s_xor_b32 s10, exec_lo, s22
; %bb.2611:                             ;   in Loop: Header=BB8_2057 Depth=1
	v_bfe_u32 v16, v17, 16, 1
	s_delay_alu instid0(VALU_DEP_1)
	v_add3_u32 v16, v17, v16, 0x7fff
                                        ; implicit-def: $vgpr17
; %bb.2612:                             ;   in Loop: Header=BB8_2057 Depth=1
	s_and_not1_saveexec_b32 s22, s10
; %bb.2613:                             ;   in Loop: Header=BB8_2057 Depth=1
	v_and_b32_e32 v16, 0xffff, v17
	v_or_b32_e32 v20, 0x10000, v17
	s_delay_alu instid0(VALU_DEP_2) | instskip(NEXT) | instid1(VALU_DEP_1)
	v_cmp_eq_u32_e64 s10, 0, v16
	v_cndmask_b32_e64 v16, v20, v17, s10
; %bb.2614:                             ;   in Loop: Header=BB8_2057 Depth=1
	s_or_b32 exec_lo, exec_lo, s22
	v_and_b32_e32 v11, 0xffff0000, v11
	s_delay_alu instid0(VALU_DEP_1) | instskip(NEXT) | instid1(VALU_DEP_1)
	v_mul_f32_e32 v17, v15, v11
	v_and_b32_e32 v11, 0x7f800000, v17
	s_delay_alu instid0(VALU_DEP_1) | instskip(SKIP_1) | instid1(SALU_CYCLE_1)
	v_cmp_ne_u32_e64 s10, 0x7f800000, v11
                                        ; implicit-def: $vgpr11
	s_and_saveexec_b32 s22, s10
	s_xor_b32 s10, exec_lo, s22
; %bb.2615:                             ;   in Loop: Header=BB8_2057 Depth=1
	v_bfe_u32 v11, v17, 16, 1
	s_delay_alu instid0(VALU_DEP_1)
	v_add3_u32 v11, v17, v11, 0x7fff
                                        ; implicit-def: $vgpr17
; %bb.2616:                             ;   in Loop: Header=BB8_2057 Depth=1
	s_and_not1_saveexec_b32 s22, s10
; %bb.2617:                             ;   in Loop: Header=BB8_2057 Depth=1
	v_and_b32_e32 v11, 0xffff, v17
	v_or_b32_e32 v20, 0x10000, v17
	s_delay_alu instid0(VALU_DEP_2) | instskip(NEXT) | instid1(VALU_DEP_1)
	v_cmp_eq_u32_e64 s10, 0, v11
	v_cndmask_b32_e64 v11, v20, v17, s10
; %bb.2618:                             ;   in Loop: Header=BB8_2057 Depth=1
	s_or_b32 exec_lo, exec_lo, s22
	v_lshlrev_b32_e32 v17, 16, v12
	s_delay_alu instid0(VALU_DEP_1) | instskip(NEXT) | instid1(VALU_DEP_1)
	v_mul_f32_e32 v20, v15, v17
	v_and_b32_e32 v17, 0x7f800000, v20
	s_delay_alu instid0(VALU_DEP_1) | instskip(SKIP_1) | instid1(SALU_CYCLE_1)
	v_cmp_ne_u32_e64 s10, 0x7f800000, v17
                                        ; implicit-def: $vgpr17
	s_and_saveexec_b32 s22, s10
	s_xor_b32 s10, exec_lo, s22
; %bb.2619:                             ;   in Loop: Header=BB8_2057 Depth=1
	v_bfe_u32 v17, v20, 16, 1
	s_delay_alu instid0(VALU_DEP_1)
	v_add3_u32 v17, v20, v17, 0x7fff
                                        ; implicit-def: $vgpr20
; %bb.2620:                             ;   in Loop: Header=BB8_2057 Depth=1
	s_and_not1_saveexec_b32 s22, s10
; %bb.2621:                             ;   in Loop: Header=BB8_2057 Depth=1
	v_and_b32_e32 v17, 0xffff, v20
	v_or_b32_e32 v21, 0x10000, v20
	s_delay_alu instid0(VALU_DEP_2) | instskip(NEXT) | instid1(VALU_DEP_1)
	v_cmp_eq_u32_e64 s10, 0, v17
	v_cndmask_b32_e64 v17, v21, v20, s10
; %bb.2622:                             ;   in Loop: Header=BB8_2057 Depth=1
	s_or_b32 exec_lo, exec_lo, s22
	v_and_b32_e32 v12, 0xffff0000, v12
	s_delay_alu instid0(VALU_DEP_1) | instskip(NEXT) | instid1(VALU_DEP_1)
	v_mul_f32_e32 v20, v15, v12
	v_and_b32_e32 v12, 0x7f800000, v20
	s_delay_alu instid0(VALU_DEP_1) | instskip(SKIP_1) | instid1(SALU_CYCLE_1)
	v_cmp_ne_u32_e64 s10, 0x7f800000, v12
                                        ; implicit-def: $vgpr12
	s_and_saveexec_b32 s22, s10
	s_xor_b32 s10, exec_lo, s22
; %bb.2623:                             ;   in Loop: Header=BB8_2057 Depth=1
	v_bfe_u32 v12, v20, 16, 1
	s_delay_alu instid0(VALU_DEP_1)
	v_add3_u32 v12, v20, v12, 0x7fff
                                        ; implicit-def: $vgpr20
; %bb.2624:                             ;   in Loop: Header=BB8_2057 Depth=1
	s_and_not1_saveexec_b32 s22, s10
; %bb.2625:                             ;   in Loop: Header=BB8_2057 Depth=1
	v_and_b32_e32 v12, 0xffff, v20
	v_or_b32_e32 v21, 0x10000, v20
	s_delay_alu instid0(VALU_DEP_2) | instskip(NEXT) | instid1(VALU_DEP_1)
	v_cmp_eq_u32_e64 s10, 0, v12
	v_cndmask_b32_e64 v12, v21, v20, s10
; %bb.2626:                             ;   in Loop: Header=BB8_2057 Depth=1
	s_or_b32 exec_lo, exec_lo, s22
	v_lshlrev_b32_e32 v20, 16, v13
	s_delay_alu instid0(VALU_DEP_1) | instskip(NEXT) | instid1(VALU_DEP_1)
	v_mul_f32_e32 v21, v15, v20
	v_and_b32_e32 v20, 0x7f800000, v21
	s_delay_alu instid0(VALU_DEP_1) | instskip(SKIP_1) | instid1(SALU_CYCLE_1)
	v_cmp_ne_u32_e64 s10, 0x7f800000, v20
                                        ; implicit-def: $vgpr20
	s_and_saveexec_b32 s22, s10
	s_xor_b32 s10, exec_lo, s22
; %bb.2627:                             ;   in Loop: Header=BB8_2057 Depth=1
	v_bfe_u32 v20, v21, 16, 1
	s_delay_alu instid0(VALU_DEP_1)
	v_add3_u32 v20, v21, v20, 0x7fff
                                        ; implicit-def: $vgpr21
; %bb.2628:                             ;   in Loop: Header=BB8_2057 Depth=1
	s_and_not1_saveexec_b32 s22, s10
; %bb.2629:                             ;   in Loop: Header=BB8_2057 Depth=1
	v_and_b32_e32 v20, 0xffff, v21
	v_or_b32_e32 v27, 0x10000, v21
	s_delay_alu instid0(VALU_DEP_2) | instskip(NEXT) | instid1(VALU_DEP_1)
	v_cmp_eq_u32_e64 s10, 0, v20
	v_cndmask_b32_e64 v20, v27, v21, s10
; %bb.2630:                             ;   in Loop: Header=BB8_2057 Depth=1
	s_or_b32 exec_lo, exec_lo, s22
	v_and_b32_e32 v13, 0xffff0000, v13
	s_delay_alu instid0(VALU_DEP_1) | instskip(NEXT) | instid1(VALU_DEP_1)
	v_mul_f32_e32 v15, v15, v13
	v_and_b32_e32 v13, 0x7f800000, v15
	s_delay_alu instid0(VALU_DEP_1) | instskip(SKIP_1) | instid1(SALU_CYCLE_1)
	v_cmp_ne_u32_e64 s10, 0x7f800000, v13
                                        ; implicit-def: $vgpr13
	s_and_saveexec_b32 s22, s10
	s_xor_b32 s10, exec_lo, s22
; %bb.2631:                             ;   in Loop: Header=BB8_2057 Depth=1
	v_bfe_u32 v13, v15, 16, 1
	s_delay_alu instid0(VALU_DEP_1)
	v_add3_u32 v13, v15, v13, 0x7fff
                                        ; implicit-def: $vgpr15
; %bb.2632:                             ;   in Loop: Header=BB8_2057 Depth=1
	s_and_not1_saveexec_b32 s22, s10
; %bb.2633:                             ;   in Loop: Header=BB8_2057 Depth=1
	v_and_b32_e32 v13, 0xffff, v15
	v_or_b32_e32 v21, 0x10000, v15
	s_delay_alu instid0(VALU_DEP_2) | instskip(NEXT) | instid1(VALU_DEP_1)
	v_cmp_eq_u32_e64 s10, 0, v13
	v_cndmask_b32_e64 v13, v21, v15, s10
; %bb.2634:                             ;   in Loop: Header=BB8_2057 Depth=1
	s_or_b32 exec_lo, exec_lo, s22
	v_dual_lshrrev_b32 v15, 16, v16 :: v_dual_lshrrev_b32 v14, 16, v14
	v_dual_lshrrev_b32 v16, 16, v17 :: v_dual_lshrrev_b32 v17, 16, v20
	s_delay_alu instid0(VALU_DEP_2) | instskip(NEXT) | instid1(VALU_DEP_3)
	v_and_or_b32 v11, 0xffff0000, v11, v15
	v_and_or_b32 v10, 0xffff0000, v10, v14
	s_delay_alu instid0(VALU_DEP_3) | instskip(NEXT) | instid1(VALU_DEP_4)
	v_and_or_b32 v12, 0xffff0000, v12, v16
	v_and_or_b32 v13, 0xffff0000, v13, v17
	global_store_b128 v[18:19], v[10:13], off th:TH_STORE_NT
.LBB8_2635:                             ;   in Loop: Header=BB8_2057 Depth=1
	s_wait_xcnt 0x0
	s_or_b32 exec_lo, exec_lo, s21
	v_and_b32_e32 v11, 14, v76
	s_mov_b32 s22, s19
	s_mov_b32 s21, exec_lo
                                        ; implicit-def: $vgpr14
                                        ; implicit-def: $vgpr10
                                        ; implicit-def: $vgpr15
	s_delay_alu instid0(VALU_DEP_1) | instskip(NEXT) | instid1(VALU_DEP_1)
	v_cndmask_b32_e32 v76, v25, v11, vcc_lo
	v_cmpx_ne_u32_e32 0, v76
	s_cbranch_execz .LBB8_2637
; %bb.2636:                             ;   in Loop: Header=BB8_2057 Depth=1
	v_cmp_lt_i32_e64 s10, 0, v26
	s_or_b32 s22, s19, exec_lo
	v_dual_sub_nc_u32 v11, v25, v11 :: v_dual_cndmask_b32 v10, 0, v86, s10
	s_delay_alu instid0(VALU_DEP_1) | instskip(NEXT) | instid1(VALU_DEP_1)
	v_dual_cndmask_b32 v11, 0, v11 :: v_dual_sub_nc_u32 v10, v10, v26
	v_add3_u32 v14, v24, v22, v11
	s_delay_alu instid0(VALU_DEP_2) | instskip(NEXT) | instid1(VALU_DEP_1)
	v_lshl_add_u32 v10, v10, 5, v23
	v_ashrrev_i32_e32 v12, 31, v10
	s_delay_alu instid0(VALU_DEP_1) | instskip(NEXT) | instid1(VALU_DEP_1)
	v_lshrrev_b32_e32 v12, 27, v12
	v_add_nc_u32_e32 v12, v10, v12
	s_delay_alu instid0(VALU_DEP_1) | instskip(NEXT) | instid1(VALU_DEP_1)
	v_and_b32_e32 v12, 0xffffffe0, v12
	v_sub_nc_u32_e32 v15, v10, v12
.LBB8_2637:                             ;   in Loop: Header=BB8_2057 Depth=1
	s_or_b32 exec_lo, exec_lo, s21
	s_delay_alu instid0(SALU_CYCLE_1) | instskip(SKIP_1) | instid1(SALU_CYCLE_1)
	s_and_not1_b32 s10, s19, exec_lo
	s_and_b32 s19, s22, exec_lo
	s_or_b32 s19, s10, s19
.LBB8_2638:                             ;   in Loop: Header=BB8_2057 Depth=1
	s_or_b32 exec_lo, exec_lo, s20
	s_and_saveexec_b32 s10, s19
	s_cbranch_execz .LBB8_2767
.LBB8_2639:                             ;   in Loop: Header=BB8_2057 Depth=1
	s_delay_alu instid0(VALU_DEP_1) | instskip(SKIP_2) | instid1(VALU_DEP_3)
	v_dual_ashrrev_i32 v11, 31, v10 :: v_dual_ashrrev_i32 v12, 31, v76
	v_dual_mov_b32 v22, 0 :: v_dual_mov_b32 v24, 0
	v_dual_mov_b32 v23, 0 :: v_dual_mov_b32 v21, 0
	v_dual_mov_b32 v20, 0 :: v_dual_lshrrev_b32 v11, 27, v11
	v_mov_b32_e32 v18, 0
	s_mov_b32 s20, 0
	s_mov_b32 s19, exec_lo
	s_delay_alu instid0(VALU_DEP_2) | instskip(SKIP_1) | instid1(VALU_DEP_2)
	v_dual_add_nc_u32 v10, v10, v11 :: v_dual_lshrrev_b32 v11, 23, v12
	v_dual_mov_b32 v27, 0 :: v_dual_mov_b32 v25, 0
	v_dual_ashrrev_i32 v10, 5, v10 :: v_dual_lshlrev_b32 v12, 1, v15
	s_delay_alu instid0(VALU_DEP_1) | instskip(NEXT) | instid1(VALU_DEP_1)
	v_dual_add_nc_u32 v11, v76, v11 :: v_dual_lshlrev_b32 v13, 9, v10
	v_ashrrev_i32_e32 v16, 9, v11
	s_delay_alu instid0(VALU_DEP_2) | instskip(NEXT) | instid1(VALU_DEP_1)
	v_add3_u32 v12, v14, v12, v13
	v_dual_sub_nc_u32 v17, v16, v10 :: v_dual_ashrrev_i32 v13, 31, v12
	s_delay_alu instid0(VALU_DEP_1) | instskip(NEXT) | instid1(VALU_DEP_2)
	v_add_nc_u64_e32 v[10:11], v[56:57], v[12:13]
	v_cmpx_lt_i32_e32 0, v17
	s_cbranch_execz .LBB8_2711
; %bb.2640:                             ;   in Loop: Header=BB8_2057 Depth=1
	s_trap 2
	ds_load_b32 v18, v0
	v_add_nc_u64_e32 v[12:13], v[12:13], v[46:47]
	s_mov_b32 s22, 0
	s_mov_b32 s21, 0
                                        ; implicit-def: $sgpr20
                                        ; implicit-def: $vgpr34
                                        ; implicit-def: $vgpr32
                                        ; implicit-def: $vgpr28
                                        ; implicit-def: $vgpr26
                                        ; implicit-def: $vgpr23
                                        ; implicit-def: $vgpr21
                                        ; implicit-def: $vgpr20
                                        ; implicit-def: $vgpr19
	s_wait_dscnt 0x0
	v_lshlrev_b32_e32 v18, 16, v18
	s_branch .LBB8_2642
.LBB8_2641:                             ;   in Loop: Header=BB8_2642 Depth=2
	s_or_b32 exec_lo, exec_lo, s23
	v_dual_cndmask_b32 v37, 0, v86, s22 :: v_dual_cndmask_b32 v39, 0, v101, s22
	v_cndmask_b32_e64 v49, 0, v117, s22
	v_cndmask_b32_e64 v48, 0x200, v116, s22
	s_clause 0x7
	flat_store_d16_hi_b16 v[10:11], v36 th:TH_STORE_NT
	flat_store_d16_hi_b16 v[10:11], v35 offset:64 th:TH_STORE_NT
	flat_store_d16_hi_b16 v[10:11], v33 offset:128 th:TH_STORE_NT
	;; [unrolled: 1-line block ×7, first 2 shown]
	v_dual_sub_nc_u32 v17, v17, v37 :: v_dual_cndmask_b32 v38, 0, v100, s22
	s_wait_xcnt 0x0
	v_add_nc_u64_e32 v[10:11], v[10:11], v[48:49]
	s_delay_alu instid0(VALU_DEP_2) | instskip(NEXT) | instid1(VALU_DEP_3)
	v_cmp_gt_i32_e32 vcc_lo, 1, v17
	v_add_nc_u64_e32 v[12:13], v[12:13], v[38:39]
	s_or_b32 s21, vcc_lo, s21
	s_and_not1_b32 s20, s20, exec_lo
	s_and_b32 s23, s22, exec_lo
	s_delay_alu instid0(SALU_CYCLE_1)
	s_or_b32 s20, s20, s23
	s_and_not1_b32 exec_lo, exec_lo, s21
	s_cbranch_execz .LBB8_2710
.LBB8_2642:                             ;   Parent Loop BB8_2057 Depth=1
                                        ; =>  This Inner Loop Header: Depth=2
	s_clause 0x7
	flat_load_u16 v36, v[12:13] th:TH_LOAD_NT
	flat_load_u16 v35, v[12:13] offset:64 th:TH_LOAD_NT
	flat_load_u16 v33, v[12:13] offset:128 th:TH_LOAD_NT
	;; [unrolled: 1-line block ×7, first 2 shown]
	s_wait_xcnt 0x0
	s_and_saveexec_b32 s23, s22
	s_cbranch_execz .LBB8_2676
; %bb.2643:                             ;   in Loop: Header=BB8_2642 Depth=2
	v_lshlrev_b32_e32 v34, 16, v34
	s_delay_alu instid0(VALU_DEP_1) | instskip(NEXT) | instid1(VALU_DEP_1)
	v_mul_f32_e32 v37, v18, v34
	v_and_b32_e32 v34, 0x7f800000, v37
	s_delay_alu instid0(VALU_DEP_1) | instskip(SKIP_1) | instid1(SALU_CYCLE_1)
	v_cmp_ne_u32_e32 vcc_lo, 0x7f800000, v34
                                        ; implicit-def: $vgpr34
	s_and_saveexec_b32 s22, vcc_lo
	s_xor_b32 s22, exec_lo, s22
; %bb.2644:                             ;   in Loop: Header=BB8_2642 Depth=2
	v_bfe_u32 v34, v37, 16, 1
	s_delay_alu instid0(VALU_DEP_1)
	v_add3_u32 v34, v37, v34, 0x7fff
                                        ; implicit-def: $vgpr37
; %bb.2645:                             ;   in Loop: Header=BB8_2642 Depth=2
	s_and_not1_saveexec_b32 s22, s22
; %bb.2646:                             ;   in Loop: Header=BB8_2642 Depth=2
	v_and_b32_e32 v34, 0xffff, v37
	v_or_b32_e32 v38, 0x10000, v37
	s_delay_alu instid0(VALU_DEP_2) | instskip(NEXT) | instid1(VALU_DEP_2)
	v_cmp_eq_u32_e32 vcc_lo, 0, v34
	v_cndmask_b32_e32 v34, v38, v37, vcc_lo
; %bb.2647:                             ;   in Loop: Header=BB8_2642 Depth=2
	s_or_b32 exec_lo, exec_lo, s22
	v_lshlrev_b32_e32 v32, 16, v32
	s_delay_alu instid0(VALU_DEP_1) | instskip(NEXT) | instid1(VALU_DEP_1)
	v_mul_f32_e32 v37, v18, v32
	v_and_b32_e32 v32, 0x7f800000, v37
	s_delay_alu instid0(VALU_DEP_1) | instskip(SKIP_1) | instid1(SALU_CYCLE_1)
	v_cmp_ne_u32_e32 vcc_lo, 0x7f800000, v32
                                        ; implicit-def: $vgpr32
	s_and_saveexec_b32 s22, vcc_lo
	s_xor_b32 s22, exec_lo, s22
; %bb.2648:                             ;   in Loop: Header=BB8_2642 Depth=2
	v_bfe_u32 v32, v37, 16, 1
	s_delay_alu instid0(VALU_DEP_1)
	v_add3_u32 v32, v37, v32, 0x7fff
                                        ; implicit-def: $vgpr37
; %bb.2649:                             ;   in Loop: Header=BB8_2642 Depth=2
	s_and_not1_saveexec_b32 s22, s22
; %bb.2650:                             ;   in Loop: Header=BB8_2642 Depth=2
	v_and_b32_e32 v32, 0xffff, v37
	v_or_b32_e32 v38, 0x10000, v37
	s_delay_alu instid0(VALU_DEP_2) | instskip(NEXT) | instid1(VALU_DEP_2)
	v_cmp_eq_u32_e32 vcc_lo, 0, v32
	v_cndmask_b32_e32 v32, v38, v37, vcc_lo
; %bb.2651:                             ;   in Loop: Header=BB8_2642 Depth=2
	s_or_b32 exec_lo, exec_lo, s22
	v_lshlrev_b32_e32 v28, 16, v28
	s_delay_alu instid0(VALU_DEP_1) | instskip(NEXT) | instid1(VALU_DEP_1)
	v_mul_f32_e32 v37, v18, v28
	v_and_b32_e32 v28, 0x7f800000, v37
	s_delay_alu instid0(VALU_DEP_1) | instskip(SKIP_1) | instid1(SALU_CYCLE_1)
	v_cmp_ne_u32_e32 vcc_lo, 0x7f800000, v28
                                        ; implicit-def: $vgpr28
	s_and_saveexec_b32 s22, vcc_lo
	s_xor_b32 s22, exec_lo, s22
; %bb.2652:                             ;   in Loop: Header=BB8_2642 Depth=2
	v_bfe_u32 v28, v37, 16, 1
	s_delay_alu instid0(VALU_DEP_1)
	v_add3_u32 v28, v37, v28, 0x7fff
                                        ; implicit-def: $vgpr37
; %bb.2653:                             ;   in Loop: Header=BB8_2642 Depth=2
	s_and_not1_saveexec_b32 s22, s22
; %bb.2654:                             ;   in Loop: Header=BB8_2642 Depth=2
	v_and_b32_e32 v28, 0xffff, v37
	v_or_b32_e32 v38, 0x10000, v37
	s_delay_alu instid0(VALU_DEP_2) | instskip(NEXT) | instid1(VALU_DEP_2)
	v_cmp_eq_u32_e32 vcc_lo, 0, v28
	v_cndmask_b32_e32 v28, v38, v37, vcc_lo
; %bb.2655:                             ;   in Loop: Header=BB8_2642 Depth=2
	s_or_b32 exec_lo, exec_lo, s22
	v_lshlrev_b32_e32 v26, 16, v26
	s_delay_alu instid0(VALU_DEP_1) | instskip(NEXT) | instid1(VALU_DEP_1)
	v_mul_f32_e32 v37, v18, v26
	v_and_b32_e32 v26, 0x7f800000, v37
	s_delay_alu instid0(VALU_DEP_1) | instskip(SKIP_1) | instid1(SALU_CYCLE_1)
	v_cmp_ne_u32_e32 vcc_lo, 0x7f800000, v26
                                        ; implicit-def: $vgpr26
	s_and_saveexec_b32 s22, vcc_lo
	s_xor_b32 s22, exec_lo, s22
; %bb.2656:                             ;   in Loop: Header=BB8_2642 Depth=2
	v_bfe_u32 v26, v37, 16, 1
	s_delay_alu instid0(VALU_DEP_1)
	v_add3_u32 v26, v37, v26, 0x7fff
                                        ; implicit-def: $vgpr37
; %bb.2657:                             ;   in Loop: Header=BB8_2642 Depth=2
	s_and_not1_saveexec_b32 s22, s22
; %bb.2658:                             ;   in Loop: Header=BB8_2642 Depth=2
	v_and_b32_e32 v26, 0xffff, v37
	v_or_b32_e32 v38, 0x10000, v37
	s_delay_alu instid0(VALU_DEP_2) | instskip(NEXT) | instid1(VALU_DEP_2)
	v_cmp_eq_u32_e32 vcc_lo, 0, v26
	v_cndmask_b32_e32 v26, v38, v37, vcc_lo
; %bb.2659:                             ;   in Loop: Header=BB8_2642 Depth=2
	s_or_b32 exec_lo, exec_lo, s22
	v_lshlrev_b32_e32 v23, 16, v23
	s_delay_alu instid0(VALU_DEP_1) | instskip(NEXT) | instid1(VALU_DEP_1)
	v_mul_f32_e32 v37, v18, v23
	v_and_b32_e32 v23, 0x7f800000, v37
	s_delay_alu instid0(VALU_DEP_1) | instskip(SKIP_1) | instid1(SALU_CYCLE_1)
	v_cmp_ne_u32_e32 vcc_lo, 0x7f800000, v23
                                        ; implicit-def: $vgpr23
	s_and_saveexec_b32 s22, vcc_lo
	s_xor_b32 s22, exec_lo, s22
; %bb.2660:                             ;   in Loop: Header=BB8_2642 Depth=2
	v_bfe_u32 v23, v37, 16, 1
	s_delay_alu instid0(VALU_DEP_1)
	v_add3_u32 v23, v37, v23, 0x7fff
                                        ; implicit-def: $vgpr37
; %bb.2661:                             ;   in Loop: Header=BB8_2642 Depth=2
	s_and_not1_saveexec_b32 s22, s22
; %bb.2662:                             ;   in Loop: Header=BB8_2642 Depth=2
	v_and_b32_e32 v23, 0xffff, v37
	v_or_b32_e32 v38, 0x10000, v37
	s_delay_alu instid0(VALU_DEP_2) | instskip(NEXT) | instid1(VALU_DEP_2)
	v_cmp_eq_u32_e32 vcc_lo, 0, v23
	v_cndmask_b32_e32 v23, v38, v37, vcc_lo
; %bb.2663:                             ;   in Loop: Header=BB8_2642 Depth=2
	s_or_b32 exec_lo, exec_lo, s22
	v_lshlrev_b32_e32 v21, 16, v21
	s_delay_alu instid0(VALU_DEP_1) | instskip(NEXT) | instid1(VALU_DEP_1)
	v_mul_f32_e32 v37, v18, v21
	v_and_b32_e32 v21, 0x7f800000, v37
	s_delay_alu instid0(VALU_DEP_1) | instskip(SKIP_1) | instid1(SALU_CYCLE_1)
	v_cmp_ne_u32_e32 vcc_lo, 0x7f800000, v21
                                        ; implicit-def: $vgpr21
	s_and_saveexec_b32 s22, vcc_lo
	s_xor_b32 s22, exec_lo, s22
; %bb.2664:                             ;   in Loop: Header=BB8_2642 Depth=2
	v_bfe_u32 v21, v37, 16, 1
	s_delay_alu instid0(VALU_DEP_1)
	v_add3_u32 v21, v37, v21, 0x7fff
                                        ; implicit-def: $vgpr37
; %bb.2665:                             ;   in Loop: Header=BB8_2642 Depth=2
	s_and_not1_saveexec_b32 s22, s22
; %bb.2666:                             ;   in Loop: Header=BB8_2642 Depth=2
	v_and_b32_e32 v21, 0xffff, v37
	v_or_b32_e32 v38, 0x10000, v37
	s_delay_alu instid0(VALU_DEP_2) | instskip(NEXT) | instid1(VALU_DEP_2)
	v_cmp_eq_u32_e32 vcc_lo, 0, v21
	v_cndmask_b32_e32 v21, v38, v37, vcc_lo
; %bb.2667:                             ;   in Loop: Header=BB8_2642 Depth=2
	s_or_b32 exec_lo, exec_lo, s22
	v_lshlrev_b32_e32 v20, 16, v20
	s_delay_alu instid0(VALU_DEP_1) | instskip(NEXT) | instid1(VALU_DEP_1)
	v_mul_f32_e32 v37, v18, v20
	v_and_b32_e32 v20, 0x7f800000, v37
	s_delay_alu instid0(VALU_DEP_1) | instskip(SKIP_1) | instid1(SALU_CYCLE_1)
	v_cmp_ne_u32_e32 vcc_lo, 0x7f800000, v20
                                        ; implicit-def: $vgpr20
	s_and_saveexec_b32 s22, vcc_lo
	s_xor_b32 s22, exec_lo, s22
; %bb.2668:                             ;   in Loop: Header=BB8_2642 Depth=2
	v_bfe_u32 v20, v37, 16, 1
	s_delay_alu instid0(VALU_DEP_1)
	v_add3_u32 v20, v37, v20, 0x7fff
                                        ; implicit-def: $vgpr37
; %bb.2669:                             ;   in Loop: Header=BB8_2642 Depth=2
	s_and_not1_saveexec_b32 s22, s22
; %bb.2670:                             ;   in Loop: Header=BB8_2642 Depth=2
	v_and_b32_e32 v20, 0xffff, v37
	v_or_b32_e32 v38, 0x10000, v37
	s_delay_alu instid0(VALU_DEP_2) | instskip(NEXT) | instid1(VALU_DEP_2)
	v_cmp_eq_u32_e32 vcc_lo, 0, v20
	v_cndmask_b32_e32 v20, v38, v37, vcc_lo
; %bb.2671:                             ;   in Loop: Header=BB8_2642 Depth=2
	s_or_b32 exec_lo, exec_lo, s22
	v_lshlrev_b32_e32 v19, 16, v19
	s_delay_alu instid0(VALU_DEP_1) | instskip(NEXT) | instid1(VALU_DEP_1)
	v_mul_f32_e32 v37, v18, v19
	v_and_b32_e32 v19, 0x7f800000, v37
	s_delay_alu instid0(VALU_DEP_1) | instskip(SKIP_1) | instid1(SALU_CYCLE_1)
	v_cmp_ne_u32_e32 vcc_lo, 0x7f800000, v19
                                        ; implicit-def: $vgpr19
	s_and_saveexec_b32 s22, vcc_lo
	s_xor_b32 s22, exec_lo, s22
; %bb.2672:                             ;   in Loop: Header=BB8_2642 Depth=2
	v_bfe_u32 v19, v37, 16, 1
	s_delay_alu instid0(VALU_DEP_1)
	v_add3_u32 v19, v37, v19, 0x7fff
                                        ; implicit-def: $vgpr37
; %bb.2673:                             ;   in Loop: Header=BB8_2642 Depth=2
	s_and_not1_saveexec_b32 s22, s22
; %bb.2674:                             ;   in Loop: Header=BB8_2642 Depth=2
	v_and_b32_e32 v19, 0xffff, v37
	v_or_b32_e32 v38, 0x10000, v37
	s_delay_alu instid0(VALU_DEP_2) | instskip(NEXT) | instid1(VALU_DEP_2)
	v_cmp_eq_u32_e32 vcc_lo, 0, v19
	v_cndmask_b32_e32 v19, v38, v37, vcc_lo
; %bb.2675:                             ;   in Loop: Header=BB8_2642 Depth=2
	s_or_b32 exec_lo, exec_lo, s22
	v_dual_lshrrev_b32 v23, 16, v23 :: v_dual_lshrrev_b32 v34, 16, v34
	v_dual_lshrrev_b32 v32, 16, v32 :: v_dual_lshrrev_b32 v26, 16, v26
	s_delay_alu instid0(VALU_DEP_3)
	v_dual_lshrrev_b32 v28, 16, v28 :: v_dual_lshrrev_b32 v19, 16, v19
	v_dual_lshrrev_b32 v20, 16, v20 :: v_dual_lshrrev_b32 v21, 16, v21
	s_clause 0x7
	flat_store_b16 v[10:11], v34 th:TH_STORE_NT
	flat_store_b16 v[10:11], v32 offset:64 th:TH_STORE_NT
	flat_store_b16 v[10:11], v28 offset:128 th:TH_STORE_NT
	;; [unrolled: 1-line block ×7, first 2 shown]
	s_wait_xcnt 0x0
	v_add_nc_u64_e32 v[10:11], v[10:11], v[116:117]
.LBB8_2676:                             ;   in Loop: Header=BB8_2642 Depth=2
	s_or_b32 exec_lo, exec_lo, s23
	v_sub_nc_u32_e32 v17, v17, v86
	v_add_nc_u64_e32 v[12:13], v[12:13], v[116:117]
	s_delay_alu instid0(VALU_DEP_2)
	v_cmp_lt_i32_e64 s22, 0, v17
	s_and_saveexec_b32 s23, s22
	s_cbranch_execz .LBB8_2678
; %bb.2677:                             ;   in Loop: Header=BB8_2642 Depth=2
	s_clause 0x7
	flat_load_u16 v34, v[12:13] th:TH_LOAD_NT
	flat_load_u16 v32, v[12:13] offset:64 th:TH_LOAD_NT
	flat_load_u16 v28, v[12:13] offset:128 th:TH_LOAD_NT
	;; [unrolled: 1-line block ×7, first 2 shown]
	s_wait_xcnt 0x0
	v_add_nc_u64_e32 v[12:13], 0x200, v[12:13]
.LBB8_2678:                             ;   in Loop: Header=BB8_2642 Depth=2
	s_or_b32 exec_lo, exec_lo, s23
	s_wait_loadcnt_dscnt 0x707
	v_lshlrev_b32_e32 v36, 16, v36
	s_delay_alu instid0(VALU_DEP_1) | instskip(NEXT) | instid1(VALU_DEP_1)
	v_mul_f32_e32 v37, v18, v36
	v_and_b32_e32 v36, 0x7f800000, v37
	s_delay_alu instid0(VALU_DEP_1) | instskip(SKIP_1) | instid1(SALU_CYCLE_1)
	v_cmp_ne_u32_e32 vcc_lo, 0x7f800000, v36
                                        ; implicit-def: $vgpr36
	s_and_saveexec_b32 s23, vcc_lo
	s_xor_b32 s23, exec_lo, s23
; %bb.2679:                             ;   in Loop: Header=BB8_2642 Depth=2
	v_bfe_u32 v36, v37, 16, 1
	s_delay_alu instid0(VALU_DEP_1)
	v_add3_u32 v36, v37, v36, 0x7fff
                                        ; implicit-def: $vgpr37
; %bb.2680:                             ;   in Loop: Header=BB8_2642 Depth=2
	s_and_not1_saveexec_b32 s23, s23
; %bb.2681:                             ;   in Loop: Header=BB8_2642 Depth=2
	v_and_b32_e32 v36, 0xffff, v37
	v_or_b32_e32 v38, 0x10000, v37
	s_delay_alu instid0(VALU_DEP_2) | instskip(NEXT) | instid1(VALU_DEP_2)
	v_cmp_eq_u32_e32 vcc_lo, 0, v36
	v_cndmask_b32_e32 v36, v38, v37, vcc_lo
; %bb.2682:                             ;   in Loop: Header=BB8_2642 Depth=2
	s_or_b32 exec_lo, exec_lo, s23
	s_wait_loadcnt_dscnt 0x606
	v_lshlrev_b32_e32 v35, 16, v35
	s_delay_alu instid0(VALU_DEP_1) | instskip(NEXT) | instid1(VALU_DEP_1)
	v_mul_f32_e32 v37, v18, v35
	v_and_b32_e32 v35, 0x7f800000, v37
	s_delay_alu instid0(VALU_DEP_1) | instskip(SKIP_1) | instid1(SALU_CYCLE_1)
	v_cmp_ne_u32_e32 vcc_lo, 0x7f800000, v35
                                        ; implicit-def: $vgpr35
	s_and_saveexec_b32 s23, vcc_lo
	s_xor_b32 s23, exec_lo, s23
; %bb.2683:                             ;   in Loop: Header=BB8_2642 Depth=2
	v_bfe_u32 v35, v37, 16, 1
	s_delay_alu instid0(VALU_DEP_1)
	v_add3_u32 v35, v37, v35, 0x7fff
                                        ; implicit-def: $vgpr37
; %bb.2684:                             ;   in Loop: Header=BB8_2642 Depth=2
	s_and_not1_saveexec_b32 s23, s23
; %bb.2685:                             ;   in Loop: Header=BB8_2642 Depth=2
	v_and_b32_e32 v35, 0xffff, v37
	v_or_b32_e32 v38, 0x10000, v37
	s_delay_alu instid0(VALU_DEP_2) | instskip(NEXT) | instid1(VALU_DEP_2)
	v_cmp_eq_u32_e32 vcc_lo, 0, v35
	v_cndmask_b32_e32 v35, v38, v37, vcc_lo
; %bb.2686:                             ;   in Loop: Header=BB8_2642 Depth=2
	s_or_b32 exec_lo, exec_lo, s23
	s_wait_loadcnt_dscnt 0x505
	v_lshlrev_b32_e32 v33, 16, v33
	s_delay_alu instid0(VALU_DEP_1) | instskip(NEXT) | instid1(VALU_DEP_1)
	v_mul_f32_e32 v37, v18, v33
	v_and_b32_e32 v33, 0x7f800000, v37
	s_delay_alu instid0(VALU_DEP_1) | instskip(SKIP_1) | instid1(SALU_CYCLE_1)
	v_cmp_ne_u32_e32 vcc_lo, 0x7f800000, v33
                                        ; implicit-def: $vgpr33
	s_and_saveexec_b32 s23, vcc_lo
	s_xor_b32 s23, exec_lo, s23
; %bb.2687:                             ;   in Loop: Header=BB8_2642 Depth=2
	v_bfe_u32 v33, v37, 16, 1
	s_delay_alu instid0(VALU_DEP_1)
	v_add3_u32 v33, v37, v33, 0x7fff
                                        ; implicit-def: $vgpr37
; %bb.2688:                             ;   in Loop: Header=BB8_2642 Depth=2
	s_and_not1_saveexec_b32 s23, s23
; %bb.2689:                             ;   in Loop: Header=BB8_2642 Depth=2
	v_and_b32_e32 v33, 0xffff, v37
	v_or_b32_e32 v38, 0x10000, v37
	s_delay_alu instid0(VALU_DEP_2) | instskip(NEXT) | instid1(VALU_DEP_2)
	v_cmp_eq_u32_e32 vcc_lo, 0, v33
	v_cndmask_b32_e32 v33, v38, v37, vcc_lo
; %bb.2690:                             ;   in Loop: Header=BB8_2642 Depth=2
	s_or_b32 exec_lo, exec_lo, s23
	s_wait_loadcnt_dscnt 0x404
	v_lshlrev_b32_e32 v29, 16, v29
	s_delay_alu instid0(VALU_DEP_1) | instskip(NEXT) | instid1(VALU_DEP_1)
	v_mul_f32_e32 v37, v18, v29
	v_and_b32_e32 v29, 0x7f800000, v37
	s_delay_alu instid0(VALU_DEP_1) | instskip(SKIP_1) | instid1(SALU_CYCLE_1)
	v_cmp_ne_u32_e32 vcc_lo, 0x7f800000, v29
                                        ; implicit-def: $vgpr29
	s_and_saveexec_b32 s23, vcc_lo
	s_xor_b32 s23, exec_lo, s23
; %bb.2691:                             ;   in Loop: Header=BB8_2642 Depth=2
	v_bfe_u32 v29, v37, 16, 1
	s_delay_alu instid0(VALU_DEP_1)
	v_add3_u32 v29, v37, v29, 0x7fff
                                        ; implicit-def: $vgpr37
; %bb.2692:                             ;   in Loop: Header=BB8_2642 Depth=2
	s_and_not1_saveexec_b32 s23, s23
; %bb.2693:                             ;   in Loop: Header=BB8_2642 Depth=2
	v_and_b32_e32 v29, 0xffff, v37
	v_or_b32_e32 v38, 0x10000, v37
	s_delay_alu instid0(VALU_DEP_2) | instskip(NEXT) | instid1(VALU_DEP_2)
	v_cmp_eq_u32_e32 vcc_lo, 0, v29
	v_cndmask_b32_e32 v29, v38, v37, vcc_lo
; %bb.2694:                             ;   in Loop: Header=BB8_2642 Depth=2
	s_or_b32 exec_lo, exec_lo, s23
	s_wait_loadcnt_dscnt 0x303
	v_lshlrev_b32_e32 v27, 16, v27
	s_delay_alu instid0(VALU_DEP_1) | instskip(NEXT) | instid1(VALU_DEP_1)
	v_mul_f32_e32 v37, v18, v27
	v_and_b32_e32 v27, 0x7f800000, v37
	s_delay_alu instid0(VALU_DEP_1) | instskip(SKIP_1) | instid1(SALU_CYCLE_1)
	v_cmp_ne_u32_e32 vcc_lo, 0x7f800000, v27
                                        ; implicit-def: $vgpr27
	s_and_saveexec_b32 s23, vcc_lo
	s_xor_b32 s23, exec_lo, s23
; %bb.2695:                             ;   in Loop: Header=BB8_2642 Depth=2
	v_bfe_u32 v27, v37, 16, 1
	s_delay_alu instid0(VALU_DEP_1)
	v_add3_u32 v27, v37, v27, 0x7fff
                                        ; implicit-def: $vgpr37
; %bb.2696:                             ;   in Loop: Header=BB8_2642 Depth=2
	s_and_not1_saveexec_b32 s23, s23
; %bb.2697:                             ;   in Loop: Header=BB8_2642 Depth=2
	v_and_b32_e32 v27, 0xffff, v37
	v_or_b32_e32 v38, 0x10000, v37
	s_delay_alu instid0(VALU_DEP_2) | instskip(NEXT) | instid1(VALU_DEP_2)
	v_cmp_eq_u32_e32 vcc_lo, 0, v27
	v_cndmask_b32_e32 v27, v38, v37, vcc_lo
; %bb.2698:                             ;   in Loop: Header=BB8_2642 Depth=2
	s_or_b32 exec_lo, exec_lo, s23
	s_wait_loadcnt_dscnt 0x202
	v_lshlrev_b32_e32 v25, 16, v25
	s_delay_alu instid0(VALU_DEP_1) | instskip(NEXT) | instid1(VALU_DEP_1)
	v_mul_f32_e32 v37, v18, v25
	v_and_b32_e32 v25, 0x7f800000, v37
	s_delay_alu instid0(VALU_DEP_1) | instskip(SKIP_1) | instid1(SALU_CYCLE_1)
	v_cmp_ne_u32_e32 vcc_lo, 0x7f800000, v25
                                        ; implicit-def: $vgpr25
	s_and_saveexec_b32 s23, vcc_lo
	s_xor_b32 s23, exec_lo, s23
; %bb.2699:                             ;   in Loop: Header=BB8_2642 Depth=2
	v_bfe_u32 v25, v37, 16, 1
	s_delay_alu instid0(VALU_DEP_1)
	v_add3_u32 v25, v37, v25, 0x7fff
                                        ; implicit-def: $vgpr37
; %bb.2700:                             ;   in Loop: Header=BB8_2642 Depth=2
	s_and_not1_saveexec_b32 s23, s23
; %bb.2701:                             ;   in Loop: Header=BB8_2642 Depth=2
	v_and_b32_e32 v25, 0xffff, v37
	v_or_b32_e32 v38, 0x10000, v37
	s_delay_alu instid0(VALU_DEP_2) | instskip(NEXT) | instid1(VALU_DEP_2)
	v_cmp_eq_u32_e32 vcc_lo, 0, v25
	v_cndmask_b32_e32 v25, v38, v37, vcc_lo
; %bb.2702:                             ;   in Loop: Header=BB8_2642 Depth=2
	s_or_b32 exec_lo, exec_lo, s23
	s_wait_loadcnt_dscnt 0x101
	v_lshlrev_b32_e32 v24, 16, v24
	s_delay_alu instid0(VALU_DEP_1) | instskip(NEXT) | instid1(VALU_DEP_1)
	v_mul_f32_e32 v37, v18, v24
	v_and_b32_e32 v24, 0x7f800000, v37
	s_delay_alu instid0(VALU_DEP_1) | instskip(SKIP_1) | instid1(SALU_CYCLE_1)
	v_cmp_ne_u32_e32 vcc_lo, 0x7f800000, v24
                                        ; implicit-def: $vgpr24
	s_and_saveexec_b32 s23, vcc_lo
	s_xor_b32 s23, exec_lo, s23
; %bb.2703:                             ;   in Loop: Header=BB8_2642 Depth=2
	v_bfe_u32 v24, v37, 16, 1
	s_delay_alu instid0(VALU_DEP_1)
	v_add3_u32 v24, v37, v24, 0x7fff
                                        ; implicit-def: $vgpr37
; %bb.2704:                             ;   in Loop: Header=BB8_2642 Depth=2
	s_and_not1_saveexec_b32 s23, s23
; %bb.2705:                             ;   in Loop: Header=BB8_2642 Depth=2
	v_and_b32_e32 v24, 0xffff, v37
	v_or_b32_e32 v38, 0x10000, v37
	s_delay_alu instid0(VALU_DEP_2) | instskip(NEXT) | instid1(VALU_DEP_2)
	v_cmp_eq_u32_e32 vcc_lo, 0, v24
	v_cndmask_b32_e32 v24, v38, v37, vcc_lo
; %bb.2706:                             ;   in Loop: Header=BB8_2642 Depth=2
	s_or_b32 exec_lo, exec_lo, s23
	s_wait_loadcnt_dscnt 0x0
	v_lshlrev_b32_e32 v22, 16, v22
	s_delay_alu instid0(VALU_DEP_1) | instskip(NEXT) | instid1(VALU_DEP_1)
	v_mul_f32_e32 v37, v18, v22
	v_and_b32_e32 v22, 0x7f800000, v37
	s_delay_alu instid0(VALU_DEP_1) | instskip(SKIP_1) | instid1(SALU_CYCLE_1)
	v_cmp_ne_u32_e32 vcc_lo, 0x7f800000, v22
                                        ; implicit-def: $vgpr22
	s_and_saveexec_b32 s23, vcc_lo
	s_xor_b32 s23, exec_lo, s23
; %bb.2707:                             ;   in Loop: Header=BB8_2642 Depth=2
	v_bfe_u32 v22, v37, 16, 1
	s_delay_alu instid0(VALU_DEP_1)
	v_add3_u32 v22, v37, v22, 0x7fff
                                        ; implicit-def: $vgpr37
; %bb.2708:                             ;   in Loop: Header=BB8_2642 Depth=2
	s_and_not1_saveexec_b32 s23, s23
	s_cbranch_execz .LBB8_2641
; %bb.2709:                             ;   in Loop: Header=BB8_2642 Depth=2
	v_and_b32_e32 v22, 0xffff, v37
	v_or_b32_e32 v38, 0x10000, v37
	s_delay_alu instid0(VALU_DEP_2) | instskip(NEXT) | instid1(VALU_DEP_2)
	v_cmp_eq_u32_e32 vcc_lo, 0, v22
	v_cndmask_b32_e32 v22, v38, v37, vcc_lo
	s_branch .LBB8_2641
.LBB8_2710:                             ;   in Loop: Header=BB8_2057 Depth=1
	s_or_b32 exec_lo, exec_lo, s21
	v_dual_lshlrev_b32 v27, 16, v34 :: v_dual_lshlrev_b32 v25, 16, v32
	v_dual_lshlrev_b32 v22, 16, v28 :: v_dual_lshlrev_b32 v24, 16, v26
	;; [unrolled: 1-line block ×4, first 2 shown]
	s_and_b32 s20, s20, exec_lo
.LBB8_2711:                             ;   in Loop: Header=BB8_2057 Depth=1
	s_or_b32 exec_lo, exec_lo, s19
	s_and_saveexec_b32 s19, s20
	s_cbranch_execz .LBB8_2745
; %bb.2712:                             ;   in Loop: Header=BB8_2057 Depth=1
	s_trap 2
	ds_load_b32 v12, v0
	s_wait_dscnt 0x0
	v_lshlrev_b32_e32 v13, 16, v12
	s_delay_alu instid0(VALU_DEP_1) | instskip(NEXT) | instid1(VALU_DEP_1)
	v_mul_f32_e32 v19, v27, v13
	v_and_b32_e32 v12, 0x7f800000, v19
	s_delay_alu instid0(VALU_DEP_1) | instskip(SKIP_1) | instid1(SALU_CYCLE_1)
	v_cmp_ne_u32_e32 vcc_lo, 0x7f800000, v12
                                        ; implicit-def: $vgpr12
	s_and_saveexec_b32 s20, vcc_lo
	s_xor_b32 s20, exec_lo, s20
; %bb.2713:                             ;   in Loop: Header=BB8_2057 Depth=1
	v_bfe_u32 v12, v19, 16, 1
	s_delay_alu instid0(VALU_DEP_1)
	v_add3_u32 v12, v19, v12, 0x7fff
                                        ; implicit-def: $vgpr19
; %bb.2714:                             ;   in Loop: Header=BB8_2057 Depth=1
	s_and_not1_saveexec_b32 s20, s20
; %bb.2715:                             ;   in Loop: Header=BB8_2057 Depth=1
	v_and_b32_e32 v12, 0xffff, v19
	v_or_b32_e32 v26, 0x10000, v19
	s_delay_alu instid0(VALU_DEP_2) | instskip(NEXT) | instid1(VALU_DEP_2)
	v_cmp_eq_u32_e32 vcc_lo, 0, v12
	v_cndmask_b32_e32 v12, v26, v19, vcc_lo
; %bb.2716:                             ;   in Loop: Header=BB8_2057 Depth=1
	s_or_b32 exec_lo, exec_lo, s20
	v_mul_f32_e32 v25, v25, v13
	s_delay_alu instid0(VALU_DEP_1) | instskip(NEXT) | instid1(VALU_DEP_1)
	v_and_b32_e32 v19, 0x7f800000, v25
	v_cmp_ne_u32_e32 vcc_lo, 0x7f800000, v19
                                        ; implicit-def: $vgpr19
	s_and_saveexec_b32 s20, vcc_lo
	s_delay_alu instid0(SALU_CYCLE_1)
	s_xor_b32 s20, exec_lo, s20
; %bb.2717:                             ;   in Loop: Header=BB8_2057 Depth=1
	v_bfe_u32 v19, v25, 16, 1
	s_delay_alu instid0(VALU_DEP_1)
	v_add3_u32 v19, v25, v19, 0x7fff
                                        ; implicit-def: $vgpr25
; %bb.2718:                             ;   in Loop: Header=BB8_2057 Depth=1
	s_and_not1_saveexec_b32 s20, s20
; %bb.2719:                             ;   in Loop: Header=BB8_2057 Depth=1
	v_and_b32_e32 v19, 0xffff, v25
	v_or_b32_e32 v26, 0x10000, v25
	s_delay_alu instid0(VALU_DEP_2) | instskip(NEXT) | instid1(VALU_DEP_2)
	v_cmp_eq_u32_e32 vcc_lo, 0, v19
	v_cndmask_b32_e32 v19, v26, v25, vcc_lo
; %bb.2720:                             ;   in Loop: Header=BB8_2057 Depth=1
	s_or_b32 exec_lo, exec_lo, s20
	v_mul_f32_e32 v25, v22, v13
	s_delay_alu instid0(VALU_DEP_1) | instskip(NEXT) | instid1(VALU_DEP_1)
	v_and_b32_e32 v22, 0x7f800000, v25
	v_cmp_ne_u32_e32 vcc_lo, 0x7f800000, v22
                                        ; implicit-def: $vgpr22
	s_and_saveexec_b32 s20, vcc_lo
	s_delay_alu instid0(SALU_CYCLE_1)
	s_xor_b32 s20, exec_lo, s20
; %bb.2721:                             ;   in Loop: Header=BB8_2057 Depth=1
	v_bfe_u32 v22, v25, 16, 1
	s_delay_alu instid0(VALU_DEP_1)
	v_add3_u32 v22, v25, v22, 0x7fff
                                        ; implicit-def: $vgpr25
; %bb.2722:                             ;   in Loop: Header=BB8_2057 Depth=1
	s_and_not1_saveexec_b32 s20, s20
; %bb.2723:                             ;   in Loop: Header=BB8_2057 Depth=1
	v_and_b32_e32 v22, 0xffff, v25
	v_or_b32_e32 v26, 0x10000, v25
	s_delay_alu instid0(VALU_DEP_2) | instskip(NEXT) | instid1(VALU_DEP_2)
	v_cmp_eq_u32_e32 vcc_lo, 0, v22
	v_cndmask_b32_e32 v22, v26, v25, vcc_lo
; %bb.2724:                             ;   in Loop: Header=BB8_2057 Depth=1
	s_or_b32 exec_lo, exec_lo, s20
	v_mul_f32_e32 v25, v24, v13
	s_delay_alu instid0(VALU_DEP_1) | instskip(NEXT) | instid1(VALU_DEP_1)
	v_and_b32_e32 v24, 0x7f800000, v25
	v_cmp_ne_u32_e32 vcc_lo, 0x7f800000, v24
                                        ; implicit-def: $vgpr24
	s_and_saveexec_b32 s20, vcc_lo
	s_delay_alu instid0(SALU_CYCLE_1)
	s_xor_b32 s20, exec_lo, s20
; %bb.2725:                             ;   in Loop: Header=BB8_2057 Depth=1
	v_bfe_u32 v24, v25, 16, 1
	s_delay_alu instid0(VALU_DEP_1)
	v_add3_u32 v24, v25, v24, 0x7fff
                                        ; implicit-def: $vgpr25
; %bb.2726:                             ;   in Loop: Header=BB8_2057 Depth=1
	s_and_not1_saveexec_b32 s20, s20
; %bb.2727:                             ;   in Loop: Header=BB8_2057 Depth=1
	v_and_b32_e32 v24, 0xffff, v25
	v_or_b32_e32 v26, 0x10000, v25
	s_delay_alu instid0(VALU_DEP_2) | instskip(NEXT) | instid1(VALU_DEP_2)
	v_cmp_eq_u32_e32 vcc_lo, 0, v24
	v_cndmask_b32_e32 v24, v26, v25, vcc_lo
; %bb.2728:                             ;   in Loop: Header=BB8_2057 Depth=1
	s_or_b32 exec_lo, exec_lo, s20
	v_mul_f32_e32 v25, v23, v13
	s_delay_alu instid0(VALU_DEP_1) | instskip(NEXT) | instid1(VALU_DEP_1)
	v_and_b32_e32 v23, 0x7f800000, v25
	v_cmp_ne_u32_e32 vcc_lo, 0x7f800000, v23
                                        ; implicit-def: $vgpr23
	s_and_saveexec_b32 s20, vcc_lo
	s_delay_alu instid0(SALU_CYCLE_1)
	s_xor_b32 s20, exec_lo, s20
; %bb.2729:                             ;   in Loop: Header=BB8_2057 Depth=1
	v_bfe_u32 v23, v25, 16, 1
	s_delay_alu instid0(VALU_DEP_1)
	v_add3_u32 v23, v25, v23, 0x7fff
                                        ; implicit-def: $vgpr25
; %bb.2730:                             ;   in Loop: Header=BB8_2057 Depth=1
	s_and_not1_saveexec_b32 s20, s20
; %bb.2731:                             ;   in Loop: Header=BB8_2057 Depth=1
	v_and_b32_e32 v23, 0xffff, v25
	v_or_b32_e32 v26, 0x10000, v25
	s_delay_alu instid0(VALU_DEP_2) | instskip(NEXT) | instid1(VALU_DEP_2)
	v_cmp_eq_u32_e32 vcc_lo, 0, v23
	v_cndmask_b32_e32 v23, v26, v25, vcc_lo
; %bb.2732:                             ;   in Loop: Header=BB8_2057 Depth=1
	s_or_b32 exec_lo, exec_lo, s20
	v_mul_f32_e32 v25, v21, v13
	s_delay_alu instid0(VALU_DEP_1) | instskip(NEXT) | instid1(VALU_DEP_1)
	v_and_b32_e32 v21, 0x7f800000, v25
	v_cmp_ne_u32_e32 vcc_lo, 0x7f800000, v21
                                        ; implicit-def: $vgpr21
	s_and_saveexec_b32 s20, vcc_lo
	s_delay_alu instid0(SALU_CYCLE_1)
	s_xor_b32 s20, exec_lo, s20
; %bb.2733:                             ;   in Loop: Header=BB8_2057 Depth=1
	v_bfe_u32 v21, v25, 16, 1
	s_delay_alu instid0(VALU_DEP_1)
	v_add3_u32 v21, v25, v21, 0x7fff
                                        ; implicit-def: $vgpr25
; %bb.2734:                             ;   in Loop: Header=BB8_2057 Depth=1
	s_and_not1_saveexec_b32 s20, s20
; %bb.2735:                             ;   in Loop: Header=BB8_2057 Depth=1
	v_and_b32_e32 v21, 0xffff, v25
	v_or_b32_e32 v26, 0x10000, v25
	s_delay_alu instid0(VALU_DEP_2) | instskip(NEXT) | instid1(VALU_DEP_2)
	v_cmp_eq_u32_e32 vcc_lo, 0, v21
	v_cndmask_b32_e32 v21, v26, v25, vcc_lo
; %bb.2736:                             ;   in Loop: Header=BB8_2057 Depth=1
	s_or_b32 exec_lo, exec_lo, s20
	v_mul_f32_e32 v25, v20, v13
	s_delay_alu instid0(VALU_DEP_1) | instskip(NEXT) | instid1(VALU_DEP_1)
	v_and_b32_e32 v20, 0x7f800000, v25
	v_cmp_ne_u32_e32 vcc_lo, 0x7f800000, v20
                                        ; implicit-def: $vgpr20
	s_and_saveexec_b32 s20, vcc_lo
	s_delay_alu instid0(SALU_CYCLE_1)
	s_xor_b32 s20, exec_lo, s20
; %bb.2737:                             ;   in Loop: Header=BB8_2057 Depth=1
	v_bfe_u32 v20, v25, 16, 1
	s_delay_alu instid0(VALU_DEP_1)
	v_add3_u32 v20, v25, v20, 0x7fff
                                        ; implicit-def: $vgpr25
; %bb.2738:                             ;   in Loop: Header=BB8_2057 Depth=1
	s_and_not1_saveexec_b32 s20, s20
; %bb.2739:                             ;   in Loop: Header=BB8_2057 Depth=1
	v_and_b32_e32 v20, 0xffff, v25
	v_or_b32_e32 v26, 0x10000, v25
	s_delay_alu instid0(VALU_DEP_2) | instskip(NEXT) | instid1(VALU_DEP_2)
	v_cmp_eq_u32_e32 vcc_lo, 0, v20
	v_cndmask_b32_e32 v20, v26, v25, vcc_lo
; %bb.2740:                             ;   in Loop: Header=BB8_2057 Depth=1
	s_or_b32 exec_lo, exec_lo, s20
	v_mul_f32_e32 v18, v18, v13
	s_delay_alu instid0(VALU_DEP_1) | instskip(NEXT) | instid1(VALU_DEP_1)
	v_and_b32_e32 v13, 0x7f800000, v18
	v_cmp_ne_u32_e32 vcc_lo, 0x7f800000, v13
                                        ; implicit-def: $vgpr13
	s_and_saveexec_b32 s20, vcc_lo
	s_delay_alu instid0(SALU_CYCLE_1)
	s_xor_b32 s20, exec_lo, s20
; %bb.2741:                             ;   in Loop: Header=BB8_2057 Depth=1
	v_bfe_u32 v13, v18, 16, 1
	s_delay_alu instid0(VALU_DEP_1)
	v_add3_u32 v13, v18, v13, 0x7fff
                                        ; implicit-def: $vgpr18
; %bb.2742:                             ;   in Loop: Header=BB8_2057 Depth=1
	s_and_not1_saveexec_b32 s20, s20
; %bb.2743:                             ;   in Loop: Header=BB8_2057 Depth=1
	v_and_b32_e32 v13, 0xffff, v18
	v_or_b32_e32 v25, 0x10000, v18
	s_delay_alu instid0(VALU_DEP_2) | instskip(NEXT) | instid1(VALU_DEP_2)
	v_cmp_eq_u32_e32 vcc_lo, 0, v13
	v_cndmask_b32_e32 v13, v25, v18, vcc_lo
; %bb.2744:                             ;   in Loop: Header=BB8_2057 Depth=1
	s_or_b32 exec_lo, exec_lo, s20
	s_clause 0x7
	flat_store_d16_hi_b16 v[10:11], v12 th:TH_STORE_NT
	flat_store_d16_hi_b16 v[10:11], v19 offset:64 th:TH_STORE_NT
	flat_store_d16_hi_b16 v[10:11], v22 offset:128 th:TH_STORE_NT
	;; [unrolled: 1-line block ×7, first 2 shown]
.LBB8_2745:                             ;   in Loop: Header=BB8_2057 Depth=1
	s_wait_xcnt 0x0
	s_or_b32 exec_lo, exec_lo, s19
	v_lshlrev_b32_e32 v10, 9, v16
	s_delay_alu instid0(VALU_DEP_1)
	v_cmp_ne_u32_e32 vcc_lo, v76, v10
	s_and_b32 exec_lo, exec_lo, vcc_lo
	s_cbranch_execz .LBB8_2767
; %bb.2746:                             ;   in Loop: Header=BB8_2057 Depth=1
	v_lshlrev_b32_e32 v11, 5, v17
	s_delay_alu instid0(VALU_DEP_1) | instskip(NEXT) | instid1(VALU_DEP_1)
	v_sub_nc_u32_e32 v11, v15, v11
	v_ashrrev_i32_e32 v12, 31, v11
	s_delay_alu instid0(VALU_DEP_1) | instskip(NEXT) | instid1(VALU_DEP_1)
	v_lshrrev_b32_e32 v12, 27, v12
	v_add_nc_u32_e32 v12, v11, v12
	s_delay_alu instid0(VALU_DEP_1) | instskip(NEXT) | instid1(VALU_DEP_1)
	v_and_b32_e32 v13, 0x7fffffe0, v12
	v_dual_lshlrev_b32 v12, 1, v12 :: v_dual_sub_nc_u32 v11, v11, v13
	s_delay_alu instid0(VALU_DEP_1) | instskip(NEXT) | instid1(VALU_DEP_2)
	v_and_b32_e32 v12, 0xffffffc0, v12
	v_lshlrev_b32_e32 v11, 1, v11
	s_delay_alu instid0(VALU_DEP_1) | instskip(NEXT) | instid1(VALU_DEP_1)
	v_add3_u32 v10, v12, v11, v10
	v_sub_nc_u32_e32 v16, v76, v10
	s_delay_alu instid0(VALU_DEP_1)
	v_cmp_lt_i32_e32 vcc_lo, 1, v16
	s_and_b32 exec_lo, exec_lo, vcc_lo
	s_cbranch_execz .LBB8_2767
; %bb.2747:                             ;   in Loop: Header=BB8_2057 Depth=1
	s_trap 2
	ds_load_b32 v15, v0
	v_add_nc_u32_e32 v12, v10, v14
	s_mov_b32 s21, 0
	s_mov_b32 s19, 0
                                        ; implicit-def: $sgpr20
	s_wait_dscnt 0x0
	s_delay_alu instid0(VALU_DEP_1) | instskip(NEXT) | instid1(VALU_DEP_1)
	v_dual_lshlrev_b32 v14, 16, v15 :: v_dual_ashrrev_i32 v13, 31, v12
                                        ; implicit-def: $vgpr15
	v_add_nc_u64_e32 v[10:11], v[56:57], v[12:13]
	v_add_nc_u64_e32 v[12:13], v[12:13], v[46:47]
	s_branch .LBB8_2749
.LBB8_2748:                             ;   in Loop: Header=BB8_2749 Depth=2
	s_or_b32 exec_lo, exec_lo, s22
	v_dual_cndmask_b32 v18, 0, v73, s21 :: v_dual_cndmask_b32 v19, 0, v103, s21
	v_cndmask_b32_e64 v20, 64, v118, s21
	flat_store_d16_hi_b16 v[10:11], v17 th:TH_STORE_NT
	v_dual_cndmask_b32 v21, 0, v119, s21 :: v_dual_sub_nc_u32 v16, v16, v18
	v_cndmask_b32_e64 v18, 0, v102, s21
	s_wait_xcnt 0x0
	s_delay_alu instid0(VALU_DEP_2) | instskip(NEXT) | instid1(VALU_DEP_3)
	v_add_nc_u64_e32 v[10:11], v[10:11], v[20:21]
	v_cmp_gt_i32_e32 vcc_lo, 2, v16
	s_delay_alu instid0(VALU_DEP_3) | instskip(SKIP_3) | instid1(SALU_CYCLE_1)
	v_add_nc_u64_e32 v[12:13], v[12:13], v[18:19]
	s_or_b32 s19, vcc_lo, s19
	s_and_not1_b32 s20, s20, exec_lo
	s_and_b32 s22, s21, exec_lo
	s_or_b32 s20, s20, s22
	s_and_not1_b32 exec_lo, exec_lo, s19
	s_cbranch_execz .LBB8_2761
.LBB8_2749:                             ;   Parent Loop BB8_2057 Depth=1
                                        ; =>  This Inner Loop Header: Depth=2
	flat_load_u16 v17, v[12:13] th:TH_LOAD_NT
	s_wait_xcnt 0x0
	s_and_saveexec_b32 s22, s21
	s_cbranch_execz .LBB8_2755
; %bb.2750:                             ;   in Loop: Header=BB8_2749 Depth=2
	v_lshlrev_b32_e32 v15, 16, v15
	s_delay_alu instid0(VALU_DEP_1) | instskip(NEXT) | instid1(VALU_DEP_1)
	v_mul_f32_e32 v15, v14, v15
	v_and_b32_e32 v18, 0x7f800000, v15
	s_delay_alu instid0(VALU_DEP_1) | instskip(SKIP_1) | instid1(SALU_CYCLE_1)
	v_cmp_ne_u32_e32 vcc_lo, 0x7f800000, v18
                                        ; implicit-def: $vgpr18
	s_and_saveexec_b32 s21, vcc_lo
	s_xor_b32 s21, exec_lo, s21
; %bb.2751:                             ;   in Loop: Header=BB8_2749 Depth=2
	v_bfe_u32 v18, v15, 16, 1
	s_delay_alu instid0(VALU_DEP_1)
	v_add3_u32 v18, v15, v18, 0x7fff
                                        ; implicit-def: $vgpr15
; %bb.2752:                             ;   in Loop: Header=BB8_2749 Depth=2
	s_and_not1_saveexec_b32 s21, s21
; %bb.2753:                             ;   in Loop: Header=BB8_2749 Depth=2
	v_and_b32_e32 v18, 0xffff, v15
	v_or_b32_e32 v19, 0x10000, v15
	s_delay_alu instid0(VALU_DEP_2) | instskip(NEXT) | instid1(VALU_DEP_2)
	v_cmp_eq_u32_e32 vcc_lo, 0, v18
	v_cndmask_b32_e32 v18, v19, v15, vcc_lo
; %bb.2754:                             ;   in Loop: Header=BB8_2749 Depth=2
	s_or_b32 exec_lo, exec_lo, s21
	s_delay_alu instid0(VALU_DEP_1)
	v_lshrrev_b32_e32 v15, 16, v18
	flat_store_b16 v[10:11], v15 th:TH_STORE_NT
	s_wait_xcnt 0x0
	v_add_nc_u64_e32 v[10:11], v[10:11], v[118:119]
.LBB8_2755:                             ;   in Loop: Header=BB8_2749 Depth=2
	s_or_b32 exec_lo, exec_lo, s22
	v_sub_nc_u32_e32 v16, v16, v73
	v_add_nc_u64_e32 v[12:13], v[12:13], v[118:119]
	s_delay_alu instid0(VALU_DEP_2)
	v_cmp_lt_i32_e64 s21, 1, v16
	s_and_saveexec_b32 s22, s21
	s_cbranch_execz .LBB8_2757
; %bb.2756:                             ;   in Loop: Header=BB8_2749 Depth=2
	flat_load_u16 v15, v[12:13] th:TH_LOAD_NT
	s_wait_xcnt 0x0
	v_add_nc_u64_e32 v[12:13], 64, v[12:13]
.LBB8_2757:                             ;   in Loop: Header=BB8_2749 Depth=2
	s_or_b32 exec_lo, exec_lo, s22
	s_wait_loadcnt_dscnt 0x0
	v_lshlrev_b32_e32 v17, 16, v17
	s_delay_alu instid0(VALU_DEP_1) | instskip(NEXT) | instid1(VALU_DEP_1)
	v_mul_f32_e32 v18, v14, v17
	v_and_b32_e32 v17, 0x7f800000, v18
	s_delay_alu instid0(VALU_DEP_1) | instskip(SKIP_1) | instid1(SALU_CYCLE_1)
	v_cmp_ne_u32_e32 vcc_lo, 0x7f800000, v17
                                        ; implicit-def: $vgpr17
	s_and_saveexec_b32 s22, vcc_lo
	s_xor_b32 s22, exec_lo, s22
; %bb.2758:                             ;   in Loop: Header=BB8_2749 Depth=2
	v_bfe_u32 v17, v18, 16, 1
	s_delay_alu instid0(VALU_DEP_1)
	v_add3_u32 v17, v18, v17, 0x7fff
                                        ; implicit-def: $vgpr18
; %bb.2759:                             ;   in Loop: Header=BB8_2749 Depth=2
	s_and_not1_saveexec_b32 s22, s22
	s_cbranch_execz .LBB8_2748
; %bb.2760:                             ;   in Loop: Header=BB8_2749 Depth=2
	v_and_b32_e32 v17, 0xffff, v18
	v_or_b32_e32 v19, 0x10000, v18
	s_delay_alu instid0(VALU_DEP_2) | instskip(NEXT) | instid1(VALU_DEP_2)
	v_cmp_eq_u32_e32 vcc_lo, 0, v17
	v_cndmask_b32_e32 v17, v19, v18, vcc_lo
	s_branch .LBB8_2748
.LBB8_2761:                             ;   in Loop: Header=BB8_2057 Depth=1
	s_or_b32 exec_lo, exec_lo, s19
	s_delay_alu instid0(SALU_CYCLE_1)
	s_and_b32 exec_lo, exec_lo, s20
	s_cbranch_execz .LBB8_2767
; %bb.2762:                             ;   in Loop: Header=BB8_2057 Depth=1
	v_lshlrev_b32_e32 v12, 16, v15
	s_delay_alu instid0(VALU_DEP_1) | instskip(NEXT) | instid1(VALU_DEP_1)
	v_mul_f32_e32 v12, v14, v12
	v_and_b32_e32 v13, 0x7f800000, v12
	s_delay_alu instid0(VALU_DEP_1) | instskip(SKIP_1) | instid1(SALU_CYCLE_1)
	v_cmp_ne_u32_e32 vcc_lo, 0x7f800000, v13
                                        ; implicit-def: $vgpr13
	s_and_saveexec_b32 s19, vcc_lo
	s_xor_b32 s19, exec_lo, s19
; %bb.2763:                             ;   in Loop: Header=BB8_2057 Depth=1
	v_bfe_u32 v13, v12, 16, 1
	s_delay_alu instid0(VALU_DEP_1)
	v_add3_u32 v13, v12, v13, 0x7fff
                                        ; implicit-def: $vgpr12
; %bb.2764:                             ;   in Loop: Header=BB8_2057 Depth=1
	s_and_not1_saveexec_b32 s19, s19
; %bb.2765:                             ;   in Loop: Header=BB8_2057 Depth=1
	v_and_b32_e32 v13, 0xffff, v12
	v_or_b32_e32 v14, 0x10000, v12
	s_delay_alu instid0(VALU_DEP_2) | instskip(NEXT) | instid1(VALU_DEP_2)
	v_cmp_eq_u32_e32 vcc_lo, 0, v13
	v_cndmask_b32_e32 v13, v14, v12, vcc_lo
; %bb.2766:                             ;   in Loop: Header=BB8_2057 Depth=1
	s_or_b32 exec_lo, exec_lo, s19
	flat_store_d16_hi_b16 v[10:11], v13 th:TH_STORE_NT
.LBB8_2767:                             ;   in Loop: Header=BB8_2057 Depth=1
	s_wait_xcnt 0x0
	s_or_b32 exec_lo, exec_lo, s10
	v_cmp_ne_u32_e64 s10, 0, v96
	s_and_saveexec_b32 s19, s2
	s_cbranch_execz .LBB8_2786
.LBB8_2768:                             ;   in Loop: Header=BB8_2057 Depth=1
	s_and_saveexec_b32 s20, s3
	s_delay_alu instid0(SALU_CYCLE_1)
	s_xor_b32 s20, exec_lo, s20
	s_cbranch_execz .LBB8_2783
; %bb.2769:                             ;   in Loop: Header=BB8_2057 Depth=1
	s_and_saveexec_b32 s21, s4
	s_cbranch_execz .LBB8_2782
; %bb.2770:                             ;   in Loop: Header=BB8_2057 Depth=1
	s_mov_b32 s23, exec_lo
	s_mov_b32 s22, exec_lo
	v_mbcnt_lo_u32_b32 v10, s23, 0
	global_wb scope:SCOPE_DEV
	s_wait_storecnt 0x0
	s_wait_loadcnt_dscnt 0x0
	global_inv scope:SCOPE_DEV
	v_cmpx_eq_u32_e32 0, v10
	s_cbranch_execz .LBB8_2772
; %bb.2771:                             ;   in Loop: Header=BB8_2057 Depth=1
	s_bcnt1_i32_b32 s23, s23
	s_delay_alu instid0(SALU_CYCLE_1)
	v_mov_b32_e32 v96, s23
	s_wait_loadcnt 0x0
	ds_add_u64 v0, v[96:97]
	s_trap 2
.LBB8_2772:                             ;   in Loop: Header=BB8_2057 Depth=1
	s_or_b32 exec_lo, exec_lo, s22
	s_trap 2
	ds_load_b64 v[10:11], v0
	s_wait_dscnt 0x0
	v_add_nc_u64_e32 v[80:81], v[80:81], v[86:87]
	s_mov_b32 s22, exec_lo
	s_delay_alu instid0(VALU_DEP_1)
	v_cmpx_lt_u64_e64 v[10:11], v[80:81]
	s_cbranch_execz .LBB8_2781
; %bb.2773:                             ;   in Loop: Header=BB8_2057 Depth=1
	s_mov_b32 s23, 0
	s_mov_b32 s26, 0
                                        ; implicit-def: $sgpr24
                                        ; implicit-def: $sgpr25
	s_branch .LBB8_2775
.LBB8_2774:                             ;   in Loop: Header=BB8_2775 Depth=2
	s_or_b32 exec_lo, exec_lo, s28
	s_delay_alu instid0(SALU_CYCLE_1) | instskip(NEXT) | instid1(SALU_CYCLE_1)
	s_and_b32 s27, exec_lo, s29
	s_or_b32 s23, s27, s23
	s_and_not1_b32 s24, s24, exec_lo
	s_and_b32 s27, s25, exec_lo
	s_delay_alu instid0(SALU_CYCLE_1)
	s_or_b32 s24, s24, s27
	s_and_not1_b32 exec_lo, exec_lo, s23
	s_cbranch_execz .LBB8_2779
.LBB8_2775:                             ;   Parent Loop BB8_2057 Depth=1
                                        ; =>  This Inner Loop Header: Depth=2
	s_add_co_i32 s26, s26, 1
	s_delay_alu instid0(SALU_CYCLE_1) | instskip(SKIP_1) | instid1(SALU_CYCLE_1)
	s_cmp_lg_u32 s26, 0x2710
	s_cselect_b32 s27, -1, 0
	s_and_b32 vcc_lo, exec_lo, s27
	s_cbranch_vccz .LBB8_2777
; %bb.2776:                             ;   in Loop: Header=BB8_2775 Depth=2
	s_mov_b32 s29, -1
	s_or_b32 s25, s25, exec_lo
	s_and_saveexec_b32 s28, s27
	s_cbranch_execz .LBB8_2774
	s_branch .LBB8_2778
.LBB8_2777:                             ;   in Loop: Header=BB8_2775 Depth=2
	s_trap 2
	ds_load_b64 v[10:11], v0
	s_and_not1_b32 s27, s27, exec_lo
	s_mov_b32 s26, 0
	s_wait_loadcnt_dscnt 0x0
	flat_load_b32 v10, v[10:11] scope:SCOPE_SYS
	s_wait_loadcnt_dscnt 0x0
	global_inv scope:SCOPE_SYS
	v_cmp_eq_u32_e32 vcc_lo, 0, v10
	s_and_b32 s28, vcc_lo, exec_lo
	s_delay_alu instid0(SALU_CYCLE_1)
	s_or_b32 s27, s27, s28
	s_mov_b32 s29, -1
	s_or_b32 s25, s25, exec_lo
	s_and_saveexec_b32 s28, s27
	s_cbranch_execz .LBB8_2774
.LBB8_2778:                             ;   in Loop: Header=BB8_2775 Depth=2
	s_sleep 1
	s_trap 2
	ds_load_b64 v[10:11], v0
	s_wait_dscnt 0x0
	s_and_not1_b32 s25, s25, exec_lo
	v_cmp_ge_u64_e32 vcc_lo, v[10:11], v[80:81]
	s_or_not1_b32 s29, vcc_lo, exec_lo
	s_branch .LBB8_2774
.LBB8_2779:                             ;   in Loop: Header=BB8_2057 Depth=1
	s_or_b32 exec_lo, exec_lo, s23
	s_and_saveexec_b32 s23, s24
	s_delay_alu instid0(SALU_CYCLE_1)
	s_xor_b32 s23, exec_lo, s23
	s_cbranch_execz .LBB8_2781
; %bb.2780:                             ;   in Loop: Header=BB8_2057 Depth=1
	ds_store_b32 v0, v75
	s_trap 2
.LBB8_2781:                             ;   in Loop: Header=BB8_2057 Depth=1
	s_or_b32 exec_lo, exec_lo, s22
	;;#ASMSTART
	s_wakeup
	;;#ASMEND
.LBB8_2782:                             ;   in Loop: Header=BB8_2057 Depth=1
	s_or_b32 exec_lo, exec_lo, s21
.LBB8_2783:                             ;   in Loop: Header=BB8_2057 Depth=1
	s_and_not1_saveexec_b32 s20, s20
	s_cbranch_execz .LBB8_2785
; %bb.2784:                             ;   in Loop: Header=BB8_2057 Depth=1
	global_wb scope:SCOPE_DEV
	s_wait_storecnt 0x0
	s_wait_loadcnt_dscnt 0x0
	global_inv scope:SCOPE_DEV
	s_barrier_signal -1
	s_barrier_wait -1
.LBB8_2785:                             ;   in Loop: Header=BB8_2057 Depth=1
	s_or_b32 exec_lo, exec_lo, s20
.LBB8_2786:                             ;   in Loop: Header=BB8_2057 Depth=1
	s_delay_alu instid0(SALU_CYCLE_1) | instskip(SKIP_1) | instid1(VALU_DEP_1)
	s_or_b32 exec_lo, exec_lo, s19
	v_and_b32_e32 v10, 16, v30
	v_cmp_ne_u32_e32 vcc_lo, 0, v10
	s_and_b32 s19, vcc_lo, s10
	s_delay_alu instid0(SALU_CYCLE_1)
	s_and_saveexec_b32 s10, s19
	s_cbranch_execz .LBB8_2788
; %bb.2787:                             ;   in Loop: Header=BB8_2057 Depth=1
	global_wb scope:SCOPE_SYS
	s_wait_storecnt 0x0
	s_wait_loadcnt_dscnt 0x0
	global_inv scope:SCOPE_SYS
.LBB8_2788:                             ;   in Loop: Header=BB8_2057 Depth=1
	s_or_b32 exec_lo, exec_lo, s10
	s_delay_alu instid0(SALU_CYCLE_1)
	s_mov_b32 s10, exec_lo
	v_cmpx_ne_u32_e32 0, v10
	s_cbranch_execz .LBB8_2792
; %bb.2789:                             ;   in Loop: Header=BB8_2057 Depth=1
	s_and_saveexec_b32 s19, s7
	s_cbranch_execz .LBB8_2791
; %bb.2790:                             ;   in Loop: Header=BB8_2057 Depth=1
	global_wb scope:SCOPE_SYS
	s_wait_storecnt 0x0
	s_wait_loadcnt_dscnt 0x0
	flat_store_b32 v[84:85], v75 scope:SCOPE_SYS
.LBB8_2791:                             ;   in Loop: Header=BB8_2057 Depth=1
	s_wait_xcnt 0x0
	s_or_b32 exec_lo, exec_lo, s19
	v_add_nc_u64_e32 v[8:9], 1, v[8:9]
	global_wb scope:SCOPE_SYS
	s_wait_storecnt 0x0
	s_wait_loadcnt_dscnt 0x0
	flat_store_b64 v[64:65], v[8:9] scope:SCOPE_SYS
.LBB8_2792:                             ;   in Loop: Header=BB8_2057 Depth=1
	s_wait_xcnt 0x0
	s_or_b32 exec_lo, exec_lo, s10
	v_mov_b32_e32 v10, v45
.LBB8_2793:                             ;   in Loop: Header=BB8_2057 Depth=1
	s_or_b32 exec_lo, exec_lo, s18
	s_and_saveexec_b32 s18, s17
	s_cbranch_execz .LBB8_2056
; %bb.2794:                             ;   in Loop: Header=BB8_2057 Depth=1
	s_delay_alu instid0(VALU_DEP_1) | instskip(SKIP_2) | instid1(VALU_DEP_2)
	v_sub_nc_u32_e32 v10, v44, v10
	v_and_b32_e32 v11, 8, v30
	s_mov_b32 s17, exec_lo
	v_min_i32_e32 v10, v45, v10
	s_delay_alu instid0(VALU_DEP_2)
	v_cmpx_ne_u32_e32 0, v11
	s_cbranch_execz .LBB8_2816
; %bb.2795:                             ;   in Loop: Header=BB8_2057 Depth=1
	s_wait_loadcnt 0x0
	v_add_nc_u64_e32 v[14:15], 8, v[70:71]
	s_wait_dscnt 0x0
	v_add_nc_u64_e32 v[12:13], 1, v[8:9]
	s_mov_b32 s19, exec_lo
	s_delay_alu instid0(VALU_DEP_1)
	v_cmpx_lt_u64_e64 v[14:15], v[12:13]
	s_cbranch_execz .LBB8_2807
; %bb.2796:                             ;   in Loop: Header=BB8_2057 Depth=1
	v_and_b32_e32 v9, 64, v30
	s_mov_b32 s20, 0
	s_mov_b32 s24, 0
                                        ; implicit-def: $sgpr21
                                        ; implicit-def: $sgpr22
                                        ; implicit-def: $sgpr23
	s_delay_alu instid0(VALU_DEP_1)
	v_cmp_eq_u32_e32 vcc_lo, 0, v9
	s_branch .LBB8_2800
.LBB8_2797:                             ;   in Loop: Header=BB8_2800 Depth=2
	s_wait_loadcnt_dscnt 0x0
	v_add_nc_u64_e32 v[14:15], 8, v[70:71]
	s_or_b32 s27, s27, exec_lo
	s_delay_alu instid0(VALU_DEP_1)
	v_cmp_ge_u64_e64 s10, v[14:15], v[12:13]
	s_or_not1_b32 s26, s10, exec_lo
.LBB8_2798:                             ;   in Loop: Header=BB8_2800 Depth=2
	s_or_b32 exec_lo, exec_lo, s29
	s_delay_alu instid0(SALU_CYCLE_1)
	s_and_not1_b32 s10, s23, exec_lo
	s_and_b32 s23, s27, exec_lo
	s_and_not1_b32 s22, s22, exec_lo
	s_and_b32 s26, s26, exec_lo
	s_or_b32 s23, s10, s23
	s_or_b32 s22, s22, s26
.LBB8_2799:                             ;   in Loop: Header=BB8_2800 Depth=2
	s_or_b32 exec_lo, exec_lo, s25
	s_delay_alu instid0(SALU_CYCLE_1) | instskip(NEXT) | instid1(SALU_CYCLE_1)
	s_and_b32 s10, exec_lo, s22
	s_or_b32 s20, s10, s20
	s_and_not1_b32 s10, s21, exec_lo
	s_and_b32 s21, s23, exec_lo
	s_delay_alu instid0(SALU_CYCLE_1)
	s_or_b32 s21, s10, s21
	s_and_not1_b32 exec_lo, exec_lo, s20
	s_cbranch_execz .LBB8_2804
.LBB8_2800:                             ;   Parent Loop BB8_2057 Depth=1
                                        ; =>  This Inner Loop Header: Depth=2
	s_sleep 1
	s_wait_loadcnt_dscnt 0x0
	flat_load_b64 v[70:71], v[64:65] scope:SCOPE_SYS
	s_or_b32 s23, s23, exec_lo
	s_or_b32 s22, s22, exec_lo
                                        ; implicit-def: $vgpr9
	s_wait_xcnt 0x0
	s_and_saveexec_b32 s25, vcc_lo
	s_cbranch_execz .LBB8_2799
; %bb.2801:                             ;   in Loop: Header=BB8_2800 Depth=2
	s_cmp_lt_i32 s24, 0x270f
	s_mov_b32 s26, -1
	s_cselect_b32 s28, -1, 0
	s_cmp_gt_i32 s24, 0x270e
	s_cbranch_scc0 .LBB8_2803
; %bb.2802:                             ;   in Loop: Header=BB8_2800 Depth=2
	s_trap 2
	ds_load_b64 v[14:15], v0
	s_and_not1_b32 s24, s28, exec_lo
	s_mov_b32 s27, 0
	s_wait_storecnt 0x0
	s_wait_loadcnt_dscnt 0x0
	flat_load_b32 v9, v[14:15] scope:SCOPE_SYS
	s_wait_loadcnt_dscnt 0x0
	global_inv scope:SCOPE_SYS
	v_cmp_eq_u32_e64 s10, 0, v9
	s_and_b32 s10, s10, exec_lo
	s_delay_alu instid0(SALU_CYCLE_1)
	s_or_b32 s28, s24, s10
	s_mov_b32 s24, 0
	s_and_saveexec_b32 s29, s28
	s_cbranch_execz .LBB8_2798
	s_branch .LBB8_2797
.LBB8_2803:                             ;   in Loop: Header=BB8_2800 Depth=2
	s_add_co_i32 s24, s24, 1
	s_mov_b32 s27, -1
                                        ; implicit-def: $vgpr9
	s_and_saveexec_b32 s29, s28
	s_cbranch_execz .LBB8_2798
	s_branch .LBB8_2797
.LBB8_2804:                             ;   in Loop: Header=BB8_2057 Depth=1
	s_or_b32 exec_lo, exec_lo, s20
	s_xor_b32 s10, s21, -1
	s_delay_alu instid0(SALU_CYCLE_1) | instskip(NEXT) | instid1(SALU_CYCLE_1)
	s_and_saveexec_b32 s20, s10
	s_xor_b32 s10, exec_lo, s20
	s_cbranch_execz .LBB8_2806
; %bb.2805:                             ;   in Loop: Header=BB8_2057 Depth=1
	v_or_b32_e32 v30, 64, v30
	s_wait_storecnt 0x0
	s_wait_loadcnt_dscnt 0x0
	ds_store_b32 v0, v9
	s_trap 2
.LBB8_2806:                             ;   in Loop: Header=BB8_2057 Depth=1
	s_or_b32 exec_lo, exec_lo, s10
.LBB8_2807:                             ;   in Loop: Header=BB8_2057 Depth=1
	s_delay_alu instid0(SALU_CYCLE_1) | instskip(SKIP_4) | instid1(VALU_DEP_1)
	s_or_b32 exec_lo, exec_lo, s19
	v_and_b32_e32 v9, 0x100, v30
	s_mov_b32 s19, 0
	s_mov_b32 s10, exec_lo
	;;#ASMSTART
	s_wakeup
	;;#ASMEND
                                        ; implicit-def: $vgpr14_vgpr15
	v_cmpx_ne_u32_e32 0, v9
	s_xor_b32 s10, exec_lo, s10
	s_cbranch_execz .LBB8_2828
; %bb.2808:                             ;   in Loop: Header=BB8_2057 Depth=1
	v_dual_ashrrev_i32 v11, 31, v10 :: v_dual_bitop2_b32 v96, 7, v8 bitop3:0x40
	s_mov_b32 s19, -1
	s_mov_b32 s20, exec_lo
	s_delay_alu instid0(VALU_DEP_1) | instskip(NEXT) | instid1(VALU_DEP_2)
	v_mad_nc_u64_u32 v[16:17], v96, 24, v[6:7]
	v_lshlrev_b64_e32 v[14:15], 1, v[10:11]
	s_clause 0x1
	flat_load_b32 v9, v[16:17]
	flat_store_b64 v[16:17], v[14:15] offset:8
                                        ; implicit-def: $vgpr14_vgpr15
	s_wait_loadcnt_dscnt 0x1
	v_cmpx_eq_u32_e32 1, v9
	s_cbranch_execz .LBB8_2810
; %bb.2809:                             ;   in Loop: Header=BB8_2057 Depth=1
	flat_load_b32 v14, v[16:17] offset:4 scope:SCOPE_SYS
	s_xor_b32 s19, exec_lo, -1
	s_wait_loadcnt_dscnt 0x0
	v_ashrrev_i32_e32 v15, 31, v14
	s_delay_alu instid0(VALU_DEP_1)
	v_lshrrev_b64 v[14:15], 1, v[14:15]
.LBB8_2810:                             ;   in Loop: Header=BB8_2057 Depth=1
	s_wait_xcnt 0x0
	s_or_b32 exec_lo, exec_lo, s20
	s_delay_alu instid0(SALU_CYCLE_1)
	s_and_b32 s19, s19, exec_lo
	s_and_not1_saveexec_b32 s10, s10
	s_cbranch_execnz .LBB8_2829
.LBB8_2811:                             ;   in Loop: Header=BB8_2057 Depth=1
	s_or_b32 exec_lo, exec_lo, s10
	s_and_saveexec_b32 s10, s19
.LBB8_2812:                             ;   in Loop: Header=BB8_2057 Depth=1
	v_mul_u64_e32 v[14:15], v[96:97], v[66:67]
.LBB8_2813:                             ;   in Loop: Header=BB8_2057 Depth=1
	s_or_b32 exec_lo, exec_lo, s10
	v_and_b32_e32 v11, 0x2000, v30
	s_delay_alu instid0(VALU_DEP_2)
	v_lshl_add_u64 v[8:9], v[14:15], 1, v[68:69]
	s_mov_b32 s10, exec_lo
	ds_store_b64 v0, v[8:9] offset:784
	v_cmpx_ne_u32_e32 0, v11
	s_cbranch_execz .LBB8_2815
; %bb.2814:                             ;   in Loop: Header=BB8_2057 Depth=1
	ds_load_b64 v[8:9], v0 offset:872
	s_wait_dscnt 0x0
	v_add_nc_u64_e32 v[8:9], 1, v[8:9]
	ds_store_b64 v0, v[8:9] offset:872
.LBB8_2815:                             ;   in Loop: Header=BB8_2057 Depth=1
	s_or_b32 exec_lo, exec_lo, s10
	v_mov_b64_e32 v[8:9], v[12:13]
.LBB8_2816:                             ;   in Loop: Header=BB8_2057 Depth=1
	s_or_b32 exec_lo, exec_lo, s17
	s_and_saveexec_b32 s10, s2
	s_cbranch_execz .LBB8_2837
; %bb.2817:                             ;   in Loop: Header=BB8_2057 Depth=1
	s_and_saveexec_b32 s17, s3
	s_delay_alu instid0(SALU_CYCLE_1)
	s_xor_b32 s17, exec_lo, s17
	s_cbranch_execz .LBB8_2834
; %bb.2818:                             ;   in Loop: Header=BB8_2057 Depth=1
	s_and_saveexec_b32 s19, s4
	s_cbranch_execz .LBB8_2833
; %bb.2819:                             ;   in Loop: Header=BB8_2057 Depth=1
	s_mov_b32 s21, exec_lo
	s_mov_b32 s20, exec_lo
	v_mbcnt_lo_u32_b32 v11, s21, 0
	global_wb scope:SCOPE_DEV
	s_wait_storecnt 0x0
	s_wait_loadcnt_dscnt 0x0
	global_inv scope:SCOPE_DEV
	v_cmpx_eq_u32_e32 0, v11
	s_cbranch_execz .LBB8_2821
; %bb.2820:                             ;   in Loop: Header=BB8_2057 Depth=1
	s_bcnt1_i32_b32 s21, s21
	s_delay_alu instid0(SALU_CYCLE_1)
	v_mov_b32_e32 v96, s21
	s_wait_loadcnt 0x0
	ds_add_u64 v0, v[96:97]
	s_trap 2
.LBB8_2821:                             ;   in Loop: Header=BB8_2057 Depth=1
	s_or_b32 exec_lo, exec_lo, s20
	s_trap 2
	ds_load_b64 v[12:13], v0
	s_wait_dscnt 0x0
	v_add_nc_u64_e32 v[80:81], v[80:81], v[86:87]
	s_mov_b32 s20, exec_lo
	s_delay_alu instid0(VALU_DEP_1)
	v_cmpx_lt_u64_e64 v[12:13], v[80:81]
	s_cbranch_execz .LBB8_2832
; %bb.2822:                             ;   in Loop: Header=BB8_2057 Depth=1
	s_mov_b32 s21, 0
	s_mov_b32 s24, 0
                                        ; implicit-def: $sgpr22
                                        ; implicit-def: $sgpr23
	s_branch .LBB8_2824
.LBB8_2823:                             ;   in Loop: Header=BB8_2824 Depth=2
	s_or_b32 exec_lo, exec_lo, s26
	s_delay_alu instid0(SALU_CYCLE_1) | instskip(NEXT) | instid1(SALU_CYCLE_1)
	s_and_b32 s25, exec_lo, s27
	s_or_b32 s21, s25, s21
	s_and_not1_b32 s22, s22, exec_lo
	s_and_b32 s25, s23, exec_lo
	s_delay_alu instid0(SALU_CYCLE_1)
	s_or_b32 s22, s22, s25
	s_and_not1_b32 exec_lo, exec_lo, s21
	s_cbranch_execz .LBB8_2830
.LBB8_2824:                             ;   Parent Loop BB8_2057 Depth=1
                                        ; =>  This Inner Loop Header: Depth=2
	s_add_co_i32 s24, s24, 1
	s_delay_alu instid0(SALU_CYCLE_1) | instskip(SKIP_1) | instid1(SALU_CYCLE_1)
	s_cmp_lg_u32 s24, 0x2710
	s_cselect_b32 s25, -1, 0
	s_and_b32 vcc_lo, exec_lo, s25
	s_cbranch_vccz .LBB8_2826
; %bb.2825:                             ;   in Loop: Header=BB8_2824 Depth=2
	s_mov_b32 s27, -1
	s_or_b32 s23, s23, exec_lo
	s_and_saveexec_b32 s26, s25
	s_cbranch_execz .LBB8_2823
	s_branch .LBB8_2827
.LBB8_2826:                             ;   in Loop: Header=BB8_2824 Depth=2
	s_trap 2
	ds_load_b64 v[12:13], v0
	s_and_not1_b32 s25, s25, exec_lo
	s_mov_b32 s24, 0
	s_wait_loadcnt_dscnt 0x0
	flat_load_b32 v11, v[12:13] scope:SCOPE_SYS
	s_wait_loadcnt_dscnt 0x0
	global_inv scope:SCOPE_SYS
	v_cmp_eq_u32_e32 vcc_lo, 0, v11
	s_and_b32 s26, vcc_lo, exec_lo
	s_delay_alu instid0(SALU_CYCLE_1)
	s_or_b32 s25, s25, s26
	s_mov_b32 s27, -1
	s_or_b32 s23, s23, exec_lo
	s_and_saveexec_b32 s26, s25
	s_cbranch_execz .LBB8_2823
.LBB8_2827:                             ;   in Loop: Header=BB8_2824 Depth=2
	s_sleep 1
	s_trap 2
	ds_load_b64 v[12:13], v0
	s_wait_dscnt 0x0
	s_and_not1_b32 s23, s23, exec_lo
	v_cmp_ge_u64_e32 vcc_lo, v[12:13], v[80:81]
	s_or_not1_b32 s27, vcc_lo, exec_lo
	s_branch .LBB8_2823
.LBB8_2828:                             ;   in Loop: Header=BB8_2057 Depth=1
	s_and_not1_saveexec_b32 s10, s10
	s_cbranch_execz .LBB8_2811
.LBB8_2829:                             ;   in Loop: Header=BB8_2057 Depth=1
	v_and_b32_e32 v96, 7, v8
	s_or_b32 s19, s19, exec_lo
	s_or_b32 exec_lo, exec_lo, s10
	s_and_saveexec_b32 s10, s19
	s_cbranch_execnz .LBB8_2812
	s_branch .LBB8_2813
.LBB8_2830:                             ;   in Loop: Header=BB8_2057 Depth=1
	s_or_b32 exec_lo, exec_lo, s21
	s_and_saveexec_b32 s21, s22
	s_delay_alu instid0(SALU_CYCLE_1)
	s_xor_b32 s21, exec_lo, s21
	s_cbranch_execz .LBB8_2832
; %bb.2831:                             ;   in Loop: Header=BB8_2057 Depth=1
	ds_store_b32 v0, v75
	s_trap 2
.LBB8_2832:                             ;   in Loop: Header=BB8_2057 Depth=1
	s_or_b32 exec_lo, exec_lo, s20
	;;#ASMSTART
	s_wakeup
	;;#ASMEND
.LBB8_2833:                             ;   in Loop: Header=BB8_2057 Depth=1
	s_or_b32 exec_lo, exec_lo, s19
.LBB8_2834:                             ;   in Loop: Header=BB8_2057 Depth=1
	s_and_not1_saveexec_b32 s17, s17
	s_cbranch_execz .LBB8_2836
; %bb.2835:                             ;   in Loop: Header=BB8_2057 Depth=1
	global_wb scope:SCOPE_DEV
	s_wait_storecnt 0x0
	s_wait_loadcnt_dscnt 0x0
	global_inv scope:SCOPE_DEV
	s_barrier_signal -1
	s_barrier_wait -1
.LBB8_2836:                             ;   in Loop: Header=BB8_2057 Depth=1
	s_or_b32 exec_lo, exec_lo, s17
.LBB8_2837:                             ;   in Loop: Header=BB8_2057 Depth=1
	s_delay_alu instid0(SALU_CYCLE_1)
	s_or_b32 exec_lo, exec_lo, s10
	s_trap 2
	ds_load_b32 v11, v0
	v_cmp_lt_i32_e32 vcc_lo, 0, v10
	s_wait_dscnt 0x0
	v_readfirstlane_b32 s10, v11
	v_and_b32_e32 v11, 16, v30
	s_cmp_eq_u32 s10, 0
	s_delay_alu instid0(VALU_DEP_1) | instskip(SKIP_1) | instid1(SALU_CYCLE_1)
	v_cmp_ne_u32_e64 s10, 0, v11
	s_cselect_b32 s17, -1, 0
	s_and_b32 s17, vcc_lo, s17
	s_delay_alu instid0(SALU_CYCLE_1) | instskip(NEXT) | instid1(SALU_CYCLE_1)
	s_and_b32 s17, s10, s17
	s_and_saveexec_b32 s10, s17
	s_cbranch_execz .LBB8_2839
; %bb.2838:                             ;   in Loop: Header=BB8_2057 Depth=1
	global_wb scope:SCOPE_SYS
	s_wait_loadcnt 0x0
	s_wait_storecnt 0x0
	global_inv scope:SCOPE_SYS
.LBB8_2839:                             ;   in Loop: Header=BB8_2057 Depth=1
	s_or_b32 exec_lo, exec_lo, s10
	s_delay_alu instid0(SALU_CYCLE_1)
	s_mov_b32 s10, exec_lo
	v_cmpx_ne_u32_e32 0, v11
	s_cbranch_execz .LBB8_2055
; %bb.2840:                             ;   in Loop: Header=BB8_2057 Depth=1
	s_and_saveexec_b32 s17, s7
	s_cbranch_execz .LBB8_2054
; %bb.2841:                             ;   in Loop: Header=BB8_2057 Depth=1
	global_wb scope:SCOPE_SYS
	s_wait_loadcnt 0x0
	s_wait_storecnt 0x0
	flat_store_b32 v[84:85], v75 scope:SCOPE_SYS
	s_branch .LBB8_2054
.LBB8_2842:
	s_or_b32 exec_lo, exec_lo, s13
.LBB8_2843:
	s_delay_alu instid0(SALU_CYCLE_1)
	s_or_b32 exec_lo, exec_lo, s12
.LBB8_2844:
	s_delay_alu instid0(SALU_CYCLE_1) | instskip(SKIP_2) | instid1(VALU_DEP_1)
	s_or_b32 exec_lo, exec_lo, s11
	v_and_b32_e32 v0, 0x800, v30
	s_mov_b32 s1, exec_lo
	v_cmpx_eq_u32_e32 0, v0
	s_cbranch_execz .LBB8_2877
; %bb.2845:
	v_and_b32_e32 v0, 48, v30
	s_mov_b32 s0, exec_lo
	s_delay_alu instid0(VALU_DEP_1)
	v_cmpx_ne_u32_e32 0, v0
	s_cbranch_execz .LBB8_2847
; %bb.2846:
	s_wait_dscnt 0x0
	flat_store_b64 v[54:55], v[8:9] offset:104
.LBB8_2847:
	s_wait_xcnt 0x0
	s_or_b32 exec_lo, exec_lo, s0
	v_and_b32_e32 v0, 0x88, v30
	s_mov_b32 s2, exec_lo
	s_delay_alu instid0(VALU_DEP_1)
	v_cmpx_eq_u32_e32 0x88, v0
	s_cbranch_execz .LBB8_2857
; %bb.2848:
	s_wait_dscnt 0x0
	v_add_nc_u32_e32 v0, -1, v8
	s_mov_b32 s3, 0
	s_delay_alu instid0(VALU_DEP_1) | instskip(NEXT) | instid1(VALU_DEP_1)
	v_and_b32_e32 v0, 7, v0
	v_mad_nc_u64_u32 v[4:5], v0, 24, v[6:7]
	v_and_b32_e32 v0, 64, v30
	s_delay_alu instid0(VALU_DEP_1)
	v_cmp_eq_u32_e64 s0, 0, v0
	flat_load_b64 v[6:7], v[4:5] offset:8 scope:SCOPE_SYS
	s_wait_loadcnt_dscnt 0x0
	v_cmp_ne_u64_e32 vcc_lo, -1, v[6:7]
	s_and_b32 s0, vcc_lo, s0
	s_wait_xcnt 0x0
	s_and_b32 exec_lo, exec_lo, s0
	s_cbranch_execz .LBB8_2857
; %bb.2849:
	s_mov_b32 s5, 0
                                        ; implicit-def: $sgpr0
                                        ; implicit-def: $sgpr4
	s_branch .LBB8_2852
.LBB8_2850:                             ;   in Loop: Header=BB8_2852 Depth=1
	flat_load_b64 v[6:7], v[4:5] offset:8 scope:SCOPE_SYS
	s_wait_loadcnt 0x0
	s_and_not1_b32 s4, s4, exec_lo
	s_wait_dscnt 0x0
	v_cmp_eq_u64_e32 vcc_lo, -1, v[6:7]
	s_or_not1_b32 s7, vcc_lo, exec_lo
.LBB8_2851:                             ;   in Loop: Header=BB8_2852 Depth=1
	s_wait_xcnt 0x0
	s_or_b32 exec_lo, exec_lo, s10
	s_delay_alu instid0(SALU_CYCLE_1) | instskip(NEXT) | instid1(SALU_CYCLE_1)
	s_and_b32 s6, exec_lo, s7
	s_or_b32 s3, s6, s3
	s_and_not1_b32 s0, s0, exec_lo
	s_and_b32 s6, s4, exec_lo
	s_delay_alu instid0(SALU_CYCLE_1)
	s_or_b32 s0, s0, s6
	s_and_not1_b32 exec_lo, exec_lo, s3
	s_cbranch_execz .LBB8_2855
.LBB8_2852:                             ; =>This Inner Loop Header: Depth=1
	s_cmp_lt_i32 s5, 0x270f
	s_cselect_b32 s6, -1, 0
	s_delay_alu instid0(SALU_CYCLE_1)
	s_and_b32 vcc_lo, exec_lo, s6
	s_cbranch_vccnz .LBB8_2854
; %bb.2853:                             ;   in Loop: Header=BB8_2852 Depth=1
	s_trap 2
	ds_load_b64 v[6:7], v0
	s_and_not1_b32 s6, s6, exec_lo
	s_mov_b32 s5, 0
	s_wait_storecnt_dscnt 0x0
	flat_load_b32 v0, v[6:7] scope:SCOPE_SYS
	s_wait_loadcnt_dscnt 0x0
	global_inv scope:SCOPE_SYS
	v_cmp_eq_u32_e32 vcc_lo, 0, v0
	s_and_b32 s7, vcc_lo, exec_lo
	s_delay_alu instid0(SALU_CYCLE_1)
	s_or_b32 s6, s6, s7
	s_mov_b32 s7, -1
	s_or_b32 s4, s4, exec_lo
	s_wait_xcnt 0x0
	s_and_saveexec_b32 s10, s6
	s_cbranch_execz .LBB8_2851
	s_branch .LBB8_2850
.LBB8_2854:                             ;   in Loop: Header=BB8_2852 Depth=1
	s_add_co_i32 s5, s5, 1
                                        ; implicit-def: $vgpr0
	s_mov_b32 s7, -1
	s_or_b32 s4, s4, exec_lo
	s_and_saveexec_b32 s10, s6
	s_cbranch_execz .LBB8_2851
	s_branch .LBB8_2850
.LBB8_2855:
	s_or_b32 exec_lo, exec_lo, s3
	s_and_saveexec_b32 s3, s0
	s_delay_alu instid0(SALU_CYCLE_1)
	s_xor_b32 s3, exec_lo, s3
	s_cbranch_execz .LBB8_2857
; %bb.2856:
	s_wait_loadcnt 0x0
	s_wait_storecnt 0x0
	ds_store_b32 v0, v0
	s_trap 2
.LBB8_2857:
	s_or_b32 exec_lo, exec_lo, s2
	v_and_b32_e32 v0, 0x2000, v30
	s_mov_b32 s0, exec_lo
	s_delay_alu instid0(VALU_DEP_1)
	v_cmpx_ne_u32_e32 0, v0
	s_cbranch_execz .LBB8_2859
; %bb.2858:
	s_trap 2
	ds_load_b64 v[4:5], v0
	s_wait_dscnt 0x0
	flat_store_b64 v[2:3], v[4:5] offset:16
.LBB8_2859:
	s_wait_xcnt 0x0
	s_or_b32 exec_lo, exec_lo, s0
	v_cmp_ne_u32_e32 vcc_lo, 32, v1
	s_and_b32 exec_lo, exec_lo, vcc_lo
	s_cbranch_execz .LBB8_2877
; %bb.2860:
	s_mov_b32 s0, exec_lo
	v_cmpx_ne_u32_e64 v1, v72
	s_xor_b32 s0, exec_lo, s0
	s_cbranch_execz .LBB8_2875
; %bb.2861:
	v_and_b32_e32 v0, 31, v31
	s_mov_b32 s2, exec_lo
	s_delay_alu instid0(VALU_DEP_1)
	v_cmpx_eq_u32_e32 0, v0
	s_cbranch_execz .LBB8_2874
; %bb.2862:
	s_mov_b32 s4, exec_lo
	s_mov_b32 s3, exec_lo
	v_mbcnt_lo_u32_b32 v0, s4, 0
	global_wb scope:SCOPE_DEV
	s_wait_storecnt 0x0
	s_wait_loadcnt_dscnt 0x0
	global_inv scope:SCOPE_DEV
	v_cmpx_eq_u32_e32 0, v0
	s_cbranch_execz .LBB8_2864
; %bb.2863:
	s_bcnt1_i32_b32 s4, s4
	s_delay_alu instid0(SALU_CYCLE_1)
	v_dual_mov_b32 v3, 0 :: v_dual_mov_b32 v2, s4
	s_wait_loadcnt 0x0
	ds_add_u64 v0, v[2:3]
	s_trap 2
.LBB8_2864:
	s_or_b32 exec_lo, exec_lo, s3
	s_trap 2
	ds_load_b64 v[2:3], v0
	s_wait_dscnt 0x0
	v_dual_mov_b32 v1, 0 :: v_dual_lshrrev_b32 v0, 5, v1
	s_mov_b32 s3, exec_lo
	s_delay_alu instid0(VALU_DEP_1) | instskip(NEXT) | instid1(VALU_DEP_1)
	v_add_nc_u64_e32 v[0:1], v[80:81], v[0:1]
	v_cmpx_lt_u64_e64 v[2:3], v[0:1]
	s_cbranch_execz .LBB8_2873
; %bb.2865:
	s_mov_b32 s4, 0
	s_mov_b32 s7, 0
                                        ; implicit-def: $sgpr5
                                        ; implicit-def: $sgpr6
	s_branch .LBB8_2867
.LBB8_2866:                             ;   in Loop: Header=BB8_2867 Depth=1
	s_or_b32 exec_lo, exec_lo, s11
	s_delay_alu instid0(SALU_CYCLE_1) | instskip(NEXT) | instid1(SALU_CYCLE_1)
	s_and_b32 s10, exec_lo, s12
	s_or_b32 s4, s10, s4
	s_and_not1_b32 s5, s5, exec_lo
	s_and_b32 s10, s6, exec_lo
	s_delay_alu instid0(SALU_CYCLE_1)
	s_or_b32 s5, s5, s10
	s_and_not1_b32 exec_lo, exec_lo, s4
	s_cbranch_execz .LBB8_2871
.LBB8_2867:                             ; =>This Inner Loop Header: Depth=1
	s_add_co_i32 s7, s7, 1
	s_delay_alu instid0(SALU_CYCLE_1) | instskip(SKIP_1) | instid1(SALU_CYCLE_1)
	s_cmp_lg_u32 s7, 0x2710
	s_cselect_b32 s10, -1, 0
	s_and_b32 vcc_lo, exec_lo, s10
	s_cbranch_vccz .LBB8_2869
; %bb.2868:                             ;   in Loop: Header=BB8_2867 Depth=1
	s_mov_b32 s12, -1
	s_or_b32 s6, s6, exec_lo
	s_and_saveexec_b32 s11, s10
	s_cbranch_execz .LBB8_2866
	s_branch .LBB8_2870
.LBB8_2869:                             ;   in Loop: Header=BB8_2867 Depth=1
	s_trap 2
	ds_load_b64 v[2:3], v0
	s_and_not1_b32 s10, s10, exec_lo
	s_mov_b32 s7, 0
	s_wait_loadcnt_dscnt 0x0
	flat_load_b32 v2, v[2:3] scope:SCOPE_SYS
	s_wait_loadcnt_dscnt 0x0
	global_inv scope:SCOPE_SYS
	v_cmp_eq_u32_e32 vcc_lo, 0, v2
	s_and_b32 s11, vcc_lo, exec_lo
	s_delay_alu instid0(SALU_CYCLE_1)
	s_or_b32 s10, s10, s11
	s_mov_b32 s12, -1
	s_or_b32 s6, s6, exec_lo
	s_and_saveexec_b32 s11, s10
	s_cbranch_execz .LBB8_2866
.LBB8_2870:                             ;   in Loop: Header=BB8_2867 Depth=1
	s_sleep 1
	s_trap 2
	ds_load_b64 v[2:3], v0
	s_wait_dscnt 0x0
	s_and_not1_b32 s6, s6, exec_lo
	v_cmp_ge_u64_e32 vcc_lo, v[2:3], v[0:1]
	s_or_not1_b32 s12, vcc_lo, exec_lo
	s_branch .LBB8_2866
.LBB8_2871:
	s_or_b32 exec_lo, exec_lo, s4
	s_and_saveexec_b32 s4, s5
	s_delay_alu instid0(SALU_CYCLE_1)
	s_xor_b32 s4, exec_lo, s4
	s_cbranch_execz .LBB8_2873
; %bb.2872:
	v_mov_b32_e32 v0, 1
	ds_store_b32 v0, v0
	s_trap 2
.LBB8_2873:
	s_or_b32 exec_lo, exec_lo, s3
	;;#ASMSTART
	s_wakeup
	;;#ASMEND
.LBB8_2874:
	s_or_b32 exec_lo, exec_lo, s2
.LBB8_2875:
	s_and_not1_saveexec_b32 s0, s0
	s_cbranch_execz .LBB8_2877
; %bb.2876:
	global_wb scope:SCOPE_DEV
	s_wait_storecnt 0x0
	s_wait_loadcnt_dscnt 0x0
	global_inv scope:SCOPE_DEV
	s_barrier_signal -1
	s_barrier_wait -1
.LBB8_2877:
	s_or_b32 exec_lo, exec_lo, s1
.LBB8_2878:
	s_and_not1_saveexec_b32 s21, s16
	s_cbranch_execz .LBB8_2880
; %bb.2879:
	s_get_pc_i64 s[0:1]
	s_add_nc_u64 s[0:1], s[0:1], __PRETTY_FUNCTION__._ZN10PrimitivesI12hip_bfloat1613FuncPreMulSumIS0_E12FanSymmetricILi1EELi0E11ProtoSimpleILi1ELi1ELi0ELi2ELi0ELi0EELi0ELb0ELi0ELi1ELi0EEC2EiiPKiS9_PKvPvmhhhP15ncclDevWorkCollP14ncclDevWorkP2pii@rel64+4
	s_get_pc_i64 s[2:3]
	s_add_nc_u64 s[2:3], s[2:3], __assert_fail@rel64+4
	v_dual_mov_b32 v0, s0 :: v_dual_mov_b32 v1, s1
	s_swap_pc_i64 s[30:31], s[2:3]
	; divergent unreachable
.LBB8_2880:
	s_or_b32 exec_lo, exec_lo, s21
	s_clause 0x29
	scratch_load_b32 v121, off, s33
	scratch_load_b32 v120, off, s33 offset:4
	scratch_load_b32 v111, off, s33 offset:8
	;; [unrolled: 1-line block ×41, first 2 shown]
	v_readlane_b32 s30, v122, 0
	v_readlane_b32 s31, v122, 1
	s_mov_b32 s32, s33
	s_wait_xcnt 0x0
	s_or_saveexec_b32 s0, -1
	scratch_load_b32 v122, off, s33 offset:240 ; 4-byte Folded Reload
	s_wait_xcnt 0x0
	s_mov_b32 exec_lo, s0
	s_mov_b32 s33, s46
	s_wait_loadcnt_dscnt 0x0
	s_set_pc_i64 s[30:31]
.Lfunc_end8:
	.size	_ZN12_GLOBAL__N_17runRingI12hip_bfloat1613FuncPreMulSumIS1_E11ProtoSimpleILi1ELi1ELi0ELi2ELi0ELi0EELi0ELi2ELi1EEEviiP15ncclDevWorkColl, .Lfunc_end8-_ZN12_GLOBAL__N_17runRingI12hip_bfloat1613FuncPreMulSumIS1_E11ProtoSimpleILi1ELi1ELi0ELi2ELi0ELi0EELi0ELi2ELi1EEEviiP15ncclDevWorkColl
                                        ; -- End function
	.set .L_ZN12_GLOBAL__N_17runRingI12hip_bfloat1613FuncPreMulSumIS1_E11ProtoSimpleILi1ELi1ELi0ELi2ELi0ELi0EELi0ELi2ELi1EEEviiP15ncclDevWorkColl.num_vgpr, max(123, .L__assert_fail.num_vgpr)
	.set .L_ZN12_GLOBAL__N_17runRingI12hip_bfloat1613FuncPreMulSumIS1_E11ProtoSimpleILi1ELi1ELi0ELi2ELi0ELi0EELi0ELi2ELi1EEEviiP15ncclDevWorkColl.num_agpr, max(0, .L__assert_fail.num_agpr)
	.set .L_ZN12_GLOBAL__N_17runRingI12hip_bfloat1613FuncPreMulSumIS1_E11ProtoSimpleILi1ELi1ELi0ELi2ELi0ELi0EELi0ELi2ELi1EEEviiP15ncclDevWorkColl.numbered_sgpr, max(47, .L__assert_fail.numbered_sgpr)
	.set .L_ZN12_GLOBAL__N_17runRingI12hip_bfloat1613FuncPreMulSumIS1_E11ProtoSimpleILi1ELi1ELi0ELi2ELi0ELi0EELi0ELi2ELi1EEEviiP15ncclDevWorkColl.num_named_barrier, max(0, .L__assert_fail.num_named_barrier)
	.set .L_ZN12_GLOBAL__N_17runRingI12hip_bfloat1613FuncPreMulSumIS1_E11ProtoSimpleILi1ELi1ELi0ELi2ELi0ELi0EELi0ELi2ELi1EEEviiP15ncclDevWorkColl.private_seg_size, 256+max(.L__assert_fail.private_seg_size)
	.set .L_ZN12_GLOBAL__N_17runRingI12hip_bfloat1613FuncPreMulSumIS1_E11ProtoSimpleILi1ELi1ELi0ELi2ELi0ELi0EELi0ELi2ELi1EEEviiP15ncclDevWorkColl.uses_vcc, or(1, .L__assert_fail.uses_vcc)
	.set .L_ZN12_GLOBAL__N_17runRingI12hip_bfloat1613FuncPreMulSumIS1_E11ProtoSimpleILi1ELi1ELi0ELi2ELi0ELi0EELi0ELi2ELi1EEEviiP15ncclDevWorkColl.uses_flat_scratch, or(1, .L__assert_fail.uses_flat_scratch)
	.set .L_ZN12_GLOBAL__N_17runRingI12hip_bfloat1613FuncPreMulSumIS1_E11ProtoSimpleILi1ELi1ELi0ELi2ELi0ELi0EELi0ELi2ELi1EEEviiP15ncclDevWorkColl.has_dyn_sized_stack, or(0, .L__assert_fail.has_dyn_sized_stack)
	.set .L_ZN12_GLOBAL__N_17runRingI12hip_bfloat1613FuncPreMulSumIS1_E11ProtoSimpleILi1ELi1ELi0ELi2ELi0ELi0EELi0ELi2ELi1EEEviiP15ncclDevWorkColl.has_recursion, or(1, .L__assert_fail.has_recursion)
	.set .L_ZN12_GLOBAL__N_17runRingI12hip_bfloat1613FuncPreMulSumIS1_E11ProtoSimpleILi1ELi1ELi0ELi2ELi0ELi0EELi0ELi2ELi1EEEviiP15ncclDevWorkColl.has_indirect_call, or(0, .L__assert_fail.has_indirect_call)
	.section	.AMDGPU.csdata,"",@progbits
; Function info:
; codeLenInByte = 87844
; TotalNumSgprs: 49
; NumVgprs: 123
; ScratchSize: 320
; MemoryBound: 1
	.text
	.p2align	2                               ; -- Begin function _Z51ncclDevFunc_Reduce_RING_SIMPLE_PreMulSum_bf16_0_1_2v
	.type	_Z51ncclDevFunc_Reduce_RING_SIMPLE_PreMulSum_bf16_0_1_2v,@function
_Z51ncclDevFunc_Reduce_RING_SIMPLE_PreMulSum_bf16_0_1_2v: ; @_Z51ncclDevFunc_Reduce_RING_SIMPLE_PreMulSum_bf16_0_1_2v
; %bb.0:
	s_wait_loadcnt_dscnt 0x0
	s_wait_kmcnt 0x0
	s_mov_b32 s62, s33
	s_mov_b32 s33, s32
	s_or_saveexec_b32 s0, -1
	scratch_store_b32 off, v42, s33 offset:12 ; 4-byte Folded Spill
	s_wait_xcnt 0x0
	s_mov_b32 exec_lo, s0
	s_add_co_i32 s32, s32, 32
	s_clause 0x2
	scratch_store_b32 off, v40, s33 offset:8
	; meta instruction
	scratch_store_b32 off, v41, s33 offset:4
	; meta instruction
	scratch_store_b32 off, v122, s33
	v_writelane_b32 v42, s30, 0
	v_writelane_b32 v42, s31, 1
	s_trap 2
	ds_load_b32 v0, v0
	s_wait_xcnt 0x2
	v_mov_b32_e32 v40, v31
	s_mov_b32 s47, s12
	s_mov_b64 s[56:57], s[8:9]
	s_mov_b32 s2, exec_lo
	s_wait_xcnt 0x1
	v_and_b32_e32 v41, 0x3ff, v40
	s_wait_dscnt 0x0
	s_wait_xcnt 0x0
	s_delay_alu instid0(VALU_DEP_1)
	v_cmpx_lt_i32_e64 v41, v0
	s_cbranch_execz .LBB9_5
; %bb.1:
	s_load_b32 s0, s[56:57], 0x0
	s_bfe_u32 s1, ttmp6, 0x4000c
	s_and_b32 s3, ttmp6, 15
	s_add_co_i32 s1, s1, 1
	s_getreg_b32 s4, hwreg(HW_REG_IB_STS2, 6, 4)
	s_mul_i32 s1, ttmp9, s1
	v_mov_b32_e32 v2, v41
	s_add_co_i32 s3, s3, s1
	s_cmp_eq_u32 s4, 0
                                        ; implicit-def: $vgpr3
	s_cselect_b32 s1, ttmp9, s3
	s_mov_b32 s3, 0
	s_wait_kmcnt 0x0
	s_cmp_lt_u32 s1, s0
	s_mov_b32 s1, 0
	s_cselect_b32 s0, 12, 18
	s_delay_alu instid0(SALU_CYCLE_1)
	s_add_nc_u64 s[4:5], s[56:57], s[0:1]
	s_load_u16 s0, s[4:5], 0x0
	s_trap 2
	ds_load_b32 v1, v0
	s_wait_dscnt 0x0
	s_wait_kmcnt 0x0
	v_mul_lo_u32 v1, v1, s0
	s_branch .LBB9_3
.LBB9_2:                                ;   in Loop: Header=BB9_3 Depth=1
	s_or_b32 exec_lo, exec_lo, s4
	v_dual_add_nc_u32 v2, s0, v2 :: v_dual_add_nc_u32 v3, v3, v1
	s_delay_alu instid0(VALU_DEP_1) | instskip(SKIP_1) | instid1(SALU_CYCLE_1)
	v_cmp_ge_i32_e32 vcc_lo, v2, v0
	s_or_b32 s3, vcc_lo, s3
	s_and_not1_b32 exec_lo, exec_lo, s3
	s_cbranch_execz .LBB9_5
.LBB9_3:                                ; =>This Inner Loop Header: Depth=1
	ds_load_b32 v4, v3
	s_mov_b32 s4, exec_lo
	s_wait_dscnt 0x0
	v_and_b32_e32 v4, 0x1000000, v4
	s_delay_alu instid0(VALU_DEP_1)
	v_cmpx_ne_u32_e32 0, v4
	s_cbranch_execz .LBB9_2
; %bb.4:                                ;   in Loop: Header=BB9_3 Depth=1
	ds_load_b64 v[4:5], v3 offset:104
	s_wait_dscnt 0x0
	flat_load_u16 v4, v[4:5]
	s_wait_xcnt 0x0
	v_mov_b32_e32 v5, s1
	s_wait_loadcnt_dscnt 0x0
	v_and_b32_e32 v4, 0xffff, v4
	ds_store_b64 v3, v[4:5] offset:104
	s_branch .LBB9_2
.LBB9_5:
	s_or_b32 exec_lo, exec_lo, s2
	s_wait_storecnt_dscnt 0x0
	s_barrier_signal -1
	s_barrier_wait -1
	s_trap 2
	ds_load_b32 v0, v0
	s_wait_dscnt 0x0
	v_cmp_gt_i32_e32 vcc_lo, 1, v0
	s_cbranch_vccnz .LBB9_13
; %bb.6:
	s_mov_b32 s60, 0
	s_get_pc_i64 s[58:59]
	s_add_nc_u64 s[58:59], s[58:59], _ZN12_GLOBAL__N_17runRingI12hip_bfloat1613FuncPreMulSumIS1_E11ProtoSimpleILi1ELi1ELi0ELi2ELi0ELi0EELi0ELi2ELi1EEEviiP15ncclDevWorkColl@rel64+4
	s_branch .LBB9_8
.LBB9_7:                                ;   in Loop: Header=BB9_8 Depth=1
	s_or_b32 exec_lo, exec_lo, s61
	s_trap 2
	ds_load_b32 v0, v0
	s_add_co_i32 s60, s60, 1
	s_wait_dscnt 0x0
	v_cmp_lt_i32_e32 vcc_lo, s60, v0
	s_cbranch_vccz .LBB9_13
.LBB9_8:                                ; =>This Inner Loop Header: Depth=1
	s_trap 2
	ds_load_b32 v0, v0
	s_cmp_eq_u32 s60, 0
	s_cbranch_scc1 .LBB9_11
; %bb.9:                                ;   in Loop: Header=BB9_8 Depth=1
	s_trap 2
	s_wait_dscnt 0x0
	ds_load_b32 v1, v0
	s_wait_dscnt 0x0
	v_xor_b32_e32 v1, v1, v0
	s_delay_alu instid0(VALU_DEP_1) | instskip(NEXT) | instid1(VALU_DEP_1)
	v_and_b32_e32 v1, 0xff0000, v1
	v_cmp_eq_u32_e32 vcc_lo, 0, v1
	s_cbranch_vccnz .LBB9_11
; %bb.10:                               ;   in Loop: Header=BB9_8 Depth=1
	s_barrier_signal -1
	s_barrier_wait -1
	ds_load_b32 v0, v0
.LBB9_11:                               ;   in Loop: Header=BB9_8 Depth=1
	s_wait_dscnt 0x0
	v_lshrrev_b32_e32 v0, 11, v0
	s_mov_b32 s61, exec_lo
	s_delay_alu instid0(VALU_DEP_1) | instskip(NEXT) | instid1(VALU_DEP_1)
	v_and_b32_e32 v1, 0x1fe0, v0
	v_cmpx_lt_u32_e64 v41, v1
	s_cbranch_execz .LBB9_7
; %bb.12:                               ;   in Loop: Header=BB9_8 Depth=1
	s_mov_b64 s[0:1], src_shared_base
	v_dual_mov_b32 v31, v40 :: v_dual_mov_b32 v0, v41
	v_mov_b32_e32 v3, s1
	s_mov_b64 s[8:9], s[56:57]
	s_mov_b32 s12, s47
	s_swap_pc_i64 s[30:31], s[58:59]
	s_branch .LBB9_7
.LBB9_13:
	s_clause 0x2
	scratch_load_b32 v122, off, s33
	scratch_load_b32 v41, off, s33 offset:4
	scratch_load_b32 v40, off, s33 offset:8
	v_readlane_b32 s30, v42, 0
	v_readlane_b32 s31, v42, 1
	s_mov_b32 s32, s33
	s_wait_xcnt 0x0
	s_or_saveexec_b32 s0, -1
	scratch_load_b32 v42, off, s33 offset:12 ; 4-byte Folded Reload
	s_wait_xcnt 0x0
	s_mov_b32 exec_lo, s0
	s_mov_b32 s33, s62
	s_wait_loadcnt 0x0
	s_set_pc_i64 s[30:31]
.Lfunc_end9:
	.size	_Z51ncclDevFunc_Reduce_RING_SIMPLE_PreMulSum_bf16_0_1_2v, .Lfunc_end9-_Z51ncclDevFunc_Reduce_RING_SIMPLE_PreMulSum_bf16_0_1_2v
                                        ; -- End function
	.set .L_Z51ncclDevFunc_Reduce_RING_SIMPLE_PreMulSum_bf16_0_1_2v.num_vgpr, max(123, .L_ZN12_GLOBAL__N_17runRingI12hip_bfloat1613FuncPreMulSumIS1_E11ProtoSimpleILi1ELi1ELi0ELi2ELi0ELi0EELi0ELi2ELi1EEEviiP15ncclDevWorkColl.num_vgpr)
	.set .L_Z51ncclDevFunc_Reduce_RING_SIMPLE_PreMulSum_bf16_0_1_2v.num_agpr, max(0, .L_ZN12_GLOBAL__N_17runRingI12hip_bfloat1613FuncPreMulSumIS1_E11ProtoSimpleILi1ELi1ELi0ELi2ELi0ELi0EELi0ELi2ELi1EEEviiP15ncclDevWorkColl.num_agpr)
	.set .L_Z51ncclDevFunc_Reduce_RING_SIMPLE_PreMulSum_bf16_0_1_2v.numbered_sgpr, max(63, .L_ZN12_GLOBAL__N_17runRingI12hip_bfloat1613FuncPreMulSumIS1_E11ProtoSimpleILi1ELi1ELi0ELi2ELi0ELi0EELi0ELi2ELi1EEEviiP15ncclDevWorkColl.numbered_sgpr)
	.set .L_Z51ncclDevFunc_Reduce_RING_SIMPLE_PreMulSum_bf16_0_1_2v.num_named_barrier, max(0, .L_ZN12_GLOBAL__N_17runRingI12hip_bfloat1613FuncPreMulSumIS1_E11ProtoSimpleILi1ELi1ELi0ELi2ELi0ELi0EELi0ELi2ELi1EEEviiP15ncclDevWorkColl.num_named_barrier)
	.set .L_Z51ncclDevFunc_Reduce_RING_SIMPLE_PreMulSum_bf16_0_1_2v.private_seg_size, 32+max(.L_ZN12_GLOBAL__N_17runRingI12hip_bfloat1613FuncPreMulSumIS1_E11ProtoSimpleILi1ELi1ELi0ELi2ELi0ELi0EELi0ELi2ELi1EEEviiP15ncclDevWorkColl.private_seg_size)
	.set .L_Z51ncclDevFunc_Reduce_RING_SIMPLE_PreMulSum_bf16_0_1_2v.uses_vcc, or(1, .L_ZN12_GLOBAL__N_17runRingI12hip_bfloat1613FuncPreMulSumIS1_E11ProtoSimpleILi1ELi1ELi0ELi2ELi0ELi0EELi0ELi2ELi1EEEviiP15ncclDevWorkColl.uses_vcc)
	.set .L_Z51ncclDevFunc_Reduce_RING_SIMPLE_PreMulSum_bf16_0_1_2v.uses_flat_scratch, or(1, .L_ZN12_GLOBAL__N_17runRingI12hip_bfloat1613FuncPreMulSumIS1_E11ProtoSimpleILi1ELi1ELi0ELi2ELi0ELi0EELi0ELi2ELi1EEEviiP15ncclDevWorkColl.uses_flat_scratch)
	.set .L_Z51ncclDevFunc_Reduce_RING_SIMPLE_PreMulSum_bf16_0_1_2v.has_dyn_sized_stack, or(0, .L_ZN12_GLOBAL__N_17runRingI12hip_bfloat1613FuncPreMulSumIS1_E11ProtoSimpleILi1ELi1ELi0ELi2ELi0ELi0EELi0ELi2ELi1EEEviiP15ncclDevWorkColl.has_dyn_sized_stack)
	.set .L_Z51ncclDevFunc_Reduce_RING_SIMPLE_PreMulSum_bf16_0_1_2v.has_recursion, or(1, .L_ZN12_GLOBAL__N_17runRingI12hip_bfloat1613FuncPreMulSumIS1_E11ProtoSimpleILi1ELi1ELi0ELi2ELi0ELi0EELi0ELi2ELi1EEEviiP15ncclDevWorkColl.has_recursion)
	.set .L_Z51ncclDevFunc_Reduce_RING_SIMPLE_PreMulSum_bf16_0_1_2v.has_indirect_call, or(0, .L_ZN12_GLOBAL__N_17runRingI12hip_bfloat1613FuncPreMulSumIS1_E11ProtoSimpleILi1ELi1ELi0ELi2ELi0ELi0EELi0ELi2ELi1EEEviiP15ncclDevWorkColl.has_indirect_call)
	.section	.AMDGPU.csdata,"",@progbits
; Function info:
; codeLenInByte = 756
; TotalNumSgprs: 65
; NumVgprs: 123
; ScratchSize: 352
; MemoryBound: 0
	.text
	.p2align	2                               ; -- Begin function _ZN12_GLOBAL__N_17runRingI12hip_bfloat1613FuncPreMulSumIS1_E11ProtoSimpleILi1ELi1ELi0ELi4ELi0ELi0EELi0ELi4ELi0EEEviiP15ncclDevWorkColl
	.type	_ZN12_GLOBAL__N_17runRingI12hip_bfloat1613FuncPreMulSumIS1_E11ProtoSimpleILi1ELi1ELi0ELi4ELi0ELi0EELi0ELi4ELi0EEEviiP15ncclDevWorkColl,@function
_ZN12_GLOBAL__N_17runRingI12hip_bfloat1613FuncPreMulSumIS1_E11ProtoSimpleILi1ELi1ELi0ELi4ELi0ELi0EELi0ELi4ELi0EEEviiP15ncclDevWorkColl: ; @_ZN12_GLOBAL__N_17runRingI12hip_bfloat1613FuncPreMulSumIS1_E11ProtoSimpleILi1ELi1ELi0ELi4ELi0ELi0EELi0ELi4ELi0EEEviiP15ncclDevWorkColl
; %bb.0:
	s_wait_loadcnt_dscnt 0x0
	s_wait_kmcnt 0x0
	s_mov_b32 s43, s33
	s_mov_b32 s33, s32
	s_or_saveexec_b32 s0, -1
	scratch_store_b32 off, v127, s33 offset:200 ; 4-byte Folded Spill
	s_wait_xcnt 0x0
	s_mov_b32 exec_lo, s0
	s_addk_co_i32 s32, 0xd0
	s_clause 0x2e
	scratch_store_b32 off, v40, s33 offset:184
	; meta instruction
	scratch_store_b32 off, v41, s33 offset:180
	; meta instruction
	;; [unrolled: 2-line block ×46, first 2 shown]
	scratch_store_b32 off, v126, s33
	v_writelane_b32 v127, s30, 0
	v_writelane_b32 v127, s31, 1
	s_trap 2
	ds_load_b64 v[14:15], v0
	ds_load_b32 v9, v0
	flat_load_b64 v[6:7], v[2:3]
                                        ; implicit-def: $vgpr18_vgpr19
                                        ; implicit-def: $vgpr4_vgpr5
                                        ; implicit-def: $vgpr26_vgpr27
	s_wait_dscnt 0x2
	v_readfirstlane_b32 s0, v14
	v_readfirstlane_b32 s1, v15
	flat_load_u16 v17, v[2:3] offset:8
	flat_load_b32 v24, v15, s[0:1] offset:-4 scale_offset
	s_wait_xcnt 0x0
	s_mov_b32 s0, exec_lo
	s_wait_loadcnt_dscnt 0x202
	v_and_b32_e32 v8, 0xff, v6
	v_mov_b32_e32 v16, v7
	s_delay_alu instid0(VALU_DEP_2)
	v_cmpx_ne_u32_e64 v9, v8
	s_xor_b32 s0, exec_lo, s0
	s_cbranch_execz .LBB10_6
; %bb.1:
	v_bfe_u32 v10, v6, 8, 8
	v_not_b32_e32 v8, v8
	s_mov_b32 s1, exec_lo
                                        ; implicit-def: $vgpr18_vgpr19
                                        ; implicit-def: $vgpr4_vgpr5
                                        ; implicit-def: $vgpr26_vgpr27
	s_delay_alu instid0(VALU_DEP_2)
	v_cmpx_ne_u32_e64 v9, v10
	s_xor_b32 s1, exec_lo, s1
	s_cbranch_execz .LBB10_3
; %bb.2:
	s_clause 0x1
	flat_load_b128 v[4:7], v[2:3] offset:72
	flat_load_b64 v[10:11], v[2:3] offset:96
	v_add_nc_u32_e32 v8, v9, v8
	s_wait_loadcnt_dscnt 0x101
	s_delay_alu instid0(VALU_DEP_1) | instskip(SKIP_3) | instid1(VALU_DEP_3)
	v_mad_nc_u64_u32 v[26:27], v6, v8, v[4:5]
	v_ashrrev_i32_e32 v5, 31, v8
	s_wait_loadcnt_dscnt 0x0
	v_lshrrev_b64 v[18:19], 13, v[10:11]
                                        ; implicit-def: $vgpr10
	v_mad_u32 v4, v7, v8, v27
                                        ; implicit-def: $vgpr8
	s_delay_alu instid0(VALU_DEP_1)
	v_mad_u32 v27, v6, v5, v4
	v_mov_b64_e32 v[4:5], v[6:7]
.LBB10_3:
	s_wait_xcnt 0x0
	s_and_not1_saveexec_b32 s1, s1
	s_cbranch_execz .LBB10_5
; %bb.4:
	s_clause 0x1
	flat_load_b128 v[18:21], v[2:3] offset:72
	flat_load_b128 v[4:7], v[2:3] offset:88
	s_wait_loadcnt_dscnt 0x0
	v_add_nc_u32_e32 v6, v10, v8
	s_delay_alu instid0(VALU_DEP_1) | instskip(SKIP_1) | instid1(VALU_DEP_2)
	v_mad_nc_u64_u32 v[26:27], v20, v6, v[18:19]
	v_lshrrev_b32_e32 v18, 2, v7
	v_mad_u32 v8, v21, v6, v27
	v_ashrrev_i32_e32 v6, 31, v6
	s_delay_alu instid0(VALU_DEP_1)
	v_mad_u32 v27, v20, v6, v8
.LBB10_5:
	s_wait_xcnt 0x0
	s_or_b32 exec_lo, exec_lo, s1
.LBB10_6:
	s_and_not1_saveexec_b32 s0, s0
	s_cbranch_execz .LBB10_8
; %bb.7:
	s_clause 0x1
	flat_load_b64 v[6:7], v[2:3] offset:96
	flat_load_b64 v[4:5], v[2:3] offset:72
	v_mov_b64_e32 v[26:27], 0
	s_wait_loadcnt_dscnt 0x101
	v_lshlrev_b64_e32 v[18:19], 8, v[6:7]
.LBB10_8:
	s_wait_xcnt 0x0
	s_or_b32 exec_lo, exec_lo, s0
	s_trap 2
	ds_load_b64 v[6:7], v0
	s_mov_b32 s1, 0
	s_mov_b32 s2, exec_lo
	s_wait_dscnt 0x0
	v_cmp_ne_u32_e32 vcc_lo, -1, v6
	v_cndmask_b32_e64 v19, 0, 1, vcc_lo
	v_cmp_ne_u32_e32 vcc_lo, -1, v7
	s_delay_alu instid0(VALU_DEP_2) | instskip(NEXT) | instid1(VALU_DEP_1)
	v_add_co_ci_u32_e64 v6, null, 0, v19, vcc_lo
	v_lshlrev_b32_e32 v7, 1, v6
	s_delay_alu instid0(VALU_DEP_1)
	v_cmpx_le_u32_e64 v7, v1
	s_xor_b32 s11, exec_lo, s2
	s_cbranch_execz .LBB10_1869
; %bb.9:
	s_clause 0x1
	flat_load_b128 v[10:13], v[2:3] offset:16
	flat_load_b64 v[20:21], v[2:3] offset:104
	s_trap 2
	s_load_b32 s0, s[8:9], 0x0
	s_bfe_u32 s2, ttmp6, 0x4000c
	s_and_b32 s3, ttmp6, 15
	s_add_co_i32 s2, s2, 1
	s_getreg_b32 s4, hwreg(HW_REG_IB_STS2, 6, 4)
	s_mul_i32 s2, ttmp9, s2
	v_dual_mov_b32 v2, 0 :: v_dual_mov_b32 v30, 4
	s_add_co_i32 s3, s3, s2
	s_cmp_eq_u32 s4, 0
	s_cselect_b32 s2, ttmp9, s3
	s_wait_kmcnt 0x0
	s_cmp_lt_u32 s2, s0
	s_mov_b32 s2, exec_lo
	s_cselect_b32 s0, 12, 18
	s_delay_alu instid0(SALU_CYCLE_1)
	s_add_nc_u64 s[0:1], s[8:9], s[0:1]
	global_load_u16 v15, v2, s[0:1]
	s_wait_xcnt 0x0
	ds_load_b32 v2, v0
	s_wait_dscnt 0x0
	v_readfirstlane_b32 s1, v2
	v_cmpx_ge_u32_e64 v0, v19
	s_cbranch_execz .LBB10_19
; %bb.10:
	v_cmp_ge_u32_e64 s0, v0, v6
                                        ; implicit-def: $vgpr30
	s_and_saveexec_b32 s3, s0
	s_delay_alu instid0(SALU_CYCLE_1)
	s_xor_b32 s0, exec_lo, s3
	s_cbranch_execz .LBB10_16
; %bb.11:
	v_cndmask_b32_e64 v2, 0, 1, vcc_lo
	s_mov_b32 s3, exec_lo
	s_delay_alu instid0(VALU_DEP_1) | instskip(NEXT) | instid1(VALU_DEP_1)
	v_sub_nc_u32_e32 v2, v1, v2
	v_cmpx_ge_u32_e64 v0, v2
	s_xor_b32 s3, exec_lo, s3
; %bb.12:
                                        ; implicit-def: $vgpr6
; %bb.13:
	s_delay_alu instid0(SALU_CYCLE_1)
	s_or_saveexec_b32 s3, s3
	v_mov_b32_e32 v30, 16
	s_xor_b32 exec_lo, exec_lo, s3
; %bb.14:
	v_sub_nc_u32_e32 v2, v1, v6
	s_delay_alu instid0(VALU_DEP_1)
	v_cmp_lt_i32_e32 vcc_lo, v0, v2
	v_cndmask_b32_e64 v30, 32, 0, vcc_lo
; %bb.15:
	s_or_b32 exec_lo, exec_lo, s3
.LBB10_16:
	s_and_not1_saveexec_b32 s0, s0
; %bb.17:
	v_mov_b32_e32 v30, 8
; %bb.18:
	s_or_b32 exec_lo, exec_lo, s0
.LBB10_19:
	s_delay_alu instid0(SALU_CYCLE_1) | instskip(NEXT) | instid1(VALU_DEP_1)
	s_or_b32 exec_lo, exec_lo, s2
	v_and_b32_e32 v2, 36, v30
	s_delay_alu instid0(VALU_DEP_1)
	v_cmp_ne_u32_e32 vcc_lo, 0, v2
	v_mov_b32_e32 v2, -1
	s_and_saveexec_b32 s0, vcc_lo
	s_cbranch_execz .LBB10_21
; %bb.20:
	s_trap 2
	ds_load_b32 v2, v0
.LBB10_21:
	s_or_b32 exec_lo, exec_lo, s0
	v_and_b32_e32 v3, 24, v30
	s_mov_b32 s2, exec_lo
	s_delay_alu instid0(VALU_DEP_1)
	v_cmpx_ne_u32_e32 0, v3
	s_cbranch_execz .LBB10_23
; %bb.22:
	s_trap 2
	s_wait_dscnt 0x0
	ds_load_b32 v2, v0
.LBB10_23:
	s_or_b32 exec_lo, exec_lo, s2
	s_wait_loadcnt 0x4
	v_lshrrev_b64 v[6:7], 31, v[16:17]
	v_mov_b64_e32 v[28:29], 0
                                        ; implicit-def: $vgpr34
                                        ; implicit-def: $vgpr48_vgpr49
                                        ; implicit-def: $vgpr36_vgpr37
                                        ; implicit-def: $vgpr32_vgpr33
	s_delay_alu instid0(VALU_DEP_2) | instskip(SKIP_1) | instid1(VALU_DEP_2)
	v_and_b32_e32 v3, 3, v6
	v_mov_b64_e32 v[6:7], 0
                                        ; implicit-def: $vgpr8_vgpr9
                                        ; kill: killed $vgpr8_vgpr9
	v_and_b32_e32 v3, 0xffff, v3
	s_and_saveexec_b32 s0, vcc_lo
	s_cbranch_execz .LBB10_33
; %bb.24:
	s_trap 2
	ds_load_b64 v[6:7], v0
	s_wait_dscnt 0x0
	v_readfirstlane_b32 s2, v6
	v_readfirstlane_b32 s3, v7
	flat_load_b64 v[6:7], v2, s[2:3] scale_offset
	s_wait_loadcnt_dscnt 0x0
	v_mad_nc_u64_u32 v[22:23], 0xa8, v3, v[6:7]
	flat_load_b32 v6, v[22:23] offset:640
	s_wait_loadcnt_dscnt 0x0
	v_cmp_eq_u32_e32 vcc_lo, 1, v6
                                        ; implicit-def: $vgpr6_vgpr7
                                        ; kill: killed $vgpr6_vgpr7
	s_wait_xcnt 0x0
	s_and_saveexec_b32 s2, vcc_lo
	s_cbranch_execz .LBB10_26
; %bb.25:
	flat_load_b64 v[8:9], v[22:23] offset:648
	v_or_b32_e32 v30, 0x2000, v30
	s_wait_loadcnt_dscnt 0x0
	flat_load_b64 v[6:7], v[8:9]
	s_trap 2
	scratch_store_b64 off, v[8:9], s33 offset:188 ; 8-byte Folded Spill
	s_wait_loadcnt_dscnt 0x0
	ds_store_b64 v0, v[6:7]
	flat_load_b64 v[6:7], v[8:9] offset:8
	s_wait_loadcnt_dscnt 0x0
	ds_store_b64 v0, v[6:7]
	flat_load_b64 v[6:7], v[8:9] offset:16
	s_wait_loadcnt_dscnt 0x0
	ds_store_b64 v0, v[6:7]
.LBB10_26:
	s_wait_xcnt 0x0
	s_or_b32 exec_lo, exec_lo, s2
	flat_load_b64 v[8:9], v[22:23] offset:608
	v_and_b32_e32 v6, 32, v30
	s_mov_b32 s2, exec_lo
                                        ; implicit-def: $vgpr32_vgpr33
	s_wait_xcnt 0x0
	s_delay_alu instid0(VALU_DEP_1)
	v_cmpx_ne_u32_e32 0, v6
	s_cbranch_execz .LBB10_28
; %bb.27:
	flat_load_b64 v[32:33], v[22:23] offset:560
	global_wb scope:SCOPE_SYS
	s_wait_storecnt 0x0
	s_wait_xcnt 0x0
	s_wait_loadcnt_dscnt 0x0
	flat_store_b64 v[32:33], v[8:9] scope:SCOPE_SYS
.LBB10_28:
	s_wait_xcnt 0x0
	s_or_b32 exec_lo, exec_lo, s2
	v_add_nc_u64_e32 v[28:29], 0x1f8, v[22:23]
	v_mov_b64_e32 v[6:7], 0
	v_and_b32_e32 v17, 4, v30
	s_mov_b32 s2, exec_lo
                                        ; implicit-def: $vgpr34
                                        ; implicit-def: $vgpr48_vgpr49
                                        ; implicit-def: $vgpr36_vgpr37
	s_delay_alu instid0(VALU_DEP_1)
	v_cmpx_ne_u32_e32 0, v17
	s_cbranch_execz .LBB10_32
; %bb.29:
	v_and_b32_e32 v6, 0x800, v30
	s_mov_b32 s3, exec_lo
	s_delay_alu instid0(VALU_DEP_1)
	v_cmpx_eq_u32_e32 0, v6
	s_cbranch_execz .LBB10_31
; %bb.30:
	s_trap 2
	ds_store_b64 v0, v[28:29]
.LBB10_31:
	s_or_b32 exec_lo, exec_lo, s3
	flat_load_b64 v[32:33], v[22:23] offset:552
	s_wait_loadcnt_dscnt 0x0
	flat_load_b64 v[48:49], v[32:33] scope:SCOPE_SYS
	s_clause 0x2
	flat_load_b32 v17, v[22:23] offset:576
	flat_load_b64 v[6:7], v[22:23] offset:600
	flat_load_b64 v[36:37], v[22:23] offset:520
	s_wait_xcnt 0x0
	v_or_b32_e32 v22, 0x100, v30
	s_wait_loadcnt_dscnt 0x101
	v_cmp_eq_u64_e32 vcc_lo, 0, v[6:7]
	s_delay_alu instid0(VALU_DEP_2)
	v_dual_ashrrev_i32 v34, 1, v17 :: v_dual_cndmask_b32 v30, v22, v30, vcc_lo
.LBB10_32:
	s_or_b32 exec_lo, exec_lo, s2
.LBB10_33:
	s_delay_alu instid0(SALU_CYCLE_1) | instskip(NEXT) | instid1(VALU_DEP_1)
	s_or_b32 exec_lo, exec_lo, s0
	v_and_b32_e32 v17, 24, v30
	s_mov_b32 s0, exec_lo
                                        ; implicit-def: $vgpr52_vgpr53
	s_delay_alu instid0(VALU_DEP_1)
	v_cmpx_ne_u32_e32 0, v17
	s_cbranch_execz .LBB10_41
; %bb.34:
	s_trap 2
	ds_load_b64 v[6:7], v0
                                        ; implicit-def: $vgpr52_vgpr53
	s_wait_dscnt 0x0
	v_readfirstlane_b32 s2, v6
	v_readfirstlane_b32 s3, v7
	flat_load_b64 v[6:7], v2, s[2:3] scale_offset
	s_wait_xcnt 0x0
	v_or_b32_e32 v2, 0x100, v30
	s_mov_b32 s2, exec_lo
	s_wait_loadcnt_dscnt 0x0
	v_mad_nc_u64_u32 v[28:29], 0xa8, v3, v[6:7]
	flat_load_b128 v[6:9], v[28:29] offset:96
	s_wait_loadcnt_dscnt 0x0
	v_cmp_eq_u64_e32 vcc_lo, 0, v[6:7]
	v_cndmask_b32_e32 v30, v2, v30, vcc_lo
	s_delay_alu instid0(VALU_DEP_1) | instskip(SKIP_1) | instid1(VALU_DEP_1)
	v_and_b32_e32 v2, 16, v30
	s_wait_xcnt 0x0
	v_cmpx_ne_u32_e32 0, v2
	s_cbranch_execz .LBB10_36
; %bb.35:
	s_clause 0x2
	flat_load_b64 v[32:33], v[28:29] offset:48
	flat_load_b64 v[52:53], v[28:29] offset:120
	;; [unrolled: 1-line block ×3, first 2 shown]
.LBB10_36:
	s_wait_xcnt 0x0
	s_or_b32 exec_lo, exec_lo, s2
	v_and_b32_e32 v2, 8, v30
	s_mov_b32 s2, exec_lo
	s_delay_alu instid0(VALU_DEP_1)
	v_cmpx_ne_u32_e32 0, v2
	s_cbranch_execz .LBB10_40
; %bb.37:
	v_and_b32_e32 v2, 0x800, v30
	s_mov_b32 s3, exec_lo
	s_delay_alu instid0(VALU_DEP_1)
	v_cmpx_eq_u32_e32 0, v2
	s_cbranch_execz .LBB10_39
; %bb.38:
	s_trap 2
	ds_store_b64 v0, v[28:29]
.LBB10_39:
	s_or_b32 exec_lo, exec_lo, s3
	s_wait_loadcnt_dscnt 0x202
	flat_load_b64 v[32:33], v[28:29] offset:56
	s_wait_loadcnt_dscnt 0x0
	flat_load_b64 v[48:49], v[32:33] scope:SCOPE_SYS
	s_clause 0x1
	flat_load_b32 v2, v[28:29] offset:72
	flat_load_b64 v[36:37], v[28:29] offset:16
	s_wait_loadcnt_dscnt 0x101
	v_ashrrev_i32_e32 v34, 1, v2
.LBB10_40:
	s_wait_xcnt 0x0
	s_or_b32 exec_lo, exec_lo, s2
.LBB10_41:
	s_delay_alu instid0(SALU_CYCLE_1)
	s_or_b32 exec_lo, exec_lo, s0
	v_cmp_eq_u32_e64 s0, 0, v0
	s_and_saveexec_b32 s2, s0
	s_cbranch_execz .LBB10_43
; %bb.42:
	s_wait_loadcnt_dscnt 0x200
	v_dual_mov_b32 v2, v12 :: v_dual_mov_b32 v3, v13
	v_mov_b64_e32 v[12:13], 0
	ds_store_2addr_b64 v0, v[2:3], v[10:11] offset1:1
	s_trap 2
	ds_store_b64 v0, v[12:13]
	s_wait_loadcnt 0x1
	ds_store_b64 v0, v[20:21]
.LBB10_43:
	s_or_b32 exec_lo, exec_lo, s2
	s_ashr_i32 s2, s1, 31
	v_and_b32_e32 v50, 0x1fffff00, v18
	s_lshr_b32 s2, s2, 29
	s_wait_dscnt 0x0
	v_bfe_u32 v2, v16, 1, 30
	v_mov_b32_e32 v51, 0
	s_wait_loadcnt 0x0
	v_and_b32_e32 v10, 0xffff, v15
	s_add_co_i32 s1, s1, s2
                                        ; implicit-def: $vgpr38_vgpr39
	s_delay_alu instid0(SALU_CYCLE_1)
	s_ashr_i32 s10, s1, 4
	s_mov_b32 s1, exec_lo
	v_cmpx_ne_u32_e64 v24, v2
	s_xor_b32 s12, exec_lo, s1
	s_cbranch_execz .LBB10_1305
; %bb.44:
                                        ; implicit-def: $vgpr38_vgpr39
	s_mov_b32 s1, exec_lo
	v_cmpx_ne_u32_e64 v14, v2
	s_xor_b32 s13, exec_lo, s1
	s_cbranch_execz .LBB10_680
; %bb.45:
	v_mov_b64_e32 v[38:39], 0
	s_mov_b32 s14, exec_lo
	v_cmpx_ne_u64_e32 0, v[4:5]
	s_cbranch_execz .LBB10_679
; %bb.46:
	v_dual_ashrrev_i32 v35, 31, v34 :: v_dual_bitop2_b32 v2, 31, v31 bitop3:0x40
	v_dual_lshrrev_b32 v117, 5, v0 :: v_dual_mov_b32 v109, v10
	v_dual_mov_b32 v55, 0 :: v_dual_bitop2_b32 v118, 31, v0 bitop3:0x40
	s_delay_alu instid0(VALU_DEP_3) | instskip(NEXT) | instid1(VALU_DEP_3)
	v_cmp_eq_u32_e64 s4, 0, v2
	v_lshlrev_b32_e32 v2, 11, v117
	s_delay_alu instid0(VALU_DEP_3) | instskip(SKIP_2) | instid1(VALU_DEP_3)
	v_dual_mov_b32 v67, v55 :: v_dual_lshrrev_b32 v64, 5, v1
	v_mov_b32_e32 v65, v55
	s_lshr_b32 s2, s10, 27
	v_lshl_or_b32 v66, v118, 4, v2
	s_delay_alu instid0(VALU_DEP_3)
	v_dual_lshlrev_b32 v2, 1, v1 :: v_dual_lshlrev_b32 v70, 9, v64
	v_cmp_eq_u64_e64 s7, 0, v[52:53]
	s_add_co_i32 s2, s10, s2
	v_cmp_eq_u32_e32 vcc_lo, 32, v1
	v_mov_b64_e32 v[84:85], 0
	v_mov_b64_e32 v[86:87], 0
	;; [unrolled: 1-line block ×3, first 2 shown]
	v_cmp_ge_u32_e64 s1, v0, v1
	s_ashr_i32 s15, s2, 5
	v_cmp_ne_u32_e64 s2, 32, v1
	v_cmp_ne_u32_e64 s3, v1, v10
	v_cmp_le_u32_e64 s5, v118, v19
	v_cmp_lt_u32_e64 s6, v118, v19
	v_dual_mov_b32 v69, v55 :: v_dual_lshlrev_b32 v68, 11, v64
	v_dual_mov_b32 v71, v55 :: v_dual_lshlrev_b32 v80, 10, v64
	v_dual_mov_b32 v81, v55 :: v_dual_mov_b32 v83, v55
	v_and_b32_e32 v82, 0x3fc0, v2
	v_dual_mov_b32 v119, 1 :: v_dual_mov_b32 v40, 0x90
	s_mov_b32 s16, 0
	s_xor_b32 s17, vcc_lo, -1
	s_xor_b32 s18, s7, -1
	s_trap 2
	s_branch .LBB10_49
.LBB10_47:                              ;   in Loop: Header=BB10_49 Depth=1
	s_wait_xcnt 0x0
	s_or_b32 exec_lo, exec_lo, s7
.LBB10_48:                              ;   in Loop: Header=BB10_49 Depth=1
	s_delay_alu instid0(SALU_CYCLE_1) | instskip(SKIP_1) | instid1(VALU_DEP_1)
	s_or_b32 exec_lo, exec_lo, s20
	v_add_nc_u64_e32 v[86:87], v[86:87], v[50:51]
	v_cmp_ge_u64_e32 vcc_lo, v[86:87], v[4:5]
	s_or_b32 s16, vcc_lo, s16
	s_delay_alu instid0(SALU_CYCLE_1)
	s_and_not1_b32 exec_lo, exec_lo, s16
	s_cbranch_execz .LBB10_678
.LBB10_49:                              ; =>This Loop Header: Depth=1
                                        ;     Child Loop BB10_58 Depth 2
                                        ;     Child Loop BB10_86 Depth 2
                                        ;     Child Loop BB10_105 Depth 2
                                        ;     Child Loop BB10_128 Depth 2
                                        ;     Child Loop BB10_389 Depth 2
                                        ;     Child Loop BB10_459 Depth 2
                                        ;     Child Loop BB10_592 Depth 2
                                        ;     Child Loop BB10_608 Depth 2
                                        ;     Child Loop BB10_633 Depth 2
                                        ;     Child Loop BB10_661 Depth 2
	v_sub_nc_u64_e32 v[2:3], v[4:5], v[86:87]
	s_delay_alu instid0(VALU_DEP_1) | instskip(NEXT) | instid1(VALU_DEP_1)
	v_min_u64 v[96:97], v[50:51], v[2:3]
	v_add_nc_u32_e32 v2, 15, v96
	s_delay_alu instid0(VALU_DEP_2) | instskip(NEXT) | instid1(VALU_DEP_2)
	v_cmp_eq_u64_e32 vcc_lo, 0, v[96:97]
	v_and_b32_e32 v2, 0x3ffffff0, v2
	s_or_b32 s19, s1, vcc_lo
	s_delay_alu instid0(SALU_CYCLE_1) | instskip(NEXT) | instid1(VALU_DEP_1)
	s_xor_b32 s7, s19, -1
	v_dual_mov_b32 v2, 0 :: v_dual_max_i32 v97, s15, v2
	s_and_saveexec_b32 s20, s7
	s_cbranch_execz .LBB10_626
; %bb.50:                               ;   in Loop: Header=BB10_49 Depth=1
	s_and_saveexec_b32 s7, s0
	s_cbranch_execz .LBB10_52
; %bb.51:                               ;   in Loop: Header=BB10_49 Depth=1
	s_trap 2
	ds_load_b64 v[2:3], v0
	s_wait_dscnt 0x0
	v_lshl_add_u64 v[2:3], v[26:27], 1, v[2:3]
	s_delay_alu instid0(VALU_DEP_1)
	v_lshl_add_u64 v[2:3], v[86:87], 1, v[2:3]
	ds_store_b64 v0, v[2:3]
	ds_store_b64 v0, v[84:85]
.LBB10_52:                              ;   in Loop: Header=BB10_49 Depth=1
	s_or_b32 exec_lo, exec_lo, s7
	v_and_b32_e32 v2, 12, v30
	v_min_u32_e32 v97, v97, v96
	s_mov_b32 s21, exec_lo
	s_delay_alu instid0(VALU_DEP_2)
	v_cmpx_ne_u32_e32 0, v2
	s_cbranch_execz .LBB10_78
; %bb.53:                               ;   in Loop: Header=BB10_49 Depth=1
	v_and_b32_e32 v54, 8, v30
	v_add_nc_u64_e32 v[10:11], 1, v[8:9]
	s_mov_b32 s22, exec_lo
	s_wait_loadcnt 0x0
	s_delay_alu instid0(VALU_DEP_2) | instskip(NEXT) | instid1(VALU_DEP_1)
	v_add_nc_u64_e32 v[2:3], v[48:49], v[54:55]
	v_cmpx_lt_u64_e64 v[2:3], v[10:11]
	s_cbranch_execz .LBB10_65
; %bb.54:                               ;   in Loop: Header=BB10_49 Depth=1
	v_and_b32_e32 v2, 64, v30
	s_mov_b32 s23, 0
	s_mov_b32 s27, 0
                                        ; implicit-def: $sgpr24
                                        ; implicit-def: $sgpr25
                                        ; implicit-def: $sgpr26
	s_delay_alu instid0(VALU_DEP_1)
	v_cmp_eq_u32_e32 vcc_lo, 0, v2
	s_branch .LBB10_58
.LBB10_55:                              ;   in Loop: Header=BB10_58 Depth=2
	s_wait_loadcnt_dscnt 0x0
	v_add_nc_u64_e32 v[12:13], v[48:49], v[54:55]
	s_or_b32 s40, s40, exec_lo
	s_delay_alu instid0(VALU_DEP_1)
	v_cmp_ge_u64_e64 s7, v[12:13], v[10:11]
	s_or_not1_b32 s29, s7, exec_lo
.LBB10_56:                              ;   in Loop: Header=BB10_58 Depth=2
	s_or_b32 exec_lo, exec_lo, s42
	s_delay_alu instid0(SALU_CYCLE_1)
	s_and_not1_b32 s7, s26, exec_lo
	s_and_b32 s26, s40, exec_lo
	s_and_not1_b32 s25, s25, exec_lo
	s_and_b32 s29, s29, exec_lo
	s_or_b32 s26, s7, s26
	s_or_b32 s25, s25, s29
.LBB10_57:                              ;   in Loop: Header=BB10_58 Depth=2
	s_or_b32 exec_lo, exec_lo, s28
	s_delay_alu instid0(SALU_CYCLE_1) | instskip(NEXT) | instid1(SALU_CYCLE_1)
	s_and_b32 s7, exec_lo, s25
	s_or_b32 s23, s7, s23
	s_and_not1_b32 s7, s24, exec_lo
	s_and_b32 s24, s26, exec_lo
	s_delay_alu instid0(SALU_CYCLE_1)
	s_or_b32 s24, s7, s24
	s_and_not1_b32 exec_lo, exec_lo, s23
	s_cbranch_execz .LBB10_62
.LBB10_58:                              ;   Parent Loop BB10_49 Depth=1
                                        ; =>  This Inner Loop Header: Depth=2
	s_sleep 1
	s_wait_loadcnt_dscnt 0x0
	flat_load_b64 v[48:49], v[32:33] scope:SCOPE_SYS
	s_or_b32 s26, s26, exec_lo
	s_or_b32 s25, s25, exec_lo
                                        ; implicit-def: $vgpr2
	s_wait_xcnt 0x0
	s_and_saveexec_b32 s28, vcc_lo
	s_cbranch_execz .LBB10_57
; %bb.59:                               ;   in Loop: Header=BB10_58 Depth=2
	s_cmp_lt_i32 s27, 0x270f
	s_mov_b32 s29, -1
	s_cselect_b32 s41, -1, 0
	s_cmp_gt_i32 s27, 0x270e
	s_cbranch_scc0 .LBB10_61
; %bb.60:                               ;   in Loop: Header=BB10_58 Depth=2
	s_trap 2
	ds_load_b64 v[2:3], v0
	s_and_not1_b32 s27, s41, exec_lo
	s_mov_b32 s40, 0
	s_wait_storecnt 0x0
	s_wait_loadcnt_dscnt 0x0
	flat_load_b32 v2, v[2:3] scope:SCOPE_SYS
	s_wait_loadcnt_dscnt 0x0
	global_inv scope:SCOPE_SYS
	v_cmp_eq_u32_e64 s7, 0, v2
	s_and_b32 s7, s7, exec_lo
	s_delay_alu instid0(SALU_CYCLE_1)
	s_or_b32 s41, s27, s7
	s_mov_b32 s27, 0
	s_and_saveexec_b32 s42, s41
	s_cbranch_execz .LBB10_56
	s_branch .LBB10_55
.LBB10_61:                              ;   in Loop: Header=BB10_58 Depth=2
	s_add_co_i32 s27, s27, 1
	s_mov_b32 s40, -1
                                        ; implicit-def: $vgpr2
	s_and_saveexec_b32 s42, s41
	s_cbranch_execz .LBB10_56
	s_branch .LBB10_55
.LBB10_62:                              ;   in Loop: Header=BB10_49 Depth=1
	s_or_b32 exec_lo, exec_lo, s23
	s_xor_b32 s7, s24, -1
	s_delay_alu instid0(SALU_CYCLE_1) | instskip(NEXT) | instid1(SALU_CYCLE_1)
	s_and_saveexec_b32 s23, s7
	s_xor_b32 s7, exec_lo, s23
	s_cbranch_execz .LBB10_64
; %bb.63:                               ;   in Loop: Header=BB10_49 Depth=1
	v_or_b32_e32 v30, 64, v30
	s_wait_storecnt 0x0
	s_wait_loadcnt_dscnt 0x0
	ds_store_b32 v0, v2
	s_trap 2
.LBB10_64:                              ;   in Loop: Header=BB10_49 Depth=1
	s_or_b32 exec_lo, exec_lo, s7
.LBB10_65:                              ;   in Loop: Header=BB10_49 Depth=1
	s_delay_alu instid0(SALU_CYCLE_1) | instskip(SKIP_4) | instid1(VALU_DEP_2)
	s_or_b32 exec_lo, exec_lo, s22
	v_and_b32_e32 v2, 0x108, v30
	v_and_b32_e32 v8, 7, v8
	s_mov_b32 s7, exec_lo
	;;#ASMSTART
	s_wakeup
	;;#ASMEND
	v_cmpx_ne_u32_e32 0x108, v2
	s_xor_b32 s7, exec_lo, s7
; %bb.66:                               ;   in Loop: Header=BB10_49 Depth=1
	v_mov_b32_e32 v9, v55
; %bb.67:                               ;   in Loop: Header=BB10_49 Depth=1
	s_and_not1_saveexec_b32 s7, s7
	s_cbranch_execz .LBB10_69
; %bb.68:                               ;   in Loop: Header=BB10_49 Depth=1
	v_mad_nc_u64_u32 v[2:3], v8, 24, v[6:7]
	v_dual_mov_b32 v13, v55 :: v_dual_lshlrev_b32 v12, 1, v97
	v_mov_b32_e32 v9, v55
	flat_store_b64 v[2:3], v[12:13] offset:8
.LBB10_69:                              ;   in Loop: Header=BB10_49 Depth=1
	s_wait_xcnt 0x0
	s_or_b32 exec_lo, exec_lo, s7
	v_and_b32_e32 v2, 0x100, v30
	s_mov_b32 s7, -1
	s_mov_b32 s22, exec_lo
                                        ; implicit-def: $vgpr12_vgpr13
	s_delay_alu instid0(VALU_DEP_1)
	v_cmpx_ne_u32_e32 0, v2
	s_cbranch_execz .LBB10_73
; %bb.70:                               ;   in Loop: Header=BB10_49 Depth=1
	v_mad_nc_u64_u32 v[14:15], v8, 24, v[6:7]
	s_mov_b32 s23, exec_lo
                                        ; implicit-def: $vgpr12_vgpr13
	s_delay_alu instid0(VALU_DEP_1)
	v_mad_u32 v15, v9, 24, v15
	flat_load_b32 v2, v[14:15]
	s_wait_loadcnt_dscnt 0x0
	v_cmp_ne_u32_e32 vcc_lo, 1, v2
	s_wait_xcnt 0x0
	v_cmpx_eq_u32_e32 1, v2
	s_cbranch_execz .LBB10_72
; %bb.71:                               ;   in Loop: Header=BB10_49 Depth=1
	flat_load_b32 v2, v[14:15] offset:4 scope:SCOPE_SYS
	s_wait_loadcnt_dscnt 0x0
	v_ashrrev_i32_e32 v3, 31, v2
	s_delay_alu instid0(VALU_DEP_1)
	v_lshrrev_b64 v[12:13], 1, v[2:3]
.LBB10_72:                              ;   in Loop: Header=BB10_49 Depth=1
	s_wait_xcnt 0x0
	s_or_b32 exec_lo, exec_lo, s23
	s_delay_alu instid0(SALU_CYCLE_1)
	s_or_not1_b32 s7, vcc_lo, exec_lo
.LBB10_73:                              ;   in Loop: Header=BB10_49 Depth=1
	s_or_b32 exec_lo, exec_lo, s22
	s_and_saveexec_b32 s22, s7
; %bb.74:                               ;   in Loop: Header=BB10_49 Depth=1
	v_mul_u64_e32 v[12:13], v[8:9], v[34:35]
; %bb.75:                               ;   in Loop: Header=BB10_49 Depth=1
	s_or_b32 exec_lo, exec_lo, s22
	v_cmp_eq_u32_e32 vcc_lo, 0, v54
	v_and_b32_e32 v9, 0x2000, v30
	s_delay_alu instid0(VALU_DEP_3) | instskip(SKIP_2) | instid1(VALU_DEP_1)
	v_lshl_add_u64 v[2:3], v[12:13], 1, v[36:37]
	s_mov_b32 s7, exec_lo
	v_cndmask_b32_e32 v8, 0xc8, v40, vcc_lo
	v_add_nc_u32_e32 v8, v0, v8
	ds_store_b64 v8, v[2:3] offset:584
	v_cmpx_ne_u32_e32 0, v9
	s_cbranch_execz .LBB10_77
; %bb.76:                               ;   in Loop: Header=BB10_49 Depth=1
	ds_load_b64 v[2:3], v0 offset:872
	s_wait_dscnt 0x0
	v_add_nc_u64_e32 v[2:3], 1, v[2:3]
	ds_store_b64 v0, v[2:3] offset:872
.LBB10_77:                              ;   in Loop: Header=BB10_49 Depth=1
	s_or_b32 exec_lo, exec_lo, s7
	v_mov_b64_e32 v[8:9], v[10:11]
.LBB10_78:                              ;   in Loop: Header=BB10_49 Depth=1
	s_or_b32 exec_lo, exec_lo, s21
	s_and_saveexec_b32 s7, s2
	s_cbranch_execz .LBB10_97
; %bb.79:                               ;   in Loop: Header=BB10_49 Depth=1
	s_and_saveexec_b32 s21, s3
	s_delay_alu instid0(SALU_CYCLE_1)
	s_xor_b32 s21, exec_lo, s21
	s_cbranch_execz .LBB10_94
; %bb.80:                               ;   in Loop: Header=BB10_49 Depth=1
	s_and_saveexec_b32 s22, s4
	s_cbranch_execz .LBB10_93
; %bb.81:                               ;   in Loop: Header=BB10_49 Depth=1
	s_mov_b32 s24, exec_lo
	s_mov_b32 s23, exec_lo
	v_mbcnt_lo_u32_b32 v2, s24, 0
	global_wb scope:SCOPE_DEV
	s_wait_storecnt 0x0
	s_wait_loadcnt_dscnt 0x0
	global_inv scope:SCOPE_DEV
	v_cmpx_eq_u32_e32 0, v2
	s_cbranch_execz .LBB10_83
; %bb.82:                               ;   in Loop: Header=BB10_49 Depth=1
	s_bcnt1_i32_b32 s24, s24
	s_delay_alu instid0(SALU_CYCLE_1)
	v_mov_b32_e32 v54, s24
	s_wait_loadcnt 0x0
	ds_add_u64 v0, v[54:55]
	s_trap 2
.LBB10_83:                              ;   in Loop: Header=BB10_49 Depth=1
	s_or_b32 exec_lo, exec_lo, s23
	s_trap 2
	ds_load_b64 v[2:3], v0
	s_wait_dscnt 0x0
	v_add_nc_u64_e32 v[38:39], v[38:39], v[64:65]
	s_mov_b32 s23, exec_lo
	s_delay_alu instid0(VALU_DEP_1)
	v_cmpx_lt_u64_e64 v[2:3], v[38:39]
	s_cbranch_execz .LBB10_92
; %bb.84:                               ;   in Loop: Header=BB10_49 Depth=1
	s_mov_b32 s24, 0
	s_mov_b32 s27, 0
                                        ; implicit-def: $sgpr25
                                        ; implicit-def: $sgpr26
	s_branch .LBB10_86
.LBB10_85:                              ;   in Loop: Header=BB10_86 Depth=2
	s_or_b32 exec_lo, exec_lo, s29
	s_delay_alu instid0(SALU_CYCLE_1) | instskip(NEXT) | instid1(SALU_CYCLE_1)
	s_and_b32 s28, exec_lo, s40
	s_or_b32 s24, s28, s24
	s_and_not1_b32 s25, s25, exec_lo
	s_and_b32 s28, s26, exec_lo
	s_delay_alu instid0(SALU_CYCLE_1)
	s_or_b32 s25, s25, s28
	s_and_not1_b32 exec_lo, exec_lo, s24
	s_cbranch_execz .LBB10_90
.LBB10_86:                              ;   Parent Loop BB10_49 Depth=1
                                        ; =>  This Inner Loop Header: Depth=2
	s_add_co_i32 s27, s27, 1
	s_delay_alu instid0(SALU_CYCLE_1) | instskip(SKIP_1) | instid1(SALU_CYCLE_1)
	s_cmp_lg_u32 s27, 0x2710
	s_cselect_b32 s28, -1, 0
	s_and_b32 vcc_lo, exec_lo, s28
	s_cbranch_vccz .LBB10_88
; %bb.87:                               ;   in Loop: Header=BB10_86 Depth=2
	s_mov_b32 s40, -1
	s_or_b32 s26, s26, exec_lo
	s_and_saveexec_b32 s29, s28
	s_cbranch_execz .LBB10_85
	s_branch .LBB10_89
.LBB10_88:                              ;   in Loop: Header=BB10_86 Depth=2
	s_trap 2
	ds_load_b64 v[2:3], v0
	s_and_not1_b32 s28, s28, exec_lo
	s_mov_b32 s27, 0
	s_wait_loadcnt_dscnt 0x0
	flat_load_b32 v2, v[2:3] scope:SCOPE_SYS
	s_wait_loadcnt_dscnt 0x0
	global_inv scope:SCOPE_SYS
	v_cmp_eq_u32_e32 vcc_lo, 0, v2
	s_and_b32 s29, vcc_lo, exec_lo
	s_delay_alu instid0(SALU_CYCLE_1)
	s_or_b32 s28, s28, s29
	s_mov_b32 s40, -1
	s_or_b32 s26, s26, exec_lo
	s_and_saveexec_b32 s29, s28
	s_cbranch_execz .LBB10_85
.LBB10_89:                              ;   in Loop: Header=BB10_86 Depth=2
	s_sleep 1
	s_trap 2
	ds_load_b64 v[2:3], v0
	s_wait_dscnt 0x0
	s_and_not1_b32 s26, s26, exec_lo
	v_cmp_ge_u64_e32 vcc_lo, v[2:3], v[38:39]
	s_or_not1_b32 s40, vcc_lo, exec_lo
	s_branch .LBB10_85
.LBB10_90:                              ;   in Loop: Header=BB10_49 Depth=1
	s_or_b32 exec_lo, exec_lo, s24
	s_and_saveexec_b32 s24, s25
	s_delay_alu instid0(SALU_CYCLE_1)
	s_xor_b32 s24, exec_lo, s24
	s_cbranch_execz .LBB10_92
; %bb.91:                               ;   in Loop: Header=BB10_49 Depth=1
	ds_store_b32 v0, v119
	s_trap 2
.LBB10_92:                              ;   in Loop: Header=BB10_49 Depth=1
	s_or_b32 exec_lo, exec_lo, s23
	;;#ASMSTART
	s_wakeup
	;;#ASMEND
.LBB10_93:                              ;   in Loop: Header=BB10_49 Depth=1
	s_or_b32 exec_lo, exec_lo, s22
.LBB10_94:                              ;   in Loop: Header=BB10_49 Depth=1
	s_and_not1_saveexec_b32 s21, s21
	s_cbranch_execz .LBB10_96
; %bb.95:                               ;   in Loop: Header=BB10_49 Depth=1
	global_wb scope:SCOPE_DEV
	s_wait_storecnt 0x0
	s_wait_loadcnt_dscnt 0x0
	global_inv scope:SCOPE_DEV
	s_barrier_signal -1
	s_barrier_wait -1
.LBB10_96:                              ;   in Loop: Header=BB10_49 Depth=1
	s_or_b32 exec_lo, exec_lo, s21
.LBB10_97:                              ;   in Loop: Header=BB10_49 Depth=1
	s_delay_alu instid0(SALU_CYCLE_1) | instskip(SKIP_3) | instid1(VALU_DEP_1)
	s_or_b32 exec_lo, exec_lo, s7
	s_trap 2
	ds_load_b32 v2, v0
	v_and_b32_e32 v3, 0x4000, v30
	v_cmp_ne_u32_e32 vcc_lo, 0, v3
	s_and_b32 s21, s17, vcc_lo
	s_delay_alu instid0(SALU_CYCLE_1)
	s_and_saveexec_b32 s7, s21
	s_cbranch_execz .LBB10_116
; %bb.98:                               ;   in Loop: Header=BB10_49 Depth=1
	s_and_saveexec_b32 s21, s3
	s_delay_alu instid0(SALU_CYCLE_1)
	s_xor_b32 s21, exec_lo, s21
	s_cbranch_execz .LBB10_113
; %bb.99:                               ;   in Loop: Header=BB10_49 Depth=1
	s_and_saveexec_b32 s22, s4
	s_cbranch_execz .LBB10_112
; %bb.100:                              ;   in Loop: Header=BB10_49 Depth=1
	s_mov_b32 s24, exec_lo
	s_mov_b32 s23, exec_lo
	v_mbcnt_lo_u32_b32 v3, s24, 0
	global_wb scope:SCOPE_DEV
	s_wait_storecnt 0x0
	s_wait_loadcnt_dscnt 0x0
	global_inv scope:SCOPE_DEV
	v_cmpx_eq_u32_e32 0, v3
	s_cbranch_execz .LBB10_102
; %bb.101:                              ;   in Loop: Header=BB10_49 Depth=1
	s_bcnt1_i32_b32 s24, s24
	s_delay_alu instid0(SALU_CYCLE_1)
	v_mov_b32_e32 v54, s24
	s_wait_loadcnt 0x0
	ds_add_u64 v0, v[54:55]
	s_trap 2
.LBB10_102:                             ;   in Loop: Header=BB10_49 Depth=1
	s_or_b32 exec_lo, exec_lo, s23
	s_trap 2
	ds_load_b64 v[10:11], v0
	s_wait_dscnt 0x0
	v_add_nc_u64_e32 v[38:39], v[38:39], v[64:65]
	s_mov_b32 s23, exec_lo
	s_delay_alu instid0(VALU_DEP_1)
	v_cmpx_lt_u64_e64 v[10:11], v[38:39]
	s_cbranch_execz .LBB10_111
; %bb.103:                              ;   in Loop: Header=BB10_49 Depth=1
	s_mov_b32 s24, 0
	s_mov_b32 s27, 0
                                        ; implicit-def: $sgpr25
                                        ; implicit-def: $sgpr26
	s_branch .LBB10_105
.LBB10_104:                             ;   in Loop: Header=BB10_105 Depth=2
	s_or_b32 exec_lo, exec_lo, s29
	s_delay_alu instid0(SALU_CYCLE_1) | instskip(NEXT) | instid1(SALU_CYCLE_1)
	s_and_b32 s28, exec_lo, s40
	s_or_b32 s24, s28, s24
	s_and_not1_b32 s25, s25, exec_lo
	s_and_b32 s28, s26, exec_lo
	s_delay_alu instid0(SALU_CYCLE_1)
	s_or_b32 s25, s25, s28
	s_and_not1_b32 exec_lo, exec_lo, s24
	s_cbranch_execz .LBB10_109
.LBB10_105:                             ;   Parent Loop BB10_49 Depth=1
                                        ; =>  This Inner Loop Header: Depth=2
	s_add_co_i32 s27, s27, 1
	s_delay_alu instid0(SALU_CYCLE_1) | instskip(SKIP_1) | instid1(SALU_CYCLE_1)
	s_cmp_lg_u32 s27, 0x2710
	s_cselect_b32 s28, -1, 0
	s_and_b32 vcc_lo, exec_lo, s28
	s_cbranch_vccz .LBB10_107
; %bb.106:                              ;   in Loop: Header=BB10_105 Depth=2
	s_mov_b32 s40, -1
	s_or_b32 s26, s26, exec_lo
	s_and_saveexec_b32 s29, s28
	s_cbranch_execz .LBB10_104
	s_branch .LBB10_108
.LBB10_107:                             ;   in Loop: Header=BB10_105 Depth=2
	s_trap 2
	ds_load_b64 v[10:11], v0
	s_and_not1_b32 s28, s28, exec_lo
	s_mov_b32 s27, 0
	s_wait_loadcnt_dscnt 0x0
	flat_load_b32 v3, v[10:11] scope:SCOPE_SYS
	s_wait_loadcnt_dscnt 0x0
	global_inv scope:SCOPE_SYS
	v_cmp_eq_u32_e32 vcc_lo, 0, v3
	s_and_b32 s29, vcc_lo, exec_lo
	s_delay_alu instid0(SALU_CYCLE_1)
	s_or_b32 s28, s28, s29
	s_mov_b32 s40, -1
	s_or_b32 s26, s26, exec_lo
	s_and_saveexec_b32 s29, s28
	s_cbranch_execz .LBB10_104
.LBB10_108:                             ;   in Loop: Header=BB10_105 Depth=2
	s_sleep 1
	s_trap 2
	ds_load_b64 v[10:11], v0
	s_wait_dscnt 0x0
	s_and_not1_b32 s26, s26, exec_lo
	v_cmp_ge_u64_e32 vcc_lo, v[10:11], v[38:39]
	s_or_not1_b32 s40, vcc_lo, exec_lo
	s_branch .LBB10_104
.LBB10_109:                             ;   in Loop: Header=BB10_49 Depth=1
	s_or_b32 exec_lo, exec_lo, s24
	s_and_saveexec_b32 s24, s25
	s_delay_alu instid0(SALU_CYCLE_1)
	s_xor_b32 s24, exec_lo, s24
	s_cbranch_execz .LBB10_111
; %bb.110:                              ;   in Loop: Header=BB10_49 Depth=1
	ds_store_b32 v0, v119
	s_trap 2
.LBB10_111:                             ;   in Loop: Header=BB10_49 Depth=1
	s_or_b32 exec_lo, exec_lo, s23
	;;#ASMSTART
	s_wakeup
	;;#ASMEND
.LBB10_112:                             ;   in Loop: Header=BB10_49 Depth=1
	s_or_b32 exec_lo, exec_lo, s22
.LBB10_113:                             ;   in Loop: Header=BB10_49 Depth=1
	s_and_not1_saveexec_b32 s21, s21
	s_cbranch_execz .LBB10_115
; %bb.114:                              ;   in Loop: Header=BB10_49 Depth=1
	global_wb scope:SCOPE_DEV
	s_wait_storecnt 0x0
	s_wait_loadcnt_dscnt 0x0
	global_inv scope:SCOPE_DEV
	s_barrier_signal -1
	s_barrier_wait -1
.LBB10_115:                             ;   in Loop: Header=BB10_49 Depth=1
	s_or_b32 exec_lo, exec_lo, s21
.LBB10_116:                             ;   in Loop: Header=BB10_49 Depth=1
	s_delay_alu instid0(SALU_CYCLE_1)
	s_or_b32 exec_lo, exec_lo, s7
	s_trap 2
	ds_load_b64 v[98:99], v0
	s_wait_dscnt 0x0
	v_cmp_eq_u64_e32 vcc_lo, 0, v[98:99]
	s_cbranch_vccnz .LBB10_124
; %bb.117:                              ;   in Loop: Header=BB10_49 Depth=1
	s_trap 2
	ds_load_b64 v[100:101], v0
	s_wait_dscnt 0x0
	v_cmp_eq_u64_e32 vcc_lo, 0, v[100:101]
	s_cbranch_vccnz .LBB10_124
; %bb.118:                              ;   in Loop: Header=BB10_49 Depth=1
	s_mov_b32 s7, -1
	s_and_saveexec_b32 s21, s5
	s_cbranch_execz .LBB10_120
; %bb.119:                              ;   in Loop: Header=BB10_49 Depth=1
	ds_load_b32 v3, v0 offset:720
	s_wait_dscnt 0x0
	v_and_b32_e32 v3, 15, v3
	s_delay_alu instid0(VALU_DEP_1)
	v_cmp_eq_u32_e32 vcc_lo, 0, v3
	s_or_not1_b32 s7, vcc_lo, exec_lo
.LBB10_120:                             ;   in Loop: Header=BB10_49 Depth=1
	s_or_b32 exec_lo, exec_lo, s21
	s_and_saveexec_b32 s21, s6
	s_cbranch_execz .LBB10_122
; %bb.121:                              ;   in Loop: Header=BB10_49 Depth=1
	ds_load_b32 v3, v0 offset:784
	s_wait_dscnt 0x0
	v_and_b32_e32 v3, 15, v3
	s_delay_alu instid0(VALU_DEP_1) | instskip(SKIP_3) | instid1(SALU_CYCLE_1)
	v_cmp_eq_u32_e32 vcc_lo, 0, v3
	s_and_b32 s22, s7, vcc_lo
	s_and_not1_b32 s7, s7, exec_lo
	s_and_b32 s22, s22, exec_lo
	s_or_b32 s7, s7, s22
.LBB10_122:                             ;   in Loop: Header=BB10_49 Depth=1
	s_or_b32 exec_lo, exec_lo, s21
	v_cmp_eq_u32_e32 vcc_lo, 0, v2
	s_xor_b32 s7, s7, -1
	s_mov_b32 s22, -1
	v_cndmask_b32_e64 v3, 0, 1, s7
	v_dual_mov_b32 v16, 0 :: v_dual_cndmask_b32 v54, 0, v97, vcc_lo
	s_delay_alu instid0(VALU_DEP_2) | instskip(NEXT) | instid1(VALU_DEP_2)
	v_cmp_ne_u32_e32 vcc_lo, 0, v3
	v_lshlrev_b32_e32 v41, 1, v54
	s_cbranch_vccz .LBB10_125
; %bb.123:                              ;   in Loop: Header=BB10_49 Depth=1
	v_mov_b32_e32 v17, v0
	s_and_saveexec_b32 s7, s22
	s_cbranch_execnz .LBB10_456
	s_branch .LBB10_600
.LBB10_124:                             ;   in Loop: Header=BB10_49 Depth=1
	s_mov_b32 s7, 0
	s_and_saveexec_b32 s21, s2
	s_cbranch_execnz .LBB10_601
	s_branch .LBB10_619
.LBB10_125:                             ;   in Loop: Header=BB10_49 Depth=1
	v_lshrrev_b32_e32 v43, 10, v54
	s_mov_b32 s7, exec_lo
	s_delay_alu instid0(VALU_DEP_1) | instskip(NEXT) | instid1(VALU_DEP_1)
	v_sub_nc_u32_e32 v42, v43, v117
	v_cmpx_lt_i32_e32 0, v42
	s_cbranch_execz .LBB10_385
; %bb.126:                              ;   in Loop: Header=BB10_49 Depth=1
	s_trap 2
	ds_load_b64 v[2:3], v0
	ds_load_b32 v10, v0
	v_add_nc_u64_e32 v[102:103], v[98:99], v[66:67]
	v_add_nc_u64_e32 v[114:115], v[100:101], v[66:67]
	s_mov_b32 s21, 0
	s_wait_dscnt 0x1
	v_add_nc_u64_e32 v[112:113], v[2:3], v[66:67]
	s_wait_dscnt 0x0
	v_lshlrev_b32_e32 v44, 16, v10
	s_branch .LBB10_128
.LBB10_127:                             ;   in Loop: Header=BB10_128 Depth=2
	s_or_b32 exec_lo, exec_lo, s22
	v_dual_lshrrev_b32 v46, 16, v75 :: v_dual_lshrrev_b32 v47, 16, v77
	v_dual_lshrrev_b32 v56, 16, v73 :: v_dual_lshrrev_b32 v57, 16, v63
	v_lshrrev_b32_e32 v58, 16, v91
	s_delay_alu instid0(VALU_DEP_3) | instskip(SKIP_1) | instid1(VALU_DEP_4)
	v_and_or_b32 v15, 0xffff0000, v15, v46
	v_lshrrev_b32_e32 v46, 16, v93
	v_and_or_b32 v16, 0xffff0000, v16, v56
	v_dual_lshrrev_b32 v56, 16, v107 :: v_dual_lshrrev_b32 v45, 16, v45
	v_and_or_b32 v14, 0xffff0000, v14, v47
	s_delay_alu instid0(VALU_DEP_4)
	v_and_or_b32 v18, 0xffff0000, v18, v46
	v_dual_lshrrev_b32 v46, 16, v89 :: v_dual_lshrrev_b32 v47, 16, v79
	v_and_or_b32 v17, 0xffff0000, v17, v57
	v_lshrrev_b32_e32 v57, 16, v105
	v_and_or_b32 v22, 0xffff0000, v22, v45
	v_lshrrev_b32_e32 v45, 16, v95
	v_and_or_b32 v20, 0xffff0000, v20, v46
	v_and_or_b32 v21, 0xffff0000, v21, v47
	v_dual_lshrrev_b32 v2, 16, v2 :: v_dual_lshrrev_b32 v46, 16, v61
	v_dual_lshrrev_b32 v47, 16, v11 :: v_dual_lshrrev_b32 v116, 16, v116
	v_and_or_b32 v23, 0xffff0000, v23, v56
	v_and_or_b32 v24, 0xffff0000, v24, v57
	;; [unrolled: 1-line block ×3, first 2 shown]
	v_sub_nc_u32_e32 v42, v42, v64
	v_and_or_b32 v19, 0xffff0000, v19, v58
	v_and_or_b32 v11, 0xffff0000, v3, v2
	v_and_or_b32 v10, 0xffff0000, v10, v46
	v_and_or_b32 v12, 0xffff0000, v12, v47
	v_and_or_b32 v13, 0xffff0000, v13, v116
	s_clause 0x3
	global_store_b128 v[114:115], v[22:25], off th:TH_STORE_NT
	global_store_b128 v[114:115], v[18:21], off offset:512 th:TH_STORE_NT
	global_store_b128 v[114:115], v[14:17], off offset:1024 th:TH_STORE_NT
	;; [unrolled: 1-line block ×3, first 2 shown]
	v_add_nc_u64_e32 v[102:103], v[102:103], v[68:69]
	v_add_nc_u64_e32 v[112:113], v[112:113], v[68:69]
	v_cmp_gt_i32_e32 vcc_lo, 1, v42
	s_wait_xcnt 0x0
	v_add_nc_u64_e32 v[114:115], v[114:115], v[68:69]
	s_or_b32 s21, vcc_lo, s21
	s_delay_alu instid0(SALU_CYCLE_1)
	s_and_not1_b32 exec_lo, exec_lo, s21
	s_cbranch_execz .LBB10_384
.LBB10_128:                             ;   Parent Loop BB10_49 Depth=1
                                        ; =>  This Inner Loop Header: Depth=2
	global_load_b128 v[10:13], v[102:103], off th:TH_LOAD_NT
	s_mov_b32 s22, exec_lo
                                        ; implicit-def: $vgpr45
	s_wait_loadcnt 0x0
	v_lshlrev_b32_e32 v2, 16, v10
	s_delay_alu instid0(VALU_DEP_1) | instskip(NEXT) | instid1(VALU_DEP_1)
	v_mul_f32_e32 v2, v44, v2
	v_and_b32_e32 v3, 0x7f800000, v2
	s_wait_xcnt 0x0
	s_delay_alu instid0(VALU_DEP_1)
	v_cmpx_ne_u32_e32 0x7f800000, v3
	s_xor_b32 s22, exec_lo, s22
; %bb.129:                              ;   in Loop: Header=BB10_128 Depth=2
	v_bfe_u32 v3, v2, 16, 1
	s_delay_alu instid0(VALU_DEP_1)
	v_add3_u32 v45, v2, v3, 0x7fff
                                        ; implicit-def: $vgpr2
; %bb.130:                              ;   in Loop: Header=BB10_128 Depth=2
	s_and_not1_saveexec_b32 s22, s22
; %bb.131:                              ;   in Loop: Header=BB10_128 Depth=2
	v_and_b32_e32 v3, 0xffff, v2
	v_or_b32_e32 v14, 0x10000, v2
	s_delay_alu instid0(VALU_DEP_2) | instskip(NEXT) | instid1(VALU_DEP_2)
	v_cmp_eq_u32_e32 vcc_lo, 0, v3
	v_cndmask_b32_e32 v45, v14, v2, vcc_lo
; %bb.132:                              ;   in Loop: Header=BB10_128 Depth=2
	s_or_b32 exec_lo, exec_lo, s22
	v_and_b32_e32 v2, 0xffff0000, v10
	s_mov_b32 s22, exec_lo
                                        ; implicit-def: $vgpr107
	s_delay_alu instid0(VALU_DEP_1) | instskip(NEXT) | instid1(VALU_DEP_1)
	v_mul_f32_e32 v2, v44, v2
	v_and_b32_e32 v3, 0x7f800000, v2
	s_delay_alu instid0(VALU_DEP_1)
	v_cmpx_ne_u32_e32 0x7f800000, v3
	s_xor_b32 s22, exec_lo, s22
; %bb.133:                              ;   in Loop: Header=BB10_128 Depth=2
	v_bfe_u32 v3, v2, 16, 1
	s_delay_alu instid0(VALU_DEP_1)
	v_add3_u32 v107, v2, v3, 0x7fff
                                        ; implicit-def: $vgpr2
; %bb.134:                              ;   in Loop: Header=BB10_128 Depth=2
	s_and_not1_saveexec_b32 s22, s22
; %bb.135:                              ;   in Loop: Header=BB10_128 Depth=2
	v_and_b32_e32 v3, 0xffff, v2
	v_or_b32_e32 v10, 0x10000, v2
	s_delay_alu instid0(VALU_DEP_2) | instskip(NEXT) | instid1(VALU_DEP_2)
	v_cmp_eq_u32_e32 vcc_lo, 0, v3
	v_cndmask_b32_e32 v107, v10, v2, vcc_lo
; %bb.136:                              ;   in Loop: Header=BB10_128 Depth=2
	s_or_b32 exec_lo, exec_lo, s22
	v_lshlrev_b32_e32 v2, 16, v11
	s_mov_b32 s22, exec_lo
                                        ; implicit-def: $vgpr108
	s_delay_alu instid0(VALU_DEP_1) | instskip(NEXT) | instid1(VALU_DEP_1)
	v_mul_f32_e32 v2, v44, v2
	v_and_b32_e32 v3, 0x7f800000, v2
	s_delay_alu instid0(VALU_DEP_1)
	v_cmpx_ne_u32_e32 0x7f800000, v3
	s_xor_b32 s22, exec_lo, s22
; %bb.137:                              ;   in Loop: Header=BB10_128 Depth=2
	v_bfe_u32 v3, v2, 16, 1
	s_delay_alu instid0(VALU_DEP_1)
	v_add3_u32 v108, v2, v3, 0x7fff
                                        ; implicit-def: $vgpr2
; %bb.138:                              ;   in Loop: Header=BB10_128 Depth=2
	s_and_not1_saveexec_b32 s22, s22
; %bb.139:                              ;   in Loop: Header=BB10_128 Depth=2
	v_and_b32_e32 v3, 0xffff, v2
	v_or_b32_e32 v10, 0x10000, v2
	s_delay_alu instid0(VALU_DEP_2) | instskip(NEXT) | instid1(VALU_DEP_2)
	v_cmp_eq_u32_e32 vcc_lo, 0, v3
	v_cndmask_b32_e32 v108, v10, v2, vcc_lo
; %bb.140:                              ;   in Loop: Header=BB10_128 Depth=2
	s_or_b32 exec_lo, exec_lo, s22
	v_and_b32_e32 v2, 0xffff0000, v11
	s_mov_b32 s22, exec_lo
                                        ; implicit-def: $vgpr105
	s_delay_alu instid0(VALU_DEP_1) | instskip(NEXT) | instid1(VALU_DEP_1)
	v_mul_f32_e32 v2, v44, v2
	v_and_b32_e32 v3, 0x7f800000, v2
	s_delay_alu instid0(VALU_DEP_1)
	v_cmpx_ne_u32_e32 0x7f800000, v3
	s_xor_b32 s22, exec_lo, s22
; %bb.141:                              ;   in Loop: Header=BB10_128 Depth=2
	v_bfe_u32 v3, v2, 16, 1
	s_delay_alu instid0(VALU_DEP_1)
	v_add3_u32 v105, v2, v3, 0x7fff
                                        ; implicit-def: $vgpr2
; %bb.142:                              ;   in Loop: Header=BB10_128 Depth=2
	s_and_not1_saveexec_b32 s22, s22
; %bb.143:                              ;   in Loop: Header=BB10_128 Depth=2
	v_and_b32_e32 v3, 0xffff, v2
	v_or_b32_e32 v10, 0x10000, v2
	s_delay_alu instid0(VALU_DEP_2) | instskip(NEXT) | instid1(VALU_DEP_2)
	v_cmp_eq_u32_e32 vcc_lo, 0, v3
	v_cndmask_b32_e32 v105, v10, v2, vcc_lo
; %bb.144:                              ;   in Loop: Header=BB10_128 Depth=2
	s_or_b32 exec_lo, exec_lo, s22
	v_lshlrev_b32_e32 v2, 16, v12
	s_mov_b32 s22, exec_lo
                                        ; implicit-def: $vgpr106
	s_delay_alu instid0(VALU_DEP_1) | instskip(NEXT) | instid1(VALU_DEP_1)
	v_mul_f32_e32 v2, v44, v2
	v_and_b32_e32 v3, 0x7f800000, v2
	s_delay_alu instid0(VALU_DEP_1)
	v_cmpx_ne_u32_e32 0x7f800000, v3
	s_xor_b32 s22, exec_lo, s22
; %bb.145:                              ;   in Loop: Header=BB10_128 Depth=2
	v_bfe_u32 v3, v2, 16, 1
	s_delay_alu instid0(VALU_DEP_1)
	v_add3_u32 v106, v2, v3, 0x7fff
                                        ; implicit-def: $vgpr2
; %bb.146:                              ;   in Loop: Header=BB10_128 Depth=2
	s_and_not1_saveexec_b32 s22, s22
; %bb.147:                              ;   in Loop: Header=BB10_128 Depth=2
	v_and_b32_e32 v3, 0xffff, v2
	v_or_b32_e32 v10, 0x10000, v2
	s_delay_alu instid0(VALU_DEP_2) | instskip(NEXT) | instid1(VALU_DEP_2)
	v_cmp_eq_u32_e32 vcc_lo, 0, v3
	v_cndmask_b32_e32 v106, v10, v2, vcc_lo
; %bb.148:                              ;   in Loop: Header=BB10_128 Depth=2
	s_or_b32 exec_lo, exec_lo, s22
	v_and_b32_e32 v2, 0xffff0000, v12
	s_mov_b32 s22, exec_lo
                                        ; implicit-def: $vgpr95
	s_delay_alu instid0(VALU_DEP_1) | instskip(NEXT) | instid1(VALU_DEP_1)
	v_mul_f32_e32 v2, v44, v2
	v_and_b32_e32 v3, 0x7f800000, v2
	s_delay_alu instid0(VALU_DEP_1)
	v_cmpx_ne_u32_e32 0x7f800000, v3
	s_xor_b32 s22, exec_lo, s22
; %bb.149:                              ;   in Loop: Header=BB10_128 Depth=2
	v_bfe_u32 v3, v2, 16, 1
	s_delay_alu instid0(VALU_DEP_1)
	v_add3_u32 v95, v2, v3, 0x7fff
                                        ; implicit-def: $vgpr2
; %bb.150:                              ;   in Loop: Header=BB10_128 Depth=2
	s_and_not1_saveexec_b32 s22, s22
; %bb.151:                              ;   in Loop: Header=BB10_128 Depth=2
	v_and_b32_e32 v3, 0xffff, v2
	v_or_b32_e32 v10, 0x10000, v2
	s_delay_alu instid0(VALU_DEP_2) | instskip(NEXT) | instid1(VALU_DEP_2)
	v_cmp_eq_u32_e32 vcc_lo, 0, v3
	v_cndmask_b32_e32 v95, v10, v2, vcc_lo
; %bb.152:                              ;   in Loop: Header=BB10_128 Depth=2
	s_or_b32 exec_lo, exec_lo, s22
	v_lshlrev_b32_e32 v2, 16, v13
	s_mov_b32 s22, exec_lo
                                        ; implicit-def: $vgpr104
	s_delay_alu instid0(VALU_DEP_1) | instskip(NEXT) | instid1(VALU_DEP_1)
	v_mul_f32_e32 v2, v44, v2
	v_and_b32_e32 v3, 0x7f800000, v2
	s_delay_alu instid0(VALU_DEP_1)
	v_cmpx_ne_u32_e32 0x7f800000, v3
	s_xor_b32 s22, exec_lo, s22
; %bb.153:                              ;   in Loop: Header=BB10_128 Depth=2
	v_bfe_u32 v3, v2, 16, 1
	s_delay_alu instid0(VALU_DEP_1)
	v_add3_u32 v104, v2, v3, 0x7fff
                                        ; implicit-def: $vgpr2
; %bb.154:                              ;   in Loop: Header=BB10_128 Depth=2
	s_and_not1_saveexec_b32 s22, s22
; %bb.155:                              ;   in Loop: Header=BB10_128 Depth=2
	v_and_b32_e32 v3, 0xffff, v2
	v_or_b32_e32 v10, 0x10000, v2
	s_delay_alu instid0(VALU_DEP_2) | instskip(NEXT) | instid1(VALU_DEP_2)
	v_cmp_eq_u32_e32 vcc_lo, 0, v3
	v_cndmask_b32_e32 v104, v10, v2, vcc_lo
; %bb.156:                              ;   in Loop: Header=BB10_128 Depth=2
	s_or_b32 exec_lo, exec_lo, s22
	v_and_b32_e32 v2, 0xffff0000, v13
	s_mov_b32 s22, exec_lo
                                        ; implicit-def: $vgpr93
	s_delay_alu instid0(VALU_DEP_1) | instskip(NEXT) | instid1(VALU_DEP_1)
	v_mul_f32_e32 v2, v44, v2
	v_and_b32_e32 v3, 0x7f800000, v2
	s_delay_alu instid0(VALU_DEP_1)
	v_cmpx_ne_u32_e32 0x7f800000, v3
	s_xor_b32 s22, exec_lo, s22
; %bb.157:                              ;   in Loop: Header=BB10_128 Depth=2
	v_bfe_u32 v3, v2, 16, 1
	s_delay_alu instid0(VALU_DEP_1)
	v_add3_u32 v93, v2, v3, 0x7fff
                                        ; implicit-def: $vgpr2
; %bb.158:                              ;   in Loop: Header=BB10_128 Depth=2
	s_and_not1_saveexec_b32 s22, s22
; %bb.159:                              ;   in Loop: Header=BB10_128 Depth=2
	v_and_b32_e32 v3, 0xffff, v2
	v_or_b32_e32 v10, 0x10000, v2
	s_delay_alu instid0(VALU_DEP_2) | instskip(NEXT) | instid1(VALU_DEP_2)
	v_cmp_eq_u32_e32 vcc_lo, 0, v3
	v_cndmask_b32_e32 v93, v10, v2, vcc_lo
; %bb.160:                              ;   in Loop: Header=BB10_128 Depth=2
	s_or_b32 exec_lo, exec_lo, s22
	global_load_b128 v[10:13], v[102:103], off offset:512 th:TH_LOAD_NT
	s_mov_b32 s22, exec_lo
                                        ; implicit-def: $vgpr94
	s_wait_loadcnt 0x0
	v_lshlrev_b32_e32 v2, 16, v10
	s_delay_alu instid0(VALU_DEP_1) | instskip(NEXT) | instid1(VALU_DEP_1)
	v_mul_f32_e32 v2, v44, v2
	v_and_b32_e32 v3, 0x7f800000, v2
	s_wait_xcnt 0x0
	s_delay_alu instid0(VALU_DEP_1)
	v_cmpx_ne_u32_e32 0x7f800000, v3
	s_xor_b32 s22, exec_lo, s22
; %bb.161:                              ;   in Loop: Header=BB10_128 Depth=2
	v_bfe_u32 v3, v2, 16, 1
	s_delay_alu instid0(VALU_DEP_1)
	v_add3_u32 v94, v2, v3, 0x7fff
                                        ; implicit-def: $vgpr2
; %bb.162:                              ;   in Loop: Header=BB10_128 Depth=2
	s_and_not1_saveexec_b32 s22, s22
; %bb.163:                              ;   in Loop: Header=BB10_128 Depth=2
	v_and_b32_e32 v3, 0xffff, v2
	v_or_b32_e32 v14, 0x10000, v2
	s_delay_alu instid0(VALU_DEP_2) | instskip(NEXT) | instid1(VALU_DEP_2)
	v_cmp_eq_u32_e32 vcc_lo, 0, v3
	v_cndmask_b32_e32 v94, v14, v2, vcc_lo
; %bb.164:                              ;   in Loop: Header=BB10_128 Depth=2
	s_or_b32 exec_lo, exec_lo, s22
	v_and_b32_e32 v2, 0xffff0000, v10
	s_mov_b32 s22, exec_lo
                                        ; implicit-def: $vgpr91
	s_delay_alu instid0(VALU_DEP_1) | instskip(NEXT) | instid1(VALU_DEP_1)
	v_mul_f32_e32 v2, v44, v2
	v_and_b32_e32 v3, 0x7f800000, v2
	s_delay_alu instid0(VALU_DEP_1)
	v_cmpx_ne_u32_e32 0x7f800000, v3
	s_xor_b32 s22, exec_lo, s22
; %bb.165:                              ;   in Loop: Header=BB10_128 Depth=2
	v_bfe_u32 v3, v2, 16, 1
	s_delay_alu instid0(VALU_DEP_1)
	v_add3_u32 v91, v2, v3, 0x7fff
                                        ; implicit-def: $vgpr2
; %bb.166:                              ;   in Loop: Header=BB10_128 Depth=2
	s_and_not1_saveexec_b32 s22, s22
; %bb.167:                              ;   in Loop: Header=BB10_128 Depth=2
	v_and_b32_e32 v3, 0xffff, v2
	v_or_b32_e32 v10, 0x10000, v2
	s_delay_alu instid0(VALU_DEP_2) | instskip(NEXT) | instid1(VALU_DEP_2)
	v_cmp_eq_u32_e32 vcc_lo, 0, v3
	v_cndmask_b32_e32 v91, v10, v2, vcc_lo
; %bb.168:                              ;   in Loop: Header=BB10_128 Depth=2
	s_or_b32 exec_lo, exec_lo, s22
	v_lshlrev_b32_e32 v2, 16, v11
	s_mov_b32 s22, exec_lo
                                        ; implicit-def: $vgpr92
	s_delay_alu instid0(VALU_DEP_1) | instskip(NEXT) | instid1(VALU_DEP_1)
	v_mul_f32_e32 v2, v44, v2
	v_and_b32_e32 v3, 0x7f800000, v2
	s_delay_alu instid0(VALU_DEP_1)
	v_cmpx_ne_u32_e32 0x7f800000, v3
	s_xor_b32 s22, exec_lo, s22
; %bb.169:                              ;   in Loop: Header=BB10_128 Depth=2
	v_bfe_u32 v3, v2, 16, 1
	s_delay_alu instid0(VALU_DEP_1)
	v_add3_u32 v92, v2, v3, 0x7fff
                                        ; implicit-def: $vgpr2
; %bb.170:                              ;   in Loop: Header=BB10_128 Depth=2
	s_and_not1_saveexec_b32 s22, s22
; %bb.171:                              ;   in Loop: Header=BB10_128 Depth=2
	v_and_b32_e32 v3, 0xffff, v2
	v_or_b32_e32 v10, 0x10000, v2
	s_delay_alu instid0(VALU_DEP_2) | instskip(NEXT) | instid1(VALU_DEP_2)
	v_cmp_eq_u32_e32 vcc_lo, 0, v3
	v_cndmask_b32_e32 v92, v10, v2, vcc_lo
; %bb.172:                              ;   in Loop: Header=BB10_128 Depth=2
	s_or_b32 exec_lo, exec_lo, s22
	v_and_b32_e32 v2, 0xffff0000, v11
	s_mov_b32 s22, exec_lo
                                        ; implicit-def: $vgpr89
	s_delay_alu instid0(VALU_DEP_1) | instskip(NEXT) | instid1(VALU_DEP_1)
	v_mul_f32_e32 v2, v44, v2
	v_and_b32_e32 v3, 0x7f800000, v2
	s_delay_alu instid0(VALU_DEP_1)
	v_cmpx_ne_u32_e32 0x7f800000, v3
	s_xor_b32 s22, exec_lo, s22
; %bb.173:                              ;   in Loop: Header=BB10_128 Depth=2
	v_bfe_u32 v3, v2, 16, 1
	s_delay_alu instid0(VALU_DEP_1)
	v_add3_u32 v89, v2, v3, 0x7fff
                                        ; implicit-def: $vgpr2
; %bb.174:                              ;   in Loop: Header=BB10_128 Depth=2
	s_and_not1_saveexec_b32 s22, s22
; %bb.175:                              ;   in Loop: Header=BB10_128 Depth=2
	v_and_b32_e32 v3, 0xffff, v2
	v_or_b32_e32 v10, 0x10000, v2
	s_delay_alu instid0(VALU_DEP_2) | instskip(NEXT) | instid1(VALU_DEP_2)
	v_cmp_eq_u32_e32 vcc_lo, 0, v3
	v_cndmask_b32_e32 v89, v10, v2, vcc_lo
; %bb.176:                              ;   in Loop: Header=BB10_128 Depth=2
	s_or_b32 exec_lo, exec_lo, s22
	v_lshlrev_b32_e32 v2, 16, v12
	s_mov_b32 s22, exec_lo
                                        ; implicit-def: $vgpr90
	s_delay_alu instid0(VALU_DEP_1) | instskip(NEXT) | instid1(VALU_DEP_1)
	v_mul_f32_e32 v2, v44, v2
	v_and_b32_e32 v3, 0x7f800000, v2
	s_delay_alu instid0(VALU_DEP_1)
	v_cmpx_ne_u32_e32 0x7f800000, v3
	s_xor_b32 s22, exec_lo, s22
; %bb.177:                              ;   in Loop: Header=BB10_128 Depth=2
	v_bfe_u32 v3, v2, 16, 1
	s_delay_alu instid0(VALU_DEP_1)
	v_add3_u32 v90, v2, v3, 0x7fff
                                        ; implicit-def: $vgpr2
; %bb.178:                              ;   in Loop: Header=BB10_128 Depth=2
	s_and_not1_saveexec_b32 s22, s22
; %bb.179:                              ;   in Loop: Header=BB10_128 Depth=2
	v_and_b32_e32 v3, 0xffff, v2
	v_or_b32_e32 v10, 0x10000, v2
	s_delay_alu instid0(VALU_DEP_2) | instskip(NEXT) | instid1(VALU_DEP_2)
	v_cmp_eq_u32_e32 vcc_lo, 0, v3
	v_cndmask_b32_e32 v90, v10, v2, vcc_lo
; %bb.180:                              ;   in Loop: Header=BB10_128 Depth=2
	s_or_b32 exec_lo, exec_lo, s22
	v_and_b32_e32 v2, 0xffff0000, v12
	s_mov_b32 s22, exec_lo
                                        ; implicit-def: $vgpr79
	s_delay_alu instid0(VALU_DEP_1) | instskip(NEXT) | instid1(VALU_DEP_1)
	v_mul_f32_e32 v2, v44, v2
	v_and_b32_e32 v3, 0x7f800000, v2
	s_delay_alu instid0(VALU_DEP_1)
	v_cmpx_ne_u32_e32 0x7f800000, v3
	s_xor_b32 s22, exec_lo, s22
; %bb.181:                              ;   in Loop: Header=BB10_128 Depth=2
	v_bfe_u32 v3, v2, 16, 1
	s_delay_alu instid0(VALU_DEP_1)
	v_add3_u32 v79, v2, v3, 0x7fff
                                        ; implicit-def: $vgpr2
; %bb.182:                              ;   in Loop: Header=BB10_128 Depth=2
	s_and_not1_saveexec_b32 s22, s22
; %bb.183:                              ;   in Loop: Header=BB10_128 Depth=2
	v_and_b32_e32 v3, 0xffff, v2
	v_or_b32_e32 v10, 0x10000, v2
	s_delay_alu instid0(VALU_DEP_2) | instskip(NEXT) | instid1(VALU_DEP_2)
	v_cmp_eq_u32_e32 vcc_lo, 0, v3
	v_cndmask_b32_e32 v79, v10, v2, vcc_lo
; %bb.184:                              ;   in Loop: Header=BB10_128 Depth=2
	s_or_b32 exec_lo, exec_lo, s22
	v_lshlrev_b32_e32 v2, 16, v13
	s_mov_b32 s22, exec_lo
                                        ; implicit-def: $vgpr88
	s_delay_alu instid0(VALU_DEP_1) | instskip(NEXT) | instid1(VALU_DEP_1)
	v_mul_f32_e32 v2, v44, v2
	v_and_b32_e32 v3, 0x7f800000, v2
	s_delay_alu instid0(VALU_DEP_1)
	v_cmpx_ne_u32_e32 0x7f800000, v3
	s_xor_b32 s22, exec_lo, s22
; %bb.185:                              ;   in Loop: Header=BB10_128 Depth=2
	v_bfe_u32 v3, v2, 16, 1
	s_delay_alu instid0(VALU_DEP_1)
	v_add3_u32 v88, v2, v3, 0x7fff
                                        ; implicit-def: $vgpr2
; %bb.186:                              ;   in Loop: Header=BB10_128 Depth=2
	s_and_not1_saveexec_b32 s22, s22
; %bb.187:                              ;   in Loop: Header=BB10_128 Depth=2
	v_and_b32_e32 v3, 0xffff, v2
	v_or_b32_e32 v10, 0x10000, v2
	s_delay_alu instid0(VALU_DEP_2) | instskip(NEXT) | instid1(VALU_DEP_2)
	v_cmp_eq_u32_e32 vcc_lo, 0, v3
	v_cndmask_b32_e32 v88, v10, v2, vcc_lo
; %bb.188:                              ;   in Loop: Header=BB10_128 Depth=2
	s_or_b32 exec_lo, exec_lo, s22
	v_and_b32_e32 v2, 0xffff0000, v13
	s_mov_b32 s22, exec_lo
                                        ; implicit-def: $vgpr77
	s_delay_alu instid0(VALU_DEP_1) | instskip(NEXT) | instid1(VALU_DEP_1)
	v_mul_f32_e32 v2, v44, v2
	v_and_b32_e32 v3, 0x7f800000, v2
	s_delay_alu instid0(VALU_DEP_1)
	v_cmpx_ne_u32_e32 0x7f800000, v3
	s_xor_b32 s22, exec_lo, s22
; %bb.189:                              ;   in Loop: Header=BB10_128 Depth=2
	v_bfe_u32 v3, v2, 16, 1
	s_delay_alu instid0(VALU_DEP_1)
	v_add3_u32 v77, v2, v3, 0x7fff
                                        ; implicit-def: $vgpr2
; %bb.190:                              ;   in Loop: Header=BB10_128 Depth=2
	s_and_not1_saveexec_b32 s22, s22
; %bb.191:                              ;   in Loop: Header=BB10_128 Depth=2
	v_and_b32_e32 v3, 0xffff, v2
	v_or_b32_e32 v10, 0x10000, v2
	s_delay_alu instid0(VALU_DEP_2) | instskip(NEXT) | instid1(VALU_DEP_2)
	v_cmp_eq_u32_e32 vcc_lo, 0, v3
	v_cndmask_b32_e32 v77, v10, v2, vcc_lo
; %bb.192:                              ;   in Loop: Header=BB10_128 Depth=2
	s_or_b32 exec_lo, exec_lo, s22
	global_load_b128 v[10:13], v[102:103], off offset:1024 th:TH_LOAD_NT
	s_mov_b32 s22, exec_lo
                                        ; implicit-def: $vgpr78
	s_wait_loadcnt 0x0
	v_lshlrev_b32_e32 v2, 16, v10
	s_delay_alu instid0(VALU_DEP_1) | instskip(NEXT) | instid1(VALU_DEP_1)
	v_mul_f32_e32 v2, v44, v2
	v_and_b32_e32 v3, 0x7f800000, v2
	s_wait_xcnt 0x0
	s_delay_alu instid0(VALU_DEP_1)
	v_cmpx_ne_u32_e32 0x7f800000, v3
	s_xor_b32 s22, exec_lo, s22
; %bb.193:                              ;   in Loop: Header=BB10_128 Depth=2
	v_bfe_u32 v3, v2, 16, 1
	s_delay_alu instid0(VALU_DEP_1)
	v_add3_u32 v78, v2, v3, 0x7fff
                                        ; implicit-def: $vgpr2
; %bb.194:                              ;   in Loop: Header=BB10_128 Depth=2
	s_and_not1_saveexec_b32 s22, s22
; %bb.195:                              ;   in Loop: Header=BB10_128 Depth=2
	v_and_b32_e32 v3, 0xffff, v2
	v_or_b32_e32 v14, 0x10000, v2
	s_delay_alu instid0(VALU_DEP_2) | instskip(NEXT) | instid1(VALU_DEP_2)
	v_cmp_eq_u32_e32 vcc_lo, 0, v3
	v_cndmask_b32_e32 v78, v14, v2, vcc_lo
; %bb.196:                              ;   in Loop: Header=BB10_128 Depth=2
	s_or_b32 exec_lo, exec_lo, s22
	v_and_b32_e32 v2, 0xffff0000, v10
	s_mov_b32 s22, exec_lo
                                        ; implicit-def: $vgpr75
	s_delay_alu instid0(VALU_DEP_1) | instskip(NEXT) | instid1(VALU_DEP_1)
	v_mul_f32_e32 v2, v44, v2
	v_and_b32_e32 v3, 0x7f800000, v2
	s_delay_alu instid0(VALU_DEP_1)
	v_cmpx_ne_u32_e32 0x7f800000, v3
	s_xor_b32 s22, exec_lo, s22
; %bb.197:                              ;   in Loop: Header=BB10_128 Depth=2
	v_bfe_u32 v3, v2, 16, 1
	s_delay_alu instid0(VALU_DEP_1)
	v_add3_u32 v75, v2, v3, 0x7fff
                                        ; implicit-def: $vgpr2
; %bb.198:                              ;   in Loop: Header=BB10_128 Depth=2
	s_and_not1_saveexec_b32 s22, s22
; %bb.199:                              ;   in Loop: Header=BB10_128 Depth=2
	v_and_b32_e32 v3, 0xffff, v2
	v_or_b32_e32 v10, 0x10000, v2
	s_delay_alu instid0(VALU_DEP_2) | instskip(NEXT) | instid1(VALU_DEP_2)
	v_cmp_eq_u32_e32 vcc_lo, 0, v3
	v_cndmask_b32_e32 v75, v10, v2, vcc_lo
; %bb.200:                              ;   in Loop: Header=BB10_128 Depth=2
	s_or_b32 exec_lo, exec_lo, s22
	v_lshlrev_b32_e32 v2, 16, v11
	s_mov_b32 s22, exec_lo
                                        ; implicit-def: $vgpr76
	s_delay_alu instid0(VALU_DEP_1) | instskip(NEXT) | instid1(VALU_DEP_1)
	v_mul_f32_e32 v2, v44, v2
	v_and_b32_e32 v3, 0x7f800000, v2
	s_delay_alu instid0(VALU_DEP_1)
	v_cmpx_ne_u32_e32 0x7f800000, v3
	s_xor_b32 s22, exec_lo, s22
; %bb.201:                              ;   in Loop: Header=BB10_128 Depth=2
	v_bfe_u32 v3, v2, 16, 1
	s_delay_alu instid0(VALU_DEP_1)
	v_add3_u32 v76, v2, v3, 0x7fff
                                        ; implicit-def: $vgpr2
; %bb.202:                              ;   in Loop: Header=BB10_128 Depth=2
	s_and_not1_saveexec_b32 s22, s22
; %bb.203:                              ;   in Loop: Header=BB10_128 Depth=2
	v_and_b32_e32 v3, 0xffff, v2
	v_or_b32_e32 v10, 0x10000, v2
	s_delay_alu instid0(VALU_DEP_2) | instskip(NEXT) | instid1(VALU_DEP_2)
	v_cmp_eq_u32_e32 vcc_lo, 0, v3
	v_cndmask_b32_e32 v76, v10, v2, vcc_lo
; %bb.204:                              ;   in Loop: Header=BB10_128 Depth=2
	s_or_b32 exec_lo, exec_lo, s22
	v_and_b32_e32 v2, 0xffff0000, v11
	s_mov_b32 s22, exec_lo
                                        ; implicit-def: $vgpr73
	s_delay_alu instid0(VALU_DEP_1) | instskip(NEXT) | instid1(VALU_DEP_1)
	v_mul_f32_e32 v2, v44, v2
	v_and_b32_e32 v3, 0x7f800000, v2
	s_delay_alu instid0(VALU_DEP_1)
	v_cmpx_ne_u32_e32 0x7f800000, v3
	s_xor_b32 s22, exec_lo, s22
; %bb.205:                              ;   in Loop: Header=BB10_128 Depth=2
	v_bfe_u32 v3, v2, 16, 1
	s_delay_alu instid0(VALU_DEP_1)
	v_add3_u32 v73, v2, v3, 0x7fff
                                        ; implicit-def: $vgpr2
; %bb.206:                              ;   in Loop: Header=BB10_128 Depth=2
	s_and_not1_saveexec_b32 s22, s22
; %bb.207:                              ;   in Loop: Header=BB10_128 Depth=2
	v_and_b32_e32 v3, 0xffff, v2
	v_or_b32_e32 v10, 0x10000, v2
	s_delay_alu instid0(VALU_DEP_2) | instskip(NEXT) | instid1(VALU_DEP_2)
	v_cmp_eq_u32_e32 vcc_lo, 0, v3
	v_cndmask_b32_e32 v73, v10, v2, vcc_lo
; %bb.208:                              ;   in Loop: Header=BB10_128 Depth=2
	s_or_b32 exec_lo, exec_lo, s22
	v_lshlrev_b32_e32 v2, 16, v12
	s_mov_b32 s22, exec_lo
                                        ; implicit-def: $vgpr74
	s_delay_alu instid0(VALU_DEP_1) | instskip(NEXT) | instid1(VALU_DEP_1)
	v_mul_f32_e32 v2, v44, v2
	v_and_b32_e32 v3, 0x7f800000, v2
	s_delay_alu instid0(VALU_DEP_1)
	v_cmpx_ne_u32_e32 0x7f800000, v3
	s_xor_b32 s22, exec_lo, s22
; %bb.209:                              ;   in Loop: Header=BB10_128 Depth=2
	v_bfe_u32 v3, v2, 16, 1
	s_delay_alu instid0(VALU_DEP_1)
	v_add3_u32 v74, v2, v3, 0x7fff
                                        ; implicit-def: $vgpr2
; %bb.210:                              ;   in Loop: Header=BB10_128 Depth=2
	s_and_not1_saveexec_b32 s22, s22
; %bb.211:                              ;   in Loop: Header=BB10_128 Depth=2
	v_and_b32_e32 v3, 0xffff, v2
	v_or_b32_e32 v10, 0x10000, v2
	s_delay_alu instid0(VALU_DEP_2) | instskip(NEXT) | instid1(VALU_DEP_2)
	v_cmp_eq_u32_e32 vcc_lo, 0, v3
	v_cndmask_b32_e32 v74, v10, v2, vcc_lo
; %bb.212:                              ;   in Loop: Header=BB10_128 Depth=2
	s_or_b32 exec_lo, exec_lo, s22
	v_and_b32_e32 v2, 0xffff0000, v12
	s_mov_b32 s22, exec_lo
                                        ; implicit-def: $vgpr63
	s_delay_alu instid0(VALU_DEP_1) | instskip(NEXT) | instid1(VALU_DEP_1)
	v_mul_f32_e32 v2, v44, v2
	v_and_b32_e32 v3, 0x7f800000, v2
	s_delay_alu instid0(VALU_DEP_1)
	v_cmpx_ne_u32_e32 0x7f800000, v3
	s_xor_b32 s22, exec_lo, s22
; %bb.213:                              ;   in Loop: Header=BB10_128 Depth=2
	v_bfe_u32 v3, v2, 16, 1
	s_delay_alu instid0(VALU_DEP_1)
	v_add3_u32 v63, v2, v3, 0x7fff
                                        ; implicit-def: $vgpr2
; %bb.214:                              ;   in Loop: Header=BB10_128 Depth=2
	s_and_not1_saveexec_b32 s22, s22
; %bb.215:                              ;   in Loop: Header=BB10_128 Depth=2
	v_and_b32_e32 v3, 0xffff, v2
	v_or_b32_e32 v10, 0x10000, v2
	s_delay_alu instid0(VALU_DEP_2) | instskip(NEXT) | instid1(VALU_DEP_2)
	v_cmp_eq_u32_e32 vcc_lo, 0, v3
	v_cndmask_b32_e32 v63, v10, v2, vcc_lo
; %bb.216:                              ;   in Loop: Header=BB10_128 Depth=2
	s_or_b32 exec_lo, exec_lo, s22
	v_lshlrev_b32_e32 v2, 16, v13
	s_mov_b32 s22, exec_lo
                                        ; implicit-def: $vgpr72
	s_delay_alu instid0(VALU_DEP_1) | instskip(NEXT) | instid1(VALU_DEP_1)
	v_mul_f32_e32 v2, v44, v2
	v_and_b32_e32 v3, 0x7f800000, v2
	s_delay_alu instid0(VALU_DEP_1)
	v_cmpx_ne_u32_e32 0x7f800000, v3
	s_xor_b32 s22, exec_lo, s22
; %bb.217:                              ;   in Loop: Header=BB10_128 Depth=2
	v_bfe_u32 v3, v2, 16, 1
	s_delay_alu instid0(VALU_DEP_1)
	v_add3_u32 v72, v2, v3, 0x7fff
                                        ; implicit-def: $vgpr2
; %bb.218:                              ;   in Loop: Header=BB10_128 Depth=2
	s_and_not1_saveexec_b32 s22, s22
; %bb.219:                              ;   in Loop: Header=BB10_128 Depth=2
	v_and_b32_e32 v3, 0xffff, v2
	v_or_b32_e32 v10, 0x10000, v2
	s_delay_alu instid0(VALU_DEP_2) | instskip(NEXT) | instid1(VALU_DEP_2)
	v_cmp_eq_u32_e32 vcc_lo, 0, v3
	v_cndmask_b32_e32 v72, v10, v2, vcc_lo
; %bb.220:                              ;   in Loop: Header=BB10_128 Depth=2
	s_or_b32 exec_lo, exec_lo, s22
	v_and_b32_e32 v2, 0xffff0000, v13
	s_mov_b32 s22, exec_lo
                                        ; implicit-def: $vgpr61
	s_delay_alu instid0(VALU_DEP_1) | instskip(NEXT) | instid1(VALU_DEP_1)
	v_mul_f32_e32 v2, v44, v2
	v_and_b32_e32 v3, 0x7f800000, v2
	s_delay_alu instid0(VALU_DEP_1)
	v_cmpx_ne_u32_e32 0x7f800000, v3
	s_xor_b32 s22, exec_lo, s22
; %bb.221:                              ;   in Loop: Header=BB10_128 Depth=2
	v_bfe_u32 v3, v2, 16, 1
	s_delay_alu instid0(VALU_DEP_1)
	v_add3_u32 v61, v2, v3, 0x7fff
                                        ; implicit-def: $vgpr2
; %bb.222:                              ;   in Loop: Header=BB10_128 Depth=2
	s_and_not1_saveexec_b32 s22, s22
; %bb.223:                              ;   in Loop: Header=BB10_128 Depth=2
	v_and_b32_e32 v3, 0xffff, v2
	v_or_b32_e32 v10, 0x10000, v2
	s_delay_alu instid0(VALU_DEP_2) | instskip(NEXT) | instid1(VALU_DEP_2)
	v_cmp_eq_u32_e32 vcc_lo, 0, v3
	v_cndmask_b32_e32 v61, v10, v2, vcc_lo
; %bb.224:                              ;   in Loop: Header=BB10_128 Depth=2
	s_or_b32 exec_lo, exec_lo, s22
	global_load_b128 v[10:13], v[102:103], off offset:1536 th:TH_LOAD_NT
	s_mov_b32 s22, exec_lo
                                        ; implicit-def: $vgpr62
	s_wait_loadcnt 0x0
	v_lshlrev_b32_e32 v2, 16, v10
	s_delay_alu instid0(VALU_DEP_1) | instskip(NEXT) | instid1(VALU_DEP_1)
	v_mul_f32_e32 v2, v44, v2
	v_and_b32_e32 v3, 0x7f800000, v2
	s_wait_xcnt 0x0
	s_delay_alu instid0(VALU_DEP_1)
	v_cmpx_ne_u32_e32 0x7f800000, v3
	s_xor_b32 s22, exec_lo, s22
; %bb.225:                              ;   in Loop: Header=BB10_128 Depth=2
	v_bfe_u32 v3, v2, 16, 1
	s_delay_alu instid0(VALU_DEP_1)
	v_add3_u32 v62, v2, v3, 0x7fff
                                        ; implicit-def: $vgpr2
; %bb.226:                              ;   in Loop: Header=BB10_128 Depth=2
	s_and_not1_saveexec_b32 s22, s22
; %bb.227:                              ;   in Loop: Header=BB10_128 Depth=2
	v_and_b32_e32 v3, 0xffff, v2
	v_or_b32_e32 v14, 0x10000, v2
	s_delay_alu instid0(VALU_DEP_2) | instskip(NEXT) | instid1(VALU_DEP_2)
	v_cmp_eq_u32_e32 vcc_lo, 0, v3
	v_cndmask_b32_e32 v62, v14, v2, vcc_lo
; %bb.228:                              ;   in Loop: Header=BB10_128 Depth=2
	s_or_b32 exec_lo, exec_lo, s22
	v_and_b32_e32 v2, 0xffff0000, v10
	s_mov_b32 s22, exec_lo
                                        ; implicit-def: $vgpr59
	s_delay_alu instid0(VALU_DEP_1) | instskip(NEXT) | instid1(VALU_DEP_1)
	v_mul_f32_e32 v2, v44, v2
	v_and_b32_e32 v3, 0x7f800000, v2
	s_delay_alu instid0(VALU_DEP_1)
	v_cmpx_ne_u32_e32 0x7f800000, v3
	s_xor_b32 s22, exec_lo, s22
; %bb.229:                              ;   in Loop: Header=BB10_128 Depth=2
	v_bfe_u32 v3, v2, 16, 1
	s_delay_alu instid0(VALU_DEP_1)
	v_add3_u32 v59, v2, v3, 0x7fff
                                        ; implicit-def: $vgpr2
; %bb.230:                              ;   in Loop: Header=BB10_128 Depth=2
	s_and_not1_saveexec_b32 s22, s22
; %bb.231:                              ;   in Loop: Header=BB10_128 Depth=2
	v_and_b32_e32 v3, 0xffff, v2
	v_or_b32_e32 v10, 0x10000, v2
	s_delay_alu instid0(VALU_DEP_2) | instskip(NEXT) | instid1(VALU_DEP_2)
	v_cmp_eq_u32_e32 vcc_lo, 0, v3
	v_cndmask_b32_e32 v59, v10, v2, vcc_lo
; %bb.232:                              ;   in Loop: Header=BB10_128 Depth=2
	s_or_b32 exec_lo, exec_lo, s22
	v_lshlrev_b32_e32 v2, 16, v11
	s_mov_b32 s22, exec_lo
                                        ; implicit-def: $vgpr60
	s_delay_alu instid0(VALU_DEP_1) | instskip(NEXT) | instid1(VALU_DEP_1)
	v_mul_f32_e32 v2, v44, v2
	v_and_b32_e32 v3, 0x7f800000, v2
	s_delay_alu instid0(VALU_DEP_1)
	v_cmpx_ne_u32_e32 0x7f800000, v3
	s_xor_b32 s22, exec_lo, s22
; %bb.233:                              ;   in Loop: Header=BB10_128 Depth=2
	v_bfe_u32 v3, v2, 16, 1
	s_delay_alu instid0(VALU_DEP_1)
	v_add3_u32 v60, v2, v3, 0x7fff
                                        ; implicit-def: $vgpr2
; %bb.234:                              ;   in Loop: Header=BB10_128 Depth=2
	s_and_not1_saveexec_b32 s22, s22
; %bb.235:                              ;   in Loop: Header=BB10_128 Depth=2
	v_and_b32_e32 v3, 0xffff, v2
	v_or_b32_e32 v10, 0x10000, v2
	s_delay_alu instid0(VALU_DEP_2) | instskip(NEXT) | instid1(VALU_DEP_2)
	v_cmp_eq_u32_e32 vcc_lo, 0, v3
	v_cndmask_b32_e32 v60, v10, v2, vcc_lo
; %bb.236:                              ;   in Loop: Header=BB10_128 Depth=2
	s_or_b32 exec_lo, exec_lo, s22
	v_and_b32_e32 v2, 0xffff0000, v11
	s_mov_b32 s22, exec_lo
                                        ; implicit-def: $vgpr57
	s_delay_alu instid0(VALU_DEP_1) | instskip(NEXT) | instid1(VALU_DEP_1)
	v_mul_f32_e32 v2, v44, v2
	v_and_b32_e32 v3, 0x7f800000, v2
	s_delay_alu instid0(VALU_DEP_1)
	v_cmpx_ne_u32_e32 0x7f800000, v3
	s_xor_b32 s22, exec_lo, s22
; %bb.237:                              ;   in Loop: Header=BB10_128 Depth=2
	v_bfe_u32 v3, v2, 16, 1
	s_delay_alu instid0(VALU_DEP_1)
	v_add3_u32 v57, v2, v3, 0x7fff
                                        ; implicit-def: $vgpr2
; %bb.238:                              ;   in Loop: Header=BB10_128 Depth=2
	s_and_not1_saveexec_b32 s22, s22
; %bb.239:                              ;   in Loop: Header=BB10_128 Depth=2
	v_and_b32_e32 v3, 0xffff, v2
	v_or_b32_e32 v10, 0x10000, v2
	s_delay_alu instid0(VALU_DEP_2) | instskip(NEXT) | instid1(VALU_DEP_2)
	v_cmp_eq_u32_e32 vcc_lo, 0, v3
	v_cndmask_b32_e32 v57, v10, v2, vcc_lo
; %bb.240:                              ;   in Loop: Header=BB10_128 Depth=2
	s_or_b32 exec_lo, exec_lo, s22
	v_lshlrev_b32_e32 v2, 16, v12
	s_mov_b32 s22, exec_lo
                                        ; implicit-def: $vgpr58
	s_delay_alu instid0(VALU_DEP_1) | instskip(NEXT) | instid1(VALU_DEP_1)
	v_mul_f32_e32 v2, v44, v2
	v_and_b32_e32 v3, 0x7f800000, v2
	s_delay_alu instid0(VALU_DEP_1)
	v_cmpx_ne_u32_e32 0x7f800000, v3
	s_xor_b32 s22, exec_lo, s22
; %bb.241:                              ;   in Loop: Header=BB10_128 Depth=2
	v_bfe_u32 v3, v2, 16, 1
	s_delay_alu instid0(VALU_DEP_1)
	v_add3_u32 v58, v2, v3, 0x7fff
                                        ; implicit-def: $vgpr2
; %bb.242:                              ;   in Loop: Header=BB10_128 Depth=2
	s_and_not1_saveexec_b32 s22, s22
; %bb.243:                              ;   in Loop: Header=BB10_128 Depth=2
	v_and_b32_e32 v3, 0xffff, v2
	v_or_b32_e32 v10, 0x10000, v2
	s_delay_alu instid0(VALU_DEP_2) | instskip(NEXT) | instid1(VALU_DEP_2)
	v_cmp_eq_u32_e32 vcc_lo, 0, v3
	v_cndmask_b32_e32 v58, v10, v2, vcc_lo
; %bb.244:                              ;   in Loop: Header=BB10_128 Depth=2
	s_or_b32 exec_lo, exec_lo, s22
	v_and_b32_e32 v2, 0xffff0000, v12
	s_mov_b32 s22, exec_lo
                                        ; implicit-def: $vgpr47
	s_delay_alu instid0(VALU_DEP_1) | instskip(NEXT) | instid1(VALU_DEP_1)
	v_mul_f32_e32 v2, v44, v2
	v_and_b32_e32 v3, 0x7f800000, v2
	s_delay_alu instid0(VALU_DEP_1)
	v_cmpx_ne_u32_e32 0x7f800000, v3
	s_xor_b32 s22, exec_lo, s22
; %bb.245:                              ;   in Loop: Header=BB10_128 Depth=2
	v_bfe_u32 v3, v2, 16, 1
	s_delay_alu instid0(VALU_DEP_1)
	v_add3_u32 v47, v2, v3, 0x7fff
                                        ; implicit-def: $vgpr2
; %bb.246:                              ;   in Loop: Header=BB10_128 Depth=2
	s_and_not1_saveexec_b32 s22, s22
; %bb.247:                              ;   in Loop: Header=BB10_128 Depth=2
	v_and_b32_e32 v3, 0xffff, v2
	v_or_b32_e32 v10, 0x10000, v2
	s_delay_alu instid0(VALU_DEP_2) | instskip(NEXT) | instid1(VALU_DEP_2)
	v_cmp_eq_u32_e32 vcc_lo, 0, v3
	v_cndmask_b32_e32 v47, v10, v2, vcc_lo
; %bb.248:                              ;   in Loop: Header=BB10_128 Depth=2
	s_or_b32 exec_lo, exec_lo, s22
	v_lshlrev_b32_e32 v2, 16, v13
	s_mov_b32 s22, exec_lo
                                        ; implicit-def: $vgpr56
	s_delay_alu instid0(VALU_DEP_1) | instskip(NEXT) | instid1(VALU_DEP_1)
	v_mul_f32_e32 v2, v44, v2
	v_and_b32_e32 v3, 0x7f800000, v2
	s_delay_alu instid0(VALU_DEP_1)
	v_cmpx_ne_u32_e32 0x7f800000, v3
	s_xor_b32 s22, exec_lo, s22
; %bb.249:                              ;   in Loop: Header=BB10_128 Depth=2
	v_bfe_u32 v3, v2, 16, 1
	s_delay_alu instid0(VALU_DEP_1)
	v_add3_u32 v56, v2, v3, 0x7fff
                                        ; implicit-def: $vgpr2
; %bb.250:                              ;   in Loop: Header=BB10_128 Depth=2
	s_and_not1_saveexec_b32 s22, s22
; %bb.251:                              ;   in Loop: Header=BB10_128 Depth=2
	v_and_b32_e32 v3, 0xffff, v2
	v_or_b32_e32 v10, 0x10000, v2
	s_delay_alu instid0(VALU_DEP_2) | instskip(NEXT) | instid1(VALU_DEP_2)
	v_cmp_eq_u32_e32 vcc_lo, 0, v3
	v_cndmask_b32_e32 v56, v10, v2, vcc_lo
; %bb.252:                              ;   in Loop: Header=BB10_128 Depth=2
	s_or_b32 exec_lo, exec_lo, s22
	v_and_b32_e32 v2, 0xffff0000, v13
	s_mov_b32 s22, exec_lo
                                        ; implicit-def: $vgpr46
	s_delay_alu instid0(VALU_DEP_1) | instskip(NEXT) | instid1(VALU_DEP_1)
	v_mul_f32_e32 v2, v44, v2
	v_and_b32_e32 v3, 0x7f800000, v2
	s_delay_alu instid0(VALU_DEP_1)
	v_cmpx_ne_u32_e32 0x7f800000, v3
	s_xor_b32 s22, exec_lo, s22
; %bb.253:                              ;   in Loop: Header=BB10_128 Depth=2
	v_bfe_u32 v3, v2, 16, 1
	s_delay_alu instid0(VALU_DEP_1)
	v_add3_u32 v46, v2, v3, 0x7fff
                                        ; implicit-def: $vgpr2
; %bb.254:                              ;   in Loop: Header=BB10_128 Depth=2
	s_and_not1_saveexec_b32 s22, s22
; %bb.255:                              ;   in Loop: Header=BB10_128 Depth=2
	v_and_b32_e32 v3, 0xffff, v2
	v_or_b32_e32 v10, 0x10000, v2
	s_delay_alu instid0(VALU_DEP_2) | instskip(NEXT) | instid1(VALU_DEP_2)
	v_cmp_eq_u32_e32 vcc_lo, 0, v3
	v_cndmask_b32_e32 v46, v10, v2, vcc_lo
; %bb.256:                              ;   in Loop: Header=BB10_128 Depth=2
	s_or_b32 exec_lo, exec_lo, s22
	s_clause 0x3
	global_load_b128 v[22:25], v[112:113], off th:TH_LOAD_NT
	global_load_b128 v[18:21], v[112:113], off offset:512 th:TH_LOAD_NT
	global_load_b128 v[14:17], v[112:113], off offset:1024 th:TH_LOAD_NT
	;; [unrolled: 1-line block ×3, first 2 shown]
	v_and_b32_e32 v2, 0xffff0000, v45
	s_mov_b32 s22, exec_lo
                                        ; implicit-def: $vgpr45
	s_wait_loadcnt 0x3
	v_lshlrev_b32_e32 v3, 16, v22
	s_delay_alu instid0(VALU_DEP_1) | instskip(NEXT) | instid1(VALU_DEP_1)
	v_add_f32_e32 v2, v2, v3
	v_and_b32_e32 v3, 0x7f800000, v2
	s_wait_xcnt 0x0
	s_delay_alu instid0(VALU_DEP_1)
	v_cmpx_ne_u32_e32 0x7f800000, v3
	s_xor_b32 s22, exec_lo, s22
; %bb.257:                              ;   in Loop: Header=BB10_128 Depth=2
	v_bfe_u32 v3, v2, 16, 1
	s_delay_alu instid0(VALU_DEP_1)
	v_add3_u32 v45, v2, v3, 0x7fff
                                        ; implicit-def: $vgpr2
; %bb.258:                              ;   in Loop: Header=BB10_128 Depth=2
	s_and_not1_saveexec_b32 s22, s22
; %bb.259:                              ;   in Loop: Header=BB10_128 Depth=2
	v_and_b32_e32 v3, 0xffff, v2
	v_or_b32_e32 v116, 0x10000, v2
	s_delay_alu instid0(VALU_DEP_2) | instskip(NEXT) | instid1(VALU_DEP_2)
	v_cmp_eq_u32_e32 vcc_lo, 0, v3
	v_cndmask_b32_e32 v45, v116, v2, vcc_lo
; %bb.260:                              ;   in Loop: Header=BB10_128 Depth=2
	s_or_b32 exec_lo, exec_lo, s22
	v_and_b32_e32 v2, 0xffff0000, v22
	v_and_b32_e32 v3, 0xffff0000, v107
	s_mov_b32 s22, exec_lo
                                        ; implicit-def: $vgpr22
	s_delay_alu instid0(VALU_DEP_1) | instskip(NEXT) | instid1(VALU_DEP_1)
	v_add_f32_e32 v2, v3, v2
	v_and_b32_e32 v3, 0x7f800000, v2
	s_delay_alu instid0(VALU_DEP_1)
	v_cmpx_ne_u32_e32 0x7f800000, v3
	s_xor_b32 s22, exec_lo, s22
; %bb.261:                              ;   in Loop: Header=BB10_128 Depth=2
	v_bfe_u32 v3, v2, 16, 1
	s_delay_alu instid0(VALU_DEP_1)
	v_add3_u32 v22, v2, v3, 0x7fff
                                        ; implicit-def: $vgpr2
; %bb.262:                              ;   in Loop: Header=BB10_128 Depth=2
	s_and_not1_saveexec_b32 s22, s22
; %bb.263:                              ;   in Loop: Header=BB10_128 Depth=2
	v_and_b32_e32 v3, 0xffff, v2
	v_or_b32_e32 v22, 0x10000, v2
	s_delay_alu instid0(VALU_DEP_2) | instskip(NEXT) | instid1(VALU_DEP_2)
	v_cmp_eq_u32_e32 vcc_lo, 0, v3
	v_cndmask_b32_e32 v22, v22, v2, vcc_lo
; %bb.264:                              ;   in Loop: Header=BB10_128 Depth=2
	s_or_b32 exec_lo, exec_lo, s22
	v_and_b32_e32 v2, 0xffff0000, v108
	v_lshlrev_b32_e32 v3, 16, v23
	s_mov_b32 s22, exec_lo
                                        ; implicit-def: $vgpr107
	s_delay_alu instid0(VALU_DEP_1) | instskip(NEXT) | instid1(VALU_DEP_1)
	v_add_f32_e32 v2, v2, v3
	v_and_b32_e32 v3, 0x7f800000, v2
	s_delay_alu instid0(VALU_DEP_1)
	v_cmpx_ne_u32_e32 0x7f800000, v3
	s_xor_b32 s22, exec_lo, s22
; %bb.265:                              ;   in Loop: Header=BB10_128 Depth=2
	v_bfe_u32 v3, v2, 16, 1
	s_delay_alu instid0(VALU_DEP_1)
	v_add3_u32 v107, v2, v3, 0x7fff
                                        ; implicit-def: $vgpr2
; %bb.266:                              ;   in Loop: Header=BB10_128 Depth=2
	s_and_not1_saveexec_b32 s22, s22
; %bb.267:                              ;   in Loop: Header=BB10_128 Depth=2
	v_and_b32_e32 v3, 0xffff, v2
	v_or_b32_e32 v116, 0x10000, v2
	s_delay_alu instid0(VALU_DEP_2) | instskip(NEXT) | instid1(VALU_DEP_2)
	v_cmp_eq_u32_e32 vcc_lo, 0, v3
	v_cndmask_b32_e32 v107, v116, v2, vcc_lo
; %bb.268:                              ;   in Loop: Header=BB10_128 Depth=2
	s_or_b32 exec_lo, exec_lo, s22
	v_and_b32_e32 v2, 0xffff0000, v23
	v_and_b32_e32 v3, 0xffff0000, v105
	s_mov_b32 s22, exec_lo
                                        ; implicit-def: $vgpr23
	s_delay_alu instid0(VALU_DEP_1) | instskip(NEXT) | instid1(VALU_DEP_1)
	v_add_f32_e32 v2, v3, v2
	v_and_b32_e32 v3, 0x7f800000, v2
	s_delay_alu instid0(VALU_DEP_1)
	v_cmpx_ne_u32_e32 0x7f800000, v3
	s_xor_b32 s22, exec_lo, s22
; %bb.269:                              ;   in Loop: Header=BB10_128 Depth=2
	v_bfe_u32 v3, v2, 16, 1
	s_delay_alu instid0(VALU_DEP_1)
	v_add3_u32 v23, v2, v3, 0x7fff
                                        ; implicit-def: $vgpr2
; %bb.270:                              ;   in Loop: Header=BB10_128 Depth=2
	s_and_not1_saveexec_b32 s22, s22
; %bb.271:                              ;   in Loop: Header=BB10_128 Depth=2
	v_and_b32_e32 v3, 0xffff, v2
	v_or_b32_e32 v23, 0x10000, v2
	s_delay_alu instid0(VALU_DEP_2) | instskip(NEXT) | instid1(VALU_DEP_2)
	v_cmp_eq_u32_e32 vcc_lo, 0, v3
	v_cndmask_b32_e32 v23, v23, v2, vcc_lo
; %bb.272:                              ;   in Loop: Header=BB10_128 Depth=2
	s_or_b32 exec_lo, exec_lo, s22
	v_and_b32_e32 v2, 0xffff0000, v106
	v_lshlrev_b32_e32 v3, 16, v24
	s_mov_b32 s22, exec_lo
                                        ; implicit-def: $vgpr105
	s_delay_alu instid0(VALU_DEP_1) | instskip(NEXT) | instid1(VALU_DEP_1)
	v_add_f32_e32 v2, v2, v3
	v_and_b32_e32 v3, 0x7f800000, v2
	s_delay_alu instid0(VALU_DEP_1)
	v_cmpx_ne_u32_e32 0x7f800000, v3
	s_xor_b32 s22, exec_lo, s22
; %bb.273:                              ;   in Loop: Header=BB10_128 Depth=2
	v_bfe_u32 v3, v2, 16, 1
	s_delay_alu instid0(VALU_DEP_1)
	v_add3_u32 v105, v2, v3, 0x7fff
                                        ; implicit-def: $vgpr2
; %bb.274:                              ;   in Loop: Header=BB10_128 Depth=2
	s_and_not1_saveexec_b32 s22, s22
; %bb.275:                              ;   in Loop: Header=BB10_128 Depth=2
	v_and_b32_e32 v3, 0xffff, v2
	v_or_b32_e32 v116, 0x10000, v2
	s_delay_alu instid0(VALU_DEP_2) | instskip(NEXT) | instid1(VALU_DEP_2)
	v_cmp_eq_u32_e32 vcc_lo, 0, v3
	v_cndmask_b32_e32 v105, v116, v2, vcc_lo
; %bb.276:                              ;   in Loop: Header=BB10_128 Depth=2
	s_or_b32 exec_lo, exec_lo, s22
	v_and_b32_e32 v2, 0xffff0000, v24
	v_and_b32_e32 v3, 0xffff0000, v95
	s_mov_b32 s22, exec_lo
                                        ; implicit-def: $vgpr24
	s_delay_alu instid0(VALU_DEP_1) | instskip(NEXT) | instid1(VALU_DEP_1)
	v_add_f32_e32 v2, v3, v2
	v_and_b32_e32 v3, 0x7f800000, v2
	s_delay_alu instid0(VALU_DEP_1)
	v_cmpx_ne_u32_e32 0x7f800000, v3
	s_xor_b32 s22, exec_lo, s22
; %bb.277:                              ;   in Loop: Header=BB10_128 Depth=2
	v_bfe_u32 v3, v2, 16, 1
	s_delay_alu instid0(VALU_DEP_1)
	v_add3_u32 v24, v2, v3, 0x7fff
                                        ; implicit-def: $vgpr2
; %bb.278:                              ;   in Loop: Header=BB10_128 Depth=2
	s_and_not1_saveexec_b32 s22, s22
; %bb.279:                              ;   in Loop: Header=BB10_128 Depth=2
	v_and_b32_e32 v3, 0xffff, v2
	v_or_b32_e32 v24, 0x10000, v2
	s_delay_alu instid0(VALU_DEP_2) | instskip(NEXT) | instid1(VALU_DEP_2)
	v_cmp_eq_u32_e32 vcc_lo, 0, v3
	v_cndmask_b32_e32 v24, v24, v2, vcc_lo
; %bb.280:                              ;   in Loop: Header=BB10_128 Depth=2
	s_or_b32 exec_lo, exec_lo, s22
	v_and_b32_e32 v2, 0xffff0000, v104
	v_lshlrev_b32_e32 v3, 16, v25
	s_mov_b32 s22, exec_lo
                                        ; implicit-def: $vgpr95
	s_delay_alu instid0(VALU_DEP_1) | instskip(NEXT) | instid1(VALU_DEP_1)
	v_add_f32_e32 v2, v2, v3
	v_and_b32_e32 v3, 0x7f800000, v2
	s_delay_alu instid0(VALU_DEP_1)
	v_cmpx_ne_u32_e32 0x7f800000, v3
	s_xor_b32 s22, exec_lo, s22
; %bb.281:                              ;   in Loop: Header=BB10_128 Depth=2
	v_bfe_u32 v3, v2, 16, 1
	s_delay_alu instid0(VALU_DEP_1)
	v_add3_u32 v95, v2, v3, 0x7fff
                                        ; implicit-def: $vgpr2
; %bb.282:                              ;   in Loop: Header=BB10_128 Depth=2
	s_and_not1_saveexec_b32 s22, s22
; %bb.283:                              ;   in Loop: Header=BB10_128 Depth=2
	v_and_b32_e32 v3, 0xffff, v2
	v_or_b32_e32 v116, 0x10000, v2
	s_delay_alu instid0(VALU_DEP_2) | instskip(NEXT) | instid1(VALU_DEP_2)
	v_cmp_eq_u32_e32 vcc_lo, 0, v3
	v_cndmask_b32_e32 v95, v116, v2, vcc_lo
; %bb.284:                              ;   in Loop: Header=BB10_128 Depth=2
	s_or_b32 exec_lo, exec_lo, s22
	v_and_b32_e32 v2, 0xffff0000, v25
	v_and_b32_e32 v3, 0xffff0000, v93
	s_mov_b32 s22, exec_lo
                                        ; implicit-def: $vgpr25
	s_delay_alu instid0(VALU_DEP_1) | instskip(NEXT) | instid1(VALU_DEP_1)
	v_add_f32_e32 v2, v3, v2
	v_and_b32_e32 v3, 0x7f800000, v2
	s_delay_alu instid0(VALU_DEP_1)
	v_cmpx_ne_u32_e32 0x7f800000, v3
	s_xor_b32 s22, exec_lo, s22
; %bb.285:                              ;   in Loop: Header=BB10_128 Depth=2
	v_bfe_u32 v3, v2, 16, 1
	s_delay_alu instid0(VALU_DEP_1)
	v_add3_u32 v25, v2, v3, 0x7fff
                                        ; implicit-def: $vgpr2
; %bb.286:                              ;   in Loop: Header=BB10_128 Depth=2
	s_and_not1_saveexec_b32 s22, s22
; %bb.287:                              ;   in Loop: Header=BB10_128 Depth=2
	v_and_b32_e32 v3, 0xffff, v2
	v_or_b32_e32 v25, 0x10000, v2
	s_delay_alu instid0(VALU_DEP_2) | instskip(NEXT) | instid1(VALU_DEP_2)
	v_cmp_eq_u32_e32 vcc_lo, 0, v3
	v_cndmask_b32_e32 v25, v25, v2, vcc_lo
; %bb.288:                              ;   in Loop: Header=BB10_128 Depth=2
	s_or_b32 exec_lo, exec_lo, s22
	v_and_b32_e32 v2, 0xffff0000, v94
	s_wait_loadcnt 0x2
	v_lshlrev_b32_e32 v3, 16, v18
	s_mov_b32 s22, exec_lo
                                        ; implicit-def: $vgpr93
	s_delay_alu instid0(VALU_DEP_1) | instskip(NEXT) | instid1(VALU_DEP_1)
	v_add_f32_e32 v2, v2, v3
	v_and_b32_e32 v3, 0x7f800000, v2
	s_delay_alu instid0(VALU_DEP_1)
	v_cmpx_ne_u32_e32 0x7f800000, v3
	s_xor_b32 s22, exec_lo, s22
; %bb.289:                              ;   in Loop: Header=BB10_128 Depth=2
	v_bfe_u32 v3, v2, 16, 1
	s_delay_alu instid0(VALU_DEP_1)
	v_add3_u32 v93, v2, v3, 0x7fff
                                        ; implicit-def: $vgpr2
; %bb.290:                              ;   in Loop: Header=BB10_128 Depth=2
	s_and_not1_saveexec_b32 s22, s22
; %bb.291:                              ;   in Loop: Header=BB10_128 Depth=2
	v_and_b32_e32 v3, 0xffff, v2
	v_or_b32_e32 v116, 0x10000, v2
	s_delay_alu instid0(VALU_DEP_2) | instskip(NEXT) | instid1(VALU_DEP_2)
	v_cmp_eq_u32_e32 vcc_lo, 0, v3
	v_cndmask_b32_e32 v93, v116, v2, vcc_lo
; %bb.292:                              ;   in Loop: Header=BB10_128 Depth=2
	s_or_b32 exec_lo, exec_lo, s22
	v_and_b32_e32 v2, 0xffff0000, v18
	v_and_b32_e32 v3, 0xffff0000, v91
	s_mov_b32 s22, exec_lo
                                        ; implicit-def: $vgpr18
	s_delay_alu instid0(VALU_DEP_1) | instskip(NEXT) | instid1(VALU_DEP_1)
	v_add_f32_e32 v2, v3, v2
	v_and_b32_e32 v3, 0x7f800000, v2
	s_delay_alu instid0(VALU_DEP_1)
	v_cmpx_ne_u32_e32 0x7f800000, v3
	s_xor_b32 s22, exec_lo, s22
; %bb.293:                              ;   in Loop: Header=BB10_128 Depth=2
	v_bfe_u32 v3, v2, 16, 1
	s_delay_alu instid0(VALU_DEP_1)
	v_add3_u32 v18, v2, v3, 0x7fff
                                        ; implicit-def: $vgpr2
; %bb.294:                              ;   in Loop: Header=BB10_128 Depth=2
	s_and_not1_saveexec_b32 s22, s22
; %bb.295:                              ;   in Loop: Header=BB10_128 Depth=2
	v_and_b32_e32 v3, 0xffff, v2
	v_or_b32_e32 v18, 0x10000, v2
	s_delay_alu instid0(VALU_DEP_2) | instskip(NEXT) | instid1(VALU_DEP_2)
	v_cmp_eq_u32_e32 vcc_lo, 0, v3
	v_cndmask_b32_e32 v18, v18, v2, vcc_lo
; %bb.296:                              ;   in Loop: Header=BB10_128 Depth=2
	s_or_b32 exec_lo, exec_lo, s22
	v_and_b32_e32 v2, 0xffff0000, v92
	v_lshlrev_b32_e32 v3, 16, v19
	s_mov_b32 s22, exec_lo
                                        ; implicit-def: $vgpr91
	s_delay_alu instid0(VALU_DEP_1) | instskip(NEXT) | instid1(VALU_DEP_1)
	v_add_f32_e32 v2, v2, v3
	v_and_b32_e32 v3, 0x7f800000, v2
	s_delay_alu instid0(VALU_DEP_1)
	v_cmpx_ne_u32_e32 0x7f800000, v3
	s_xor_b32 s22, exec_lo, s22
; %bb.297:                              ;   in Loop: Header=BB10_128 Depth=2
	v_bfe_u32 v3, v2, 16, 1
	s_delay_alu instid0(VALU_DEP_1)
	v_add3_u32 v91, v2, v3, 0x7fff
                                        ; implicit-def: $vgpr2
; %bb.298:                              ;   in Loop: Header=BB10_128 Depth=2
	s_and_not1_saveexec_b32 s22, s22
; %bb.299:                              ;   in Loop: Header=BB10_128 Depth=2
	v_and_b32_e32 v3, 0xffff, v2
	v_or_b32_e32 v116, 0x10000, v2
	s_delay_alu instid0(VALU_DEP_2) | instskip(NEXT) | instid1(VALU_DEP_2)
	v_cmp_eq_u32_e32 vcc_lo, 0, v3
	v_cndmask_b32_e32 v91, v116, v2, vcc_lo
; %bb.300:                              ;   in Loop: Header=BB10_128 Depth=2
	s_or_b32 exec_lo, exec_lo, s22
	v_and_b32_e32 v2, 0xffff0000, v19
	v_and_b32_e32 v3, 0xffff0000, v89
	s_mov_b32 s22, exec_lo
                                        ; implicit-def: $vgpr19
	s_delay_alu instid0(VALU_DEP_1) | instskip(NEXT) | instid1(VALU_DEP_1)
	v_add_f32_e32 v2, v3, v2
	v_and_b32_e32 v3, 0x7f800000, v2
	s_delay_alu instid0(VALU_DEP_1)
	v_cmpx_ne_u32_e32 0x7f800000, v3
	s_xor_b32 s22, exec_lo, s22
; %bb.301:                              ;   in Loop: Header=BB10_128 Depth=2
	v_bfe_u32 v3, v2, 16, 1
	s_delay_alu instid0(VALU_DEP_1)
	v_add3_u32 v19, v2, v3, 0x7fff
                                        ; implicit-def: $vgpr2
; %bb.302:                              ;   in Loop: Header=BB10_128 Depth=2
	s_and_not1_saveexec_b32 s22, s22
; %bb.303:                              ;   in Loop: Header=BB10_128 Depth=2
	v_and_b32_e32 v3, 0xffff, v2
	v_or_b32_e32 v19, 0x10000, v2
	s_delay_alu instid0(VALU_DEP_2) | instskip(NEXT) | instid1(VALU_DEP_2)
	v_cmp_eq_u32_e32 vcc_lo, 0, v3
	v_cndmask_b32_e32 v19, v19, v2, vcc_lo
; %bb.304:                              ;   in Loop: Header=BB10_128 Depth=2
	s_or_b32 exec_lo, exec_lo, s22
	v_and_b32_e32 v2, 0xffff0000, v90
	v_lshlrev_b32_e32 v3, 16, v20
	s_mov_b32 s22, exec_lo
                                        ; implicit-def: $vgpr89
	s_delay_alu instid0(VALU_DEP_1) | instskip(NEXT) | instid1(VALU_DEP_1)
	v_add_f32_e32 v2, v2, v3
	v_and_b32_e32 v3, 0x7f800000, v2
	s_delay_alu instid0(VALU_DEP_1)
	v_cmpx_ne_u32_e32 0x7f800000, v3
	s_xor_b32 s22, exec_lo, s22
; %bb.305:                              ;   in Loop: Header=BB10_128 Depth=2
	v_bfe_u32 v3, v2, 16, 1
	s_delay_alu instid0(VALU_DEP_1)
	v_add3_u32 v89, v2, v3, 0x7fff
                                        ; implicit-def: $vgpr2
; %bb.306:                              ;   in Loop: Header=BB10_128 Depth=2
	s_and_not1_saveexec_b32 s22, s22
; %bb.307:                              ;   in Loop: Header=BB10_128 Depth=2
	v_and_b32_e32 v3, 0xffff, v2
	v_or_b32_e32 v116, 0x10000, v2
	s_delay_alu instid0(VALU_DEP_2) | instskip(NEXT) | instid1(VALU_DEP_2)
	v_cmp_eq_u32_e32 vcc_lo, 0, v3
	v_cndmask_b32_e32 v89, v116, v2, vcc_lo
; %bb.308:                              ;   in Loop: Header=BB10_128 Depth=2
	s_or_b32 exec_lo, exec_lo, s22
	v_and_b32_e32 v2, 0xffff0000, v20
	v_and_b32_e32 v3, 0xffff0000, v79
	s_mov_b32 s22, exec_lo
                                        ; implicit-def: $vgpr20
	s_delay_alu instid0(VALU_DEP_1) | instskip(NEXT) | instid1(VALU_DEP_1)
	v_add_f32_e32 v2, v3, v2
	v_and_b32_e32 v3, 0x7f800000, v2
	s_delay_alu instid0(VALU_DEP_1)
	v_cmpx_ne_u32_e32 0x7f800000, v3
	s_xor_b32 s22, exec_lo, s22
; %bb.309:                              ;   in Loop: Header=BB10_128 Depth=2
	v_bfe_u32 v3, v2, 16, 1
	s_delay_alu instid0(VALU_DEP_1)
	v_add3_u32 v20, v2, v3, 0x7fff
                                        ; implicit-def: $vgpr2
; %bb.310:                              ;   in Loop: Header=BB10_128 Depth=2
	s_and_not1_saveexec_b32 s22, s22
; %bb.311:                              ;   in Loop: Header=BB10_128 Depth=2
	v_and_b32_e32 v3, 0xffff, v2
	v_or_b32_e32 v20, 0x10000, v2
	s_delay_alu instid0(VALU_DEP_2) | instskip(NEXT) | instid1(VALU_DEP_2)
	v_cmp_eq_u32_e32 vcc_lo, 0, v3
	v_cndmask_b32_e32 v20, v20, v2, vcc_lo
; %bb.312:                              ;   in Loop: Header=BB10_128 Depth=2
	s_or_b32 exec_lo, exec_lo, s22
	v_and_b32_e32 v2, 0xffff0000, v88
	v_lshlrev_b32_e32 v3, 16, v21
	s_mov_b32 s22, exec_lo
                                        ; implicit-def: $vgpr79
	s_delay_alu instid0(VALU_DEP_1) | instskip(NEXT) | instid1(VALU_DEP_1)
	v_add_f32_e32 v2, v2, v3
	v_and_b32_e32 v3, 0x7f800000, v2
	s_delay_alu instid0(VALU_DEP_1)
	v_cmpx_ne_u32_e32 0x7f800000, v3
	s_xor_b32 s22, exec_lo, s22
; %bb.313:                              ;   in Loop: Header=BB10_128 Depth=2
	v_bfe_u32 v3, v2, 16, 1
	s_delay_alu instid0(VALU_DEP_1)
	v_add3_u32 v79, v2, v3, 0x7fff
                                        ; implicit-def: $vgpr2
; %bb.314:                              ;   in Loop: Header=BB10_128 Depth=2
	s_and_not1_saveexec_b32 s22, s22
; %bb.315:                              ;   in Loop: Header=BB10_128 Depth=2
	v_and_b32_e32 v3, 0xffff, v2
	v_or_b32_e32 v116, 0x10000, v2
	s_delay_alu instid0(VALU_DEP_2) | instskip(NEXT) | instid1(VALU_DEP_2)
	v_cmp_eq_u32_e32 vcc_lo, 0, v3
	v_cndmask_b32_e32 v79, v116, v2, vcc_lo
; %bb.316:                              ;   in Loop: Header=BB10_128 Depth=2
	s_or_b32 exec_lo, exec_lo, s22
	v_and_b32_e32 v2, 0xffff0000, v21
	v_and_b32_e32 v3, 0xffff0000, v77
	s_mov_b32 s22, exec_lo
                                        ; implicit-def: $vgpr21
	s_delay_alu instid0(VALU_DEP_1) | instskip(NEXT) | instid1(VALU_DEP_1)
	v_add_f32_e32 v2, v3, v2
	v_and_b32_e32 v3, 0x7f800000, v2
	s_delay_alu instid0(VALU_DEP_1)
	v_cmpx_ne_u32_e32 0x7f800000, v3
	s_xor_b32 s22, exec_lo, s22
; %bb.317:                              ;   in Loop: Header=BB10_128 Depth=2
	v_bfe_u32 v3, v2, 16, 1
	s_delay_alu instid0(VALU_DEP_1)
	v_add3_u32 v21, v2, v3, 0x7fff
                                        ; implicit-def: $vgpr2
; %bb.318:                              ;   in Loop: Header=BB10_128 Depth=2
	s_and_not1_saveexec_b32 s22, s22
; %bb.319:                              ;   in Loop: Header=BB10_128 Depth=2
	v_and_b32_e32 v3, 0xffff, v2
	v_or_b32_e32 v21, 0x10000, v2
	s_delay_alu instid0(VALU_DEP_2) | instskip(NEXT) | instid1(VALU_DEP_2)
	v_cmp_eq_u32_e32 vcc_lo, 0, v3
	v_cndmask_b32_e32 v21, v21, v2, vcc_lo
; %bb.320:                              ;   in Loop: Header=BB10_128 Depth=2
	s_or_b32 exec_lo, exec_lo, s22
	v_and_b32_e32 v2, 0xffff0000, v78
	s_wait_loadcnt 0x1
	v_lshlrev_b32_e32 v3, 16, v14
	s_mov_b32 s22, exec_lo
                                        ; implicit-def: $vgpr77
	s_delay_alu instid0(VALU_DEP_1) | instskip(NEXT) | instid1(VALU_DEP_1)
	v_add_f32_e32 v2, v2, v3
	v_and_b32_e32 v3, 0x7f800000, v2
	s_delay_alu instid0(VALU_DEP_1)
	v_cmpx_ne_u32_e32 0x7f800000, v3
	s_xor_b32 s22, exec_lo, s22
; %bb.321:                              ;   in Loop: Header=BB10_128 Depth=2
	v_bfe_u32 v3, v2, 16, 1
	s_delay_alu instid0(VALU_DEP_1)
	v_add3_u32 v77, v2, v3, 0x7fff
                                        ; implicit-def: $vgpr2
; %bb.322:                              ;   in Loop: Header=BB10_128 Depth=2
	s_and_not1_saveexec_b32 s22, s22
; %bb.323:                              ;   in Loop: Header=BB10_128 Depth=2
	v_and_b32_e32 v3, 0xffff, v2
	v_or_b32_e32 v116, 0x10000, v2
	s_delay_alu instid0(VALU_DEP_2) | instskip(NEXT) | instid1(VALU_DEP_2)
	v_cmp_eq_u32_e32 vcc_lo, 0, v3
	v_cndmask_b32_e32 v77, v116, v2, vcc_lo
; %bb.324:                              ;   in Loop: Header=BB10_128 Depth=2
	s_or_b32 exec_lo, exec_lo, s22
	v_and_b32_e32 v2, 0xffff0000, v14
	v_and_b32_e32 v3, 0xffff0000, v75
	s_mov_b32 s22, exec_lo
                                        ; implicit-def: $vgpr14
	s_delay_alu instid0(VALU_DEP_1) | instskip(NEXT) | instid1(VALU_DEP_1)
	v_add_f32_e32 v2, v3, v2
	v_and_b32_e32 v3, 0x7f800000, v2
	s_delay_alu instid0(VALU_DEP_1)
	v_cmpx_ne_u32_e32 0x7f800000, v3
	s_xor_b32 s22, exec_lo, s22
; %bb.325:                              ;   in Loop: Header=BB10_128 Depth=2
	v_bfe_u32 v3, v2, 16, 1
	s_delay_alu instid0(VALU_DEP_1)
	v_add3_u32 v14, v2, v3, 0x7fff
                                        ; implicit-def: $vgpr2
; %bb.326:                              ;   in Loop: Header=BB10_128 Depth=2
	s_and_not1_saveexec_b32 s22, s22
; %bb.327:                              ;   in Loop: Header=BB10_128 Depth=2
	v_and_b32_e32 v3, 0xffff, v2
	v_or_b32_e32 v14, 0x10000, v2
	s_delay_alu instid0(VALU_DEP_2) | instskip(NEXT) | instid1(VALU_DEP_2)
	v_cmp_eq_u32_e32 vcc_lo, 0, v3
	v_cndmask_b32_e32 v14, v14, v2, vcc_lo
; %bb.328:                              ;   in Loop: Header=BB10_128 Depth=2
	s_or_b32 exec_lo, exec_lo, s22
	v_and_b32_e32 v2, 0xffff0000, v76
	v_lshlrev_b32_e32 v3, 16, v15
	s_mov_b32 s22, exec_lo
                                        ; implicit-def: $vgpr75
	s_delay_alu instid0(VALU_DEP_1) | instskip(NEXT) | instid1(VALU_DEP_1)
	v_add_f32_e32 v2, v2, v3
	v_and_b32_e32 v3, 0x7f800000, v2
	s_delay_alu instid0(VALU_DEP_1)
	v_cmpx_ne_u32_e32 0x7f800000, v3
	s_xor_b32 s22, exec_lo, s22
; %bb.329:                              ;   in Loop: Header=BB10_128 Depth=2
	v_bfe_u32 v3, v2, 16, 1
	s_delay_alu instid0(VALU_DEP_1)
	v_add3_u32 v75, v2, v3, 0x7fff
                                        ; implicit-def: $vgpr2
; %bb.330:                              ;   in Loop: Header=BB10_128 Depth=2
	s_and_not1_saveexec_b32 s22, s22
; %bb.331:                              ;   in Loop: Header=BB10_128 Depth=2
	v_and_b32_e32 v3, 0xffff, v2
	v_or_b32_e32 v116, 0x10000, v2
	s_delay_alu instid0(VALU_DEP_2) | instskip(NEXT) | instid1(VALU_DEP_2)
	v_cmp_eq_u32_e32 vcc_lo, 0, v3
	v_cndmask_b32_e32 v75, v116, v2, vcc_lo
; %bb.332:                              ;   in Loop: Header=BB10_128 Depth=2
	s_or_b32 exec_lo, exec_lo, s22
	v_and_b32_e32 v2, 0xffff0000, v15
	v_and_b32_e32 v3, 0xffff0000, v73
	s_mov_b32 s22, exec_lo
                                        ; implicit-def: $vgpr15
	s_delay_alu instid0(VALU_DEP_1) | instskip(NEXT) | instid1(VALU_DEP_1)
	v_add_f32_e32 v2, v3, v2
	v_and_b32_e32 v3, 0x7f800000, v2
	s_delay_alu instid0(VALU_DEP_1)
	v_cmpx_ne_u32_e32 0x7f800000, v3
	s_xor_b32 s22, exec_lo, s22
; %bb.333:                              ;   in Loop: Header=BB10_128 Depth=2
	v_bfe_u32 v3, v2, 16, 1
	s_delay_alu instid0(VALU_DEP_1)
	v_add3_u32 v15, v2, v3, 0x7fff
                                        ; implicit-def: $vgpr2
; %bb.334:                              ;   in Loop: Header=BB10_128 Depth=2
	s_and_not1_saveexec_b32 s22, s22
; %bb.335:                              ;   in Loop: Header=BB10_128 Depth=2
	v_and_b32_e32 v3, 0xffff, v2
	v_or_b32_e32 v15, 0x10000, v2
	s_delay_alu instid0(VALU_DEP_2) | instskip(NEXT) | instid1(VALU_DEP_2)
	v_cmp_eq_u32_e32 vcc_lo, 0, v3
	v_cndmask_b32_e32 v15, v15, v2, vcc_lo
; %bb.336:                              ;   in Loop: Header=BB10_128 Depth=2
	s_or_b32 exec_lo, exec_lo, s22
	v_and_b32_e32 v2, 0xffff0000, v74
	v_lshlrev_b32_e32 v3, 16, v16
	s_mov_b32 s22, exec_lo
                                        ; implicit-def: $vgpr73
	s_delay_alu instid0(VALU_DEP_1) | instskip(NEXT) | instid1(VALU_DEP_1)
	v_add_f32_e32 v2, v2, v3
	v_and_b32_e32 v3, 0x7f800000, v2
	s_delay_alu instid0(VALU_DEP_1)
	v_cmpx_ne_u32_e32 0x7f800000, v3
	s_xor_b32 s22, exec_lo, s22
; %bb.337:                              ;   in Loop: Header=BB10_128 Depth=2
	v_bfe_u32 v3, v2, 16, 1
	s_delay_alu instid0(VALU_DEP_1)
	v_add3_u32 v73, v2, v3, 0x7fff
                                        ; implicit-def: $vgpr2
; %bb.338:                              ;   in Loop: Header=BB10_128 Depth=2
	s_and_not1_saveexec_b32 s22, s22
; %bb.339:                              ;   in Loop: Header=BB10_128 Depth=2
	v_and_b32_e32 v3, 0xffff, v2
	v_or_b32_e32 v116, 0x10000, v2
	s_delay_alu instid0(VALU_DEP_2) | instskip(NEXT) | instid1(VALU_DEP_2)
	v_cmp_eq_u32_e32 vcc_lo, 0, v3
	v_cndmask_b32_e32 v73, v116, v2, vcc_lo
; %bb.340:                              ;   in Loop: Header=BB10_128 Depth=2
	s_or_b32 exec_lo, exec_lo, s22
	v_and_b32_e32 v2, 0xffff0000, v16
	v_and_b32_e32 v3, 0xffff0000, v63
	s_mov_b32 s22, exec_lo
                                        ; implicit-def: $vgpr16
	s_delay_alu instid0(VALU_DEP_1) | instskip(NEXT) | instid1(VALU_DEP_1)
	v_add_f32_e32 v2, v3, v2
	v_and_b32_e32 v3, 0x7f800000, v2
	s_delay_alu instid0(VALU_DEP_1)
	v_cmpx_ne_u32_e32 0x7f800000, v3
	s_xor_b32 s22, exec_lo, s22
; %bb.341:                              ;   in Loop: Header=BB10_128 Depth=2
	v_bfe_u32 v3, v2, 16, 1
	s_delay_alu instid0(VALU_DEP_1)
	v_add3_u32 v16, v2, v3, 0x7fff
                                        ; implicit-def: $vgpr2
; %bb.342:                              ;   in Loop: Header=BB10_128 Depth=2
	s_and_not1_saveexec_b32 s22, s22
; %bb.343:                              ;   in Loop: Header=BB10_128 Depth=2
	v_and_b32_e32 v3, 0xffff, v2
	v_or_b32_e32 v16, 0x10000, v2
	s_delay_alu instid0(VALU_DEP_2) | instskip(NEXT) | instid1(VALU_DEP_2)
	v_cmp_eq_u32_e32 vcc_lo, 0, v3
	v_cndmask_b32_e32 v16, v16, v2, vcc_lo
; %bb.344:                              ;   in Loop: Header=BB10_128 Depth=2
	s_or_b32 exec_lo, exec_lo, s22
	v_and_b32_e32 v2, 0xffff0000, v72
	v_lshlrev_b32_e32 v3, 16, v17
	s_mov_b32 s22, exec_lo
                                        ; implicit-def: $vgpr63
	s_delay_alu instid0(VALU_DEP_1) | instskip(NEXT) | instid1(VALU_DEP_1)
	v_add_f32_e32 v2, v2, v3
	v_and_b32_e32 v3, 0x7f800000, v2
	s_delay_alu instid0(VALU_DEP_1)
	v_cmpx_ne_u32_e32 0x7f800000, v3
	s_xor_b32 s22, exec_lo, s22
; %bb.345:                              ;   in Loop: Header=BB10_128 Depth=2
	v_bfe_u32 v3, v2, 16, 1
	s_delay_alu instid0(VALU_DEP_1)
	v_add3_u32 v63, v2, v3, 0x7fff
                                        ; implicit-def: $vgpr2
; %bb.346:                              ;   in Loop: Header=BB10_128 Depth=2
	s_and_not1_saveexec_b32 s22, s22
; %bb.347:                              ;   in Loop: Header=BB10_128 Depth=2
	v_and_b32_e32 v3, 0xffff, v2
	v_or_b32_e32 v116, 0x10000, v2
	s_delay_alu instid0(VALU_DEP_2) | instskip(NEXT) | instid1(VALU_DEP_2)
	v_cmp_eq_u32_e32 vcc_lo, 0, v3
	v_cndmask_b32_e32 v63, v116, v2, vcc_lo
; %bb.348:                              ;   in Loop: Header=BB10_128 Depth=2
	s_or_b32 exec_lo, exec_lo, s22
	v_and_b32_e32 v2, 0xffff0000, v17
	v_and_b32_e32 v3, 0xffff0000, v61
	s_mov_b32 s22, exec_lo
                                        ; implicit-def: $vgpr17
	s_delay_alu instid0(VALU_DEP_1) | instskip(NEXT) | instid1(VALU_DEP_1)
	v_add_f32_e32 v2, v3, v2
	v_and_b32_e32 v3, 0x7f800000, v2
	s_delay_alu instid0(VALU_DEP_1)
	v_cmpx_ne_u32_e32 0x7f800000, v3
	s_xor_b32 s22, exec_lo, s22
; %bb.349:                              ;   in Loop: Header=BB10_128 Depth=2
	v_bfe_u32 v3, v2, 16, 1
	s_delay_alu instid0(VALU_DEP_1)
	v_add3_u32 v17, v2, v3, 0x7fff
                                        ; implicit-def: $vgpr2
; %bb.350:                              ;   in Loop: Header=BB10_128 Depth=2
	s_and_not1_saveexec_b32 s22, s22
; %bb.351:                              ;   in Loop: Header=BB10_128 Depth=2
	v_and_b32_e32 v3, 0xffff, v2
	v_or_b32_e32 v17, 0x10000, v2
	s_delay_alu instid0(VALU_DEP_2) | instskip(NEXT) | instid1(VALU_DEP_2)
	v_cmp_eq_u32_e32 vcc_lo, 0, v3
	v_cndmask_b32_e32 v17, v17, v2, vcc_lo
; %bb.352:                              ;   in Loop: Header=BB10_128 Depth=2
	s_or_b32 exec_lo, exec_lo, s22
	v_and_b32_e32 v2, 0xffff0000, v62
	s_wait_loadcnt 0x0
	v_lshlrev_b32_e32 v3, 16, v10
	s_mov_b32 s22, exec_lo
                                        ; implicit-def: $vgpr61
	s_delay_alu instid0(VALU_DEP_1) | instskip(NEXT) | instid1(VALU_DEP_1)
	v_add_f32_e32 v2, v2, v3
	v_and_b32_e32 v3, 0x7f800000, v2
	s_delay_alu instid0(VALU_DEP_1)
	v_cmpx_ne_u32_e32 0x7f800000, v3
	s_xor_b32 s22, exec_lo, s22
; %bb.353:                              ;   in Loop: Header=BB10_128 Depth=2
	v_bfe_u32 v3, v2, 16, 1
	s_delay_alu instid0(VALU_DEP_1)
	v_add3_u32 v61, v2, v3, 0x7fff
                                        ; implicit-def: $vgpr2
; %bb.354:                              ;   in Loop: Header=BB10_128 Depth=2
	s_and_not1_saveexec_b32 s22, s22
; %bb.355:                              ;   in Loop: Header=BB10_128 Depth=2
	v_and_b32_e32 v3, 0xffff, v2
	v_or_b32_e32 v116, 0x10000, v2
	s_delay_alu instid0(VALU_DEP_2) | instskip(NEXT) | instid1(VALU_DEP_2)
	v_cmp_eq_u32_e32 vcc_lo, 0, v3
	v_cndmask_b32_e32 v61, v116, v2, vcc_lo
; %bb.356:                              ;   in Loop: Header=BB10_128 Depth=2
	s_or_b32 exec_lo, exec_lo, s22
	v_and_b32_e32 v2, 0xffff0000, v10
	v_and_b32_e32 v3, 0xffff0000, v59
	s_mov_b32 s22, exec_lo
                                        ; implicit-def: $vgpr10
	s_delay_alu instid0(VALU_DEP_1) | instskip(NEXT) | instid1(VALU_DEP_1)
	v_add_f32_e32 v2, v3, v2
	v_and_b32_e32 v3, 0x7f800000, v2
	s_delay_alu instid0(VALU_DEP_1)
	v_cmpx_ne_u32_e32 0x7f800000, v3
	s_xor_b32 s22, exec_lo, s22
; %bb.357:                              ;   in Loop: Header=BB10_128 Depth=2
	v_bfe_u32 v3, v2, 16, 1
	s_delay_alu instid0(VALU_DEP_1)
	v_add3_u32 v10, v2, v3, 0x7fff
                                        ; implicit-def: $vgpr2
; %bb.358:                              ;   in Loop: Header=BB10_128 Depth=2
	s_and_not1_saveexec_b32 s22, s22
; %bb.359:                              ;   in Loop: Header=BB10_128 Depth=2
	v_and_b32_e32 v3, 0xffff, v2
	v_or_b32_e32 v10, 0x10000, v2
	s_delay_alu instid0(VALU_DEP_2) | instskip(NEXT) | instid1(VALU_DEP_2)
	v_cmp_eq_u32_e32 vcc_lo, 0, v3
	v_cndmask_b32_e32 v10, v10, v2, vcc_lo
; %bb.360:                              ;   in Loop: Header=BB10_128 Depth=2
	s_or_b32 exec_lo, exec_lo, s22
	v_and_b32_e32 v2, 0xffff0000, v60
	v_lshlrev_b32_e32 v3, 16, v11
	s_delay_alu instid0(VALU_DEP_1) | instskip(NEXT) | instid1(VALU_DEP_1)
	v_add_f32_e32 v3, v2, v3
	v_and_b32_e32 v2, 0x7f800000, v3
	s_delay_alu instid0(VALU_DEP_1) | instskip(SKIP_1) | instid1(SALU_CYCLE_1)
	v_cmp_ne_u32_e32 vcc_lo, 0x7f800000, v2
                                        ; implicit-def: $vgpr2
	s_and_saveexec_b32 s22, vcc_lo
	s_xor_b32 s22, exec_lo, s22
; %bb.361:                              ;   in Loop: Header=BB10_128 Depth=2
	v_bfe_u32 v2, v3, 16, 1
	s_delay_alu instid0(VALU_DEP_1)
	v_add3_u32 v2, v3, v2, 0x7fff
                                        ; implicit-def: $vgpr3
; %bb.362:                              ;   in Loop: Header=BB10_128 Depth=2
	s_and_not1_saveexec_b32 s22, s22
; %bb.363:                              ;   in Loop: Header=BB10_128 Depth=2
	v_and_b32_e32 v2, 0xffff, v3
	v_or_b32_e32 v116, 0x10000, v3
	s_delay_alu instid0(VALU_DEP_2) | instskip(NEXT) | instid1(VALU_DEP_2)
	v_cmp_eq_u32_e32 vcc_lo, 0, v2
	v_cndmask_b32_e32 v2, v116, v3, vcc_lo
; %bb.364:                              ;   in Loop: Header=BB10_128 Depth=2
	s_or_b32 exec_lo, exec_lo, s22
	v_and_b32_e32 v3, 0xffff0000, v11
	v_and_b32_e32 v11, 0xffff0000, v57
	s_delay_alu instid0(VALU_DEP_1) | instskip(NEXT) | instid1(VALU_DEP_1)
	v_add_f32_e32 v11, v11, v3
	v_and_b32_e32 v3, 0x7f800000, v11
	s_delay_alu instid0(VALU_DEP_1) | instskip(SKIP_1) | instid1(SALU_CYCLE_1)
	v_cmp_ne_u32_e32 vcc_lo, 0x7f800000, v3
                                        ; implicit-def: $vgpr3
	s_and_saveexec_b32 s22, vcc_lo
	s_xor_b32 s22, exec_lo, s22
; %bb.365:                              ;   in Loop: Header=BB10_128 Depth=2
	v_bfe_u32 v3, v11, 16, 1
	s_delay_alu instid0(VALU_DEP_1)
	v_add3_u32 v3, v11, v3, 0x7fff
                                        ; implicit-def: $vgpr11
; %bb.366:                              ;   in Loop: Header=BB10_128 Depth=2
	s_and_not1_saveexec_b32 s22, s22
; %bb.367:                              ;   in Loop: Header=BB10_128 Depth=2
	v_and_b32_e32 v3, 0xffff, v11
	v_or_b32_e32 v116, 0x10000, v11
	s_delay_alu instid0(VALU_DEP_2) | instskip(NEXT) | instid1(VALU_DEP_2)
	v_cmp_eq_u32_e32 vcc_lo, 0, v3
	v_cndmask_b32_e32 v3, v116, v11, vcc_lo
; %bb.368:                              ;   in Loop: Header=BB10_128 Depth=2
	s_or_b32 exec_lo, exec_lo, s22
	v_and_b32_e32 v11, 0xffff0000, v58
	v_lshlrev_b32_e32 v116, 16, v12
	s_delay_alu instid0(VALU_DEP_1) | instskip(NEXT) | instid1(VALU_DEP_1)
	v_add_f32_e32 v116, v11, v116
	v_and_b32_e32 v11, 0x7f800000, v116
	s_delay_alu instid0(VALU_DEP_1) | instskip(SKIP_1) | instid1(SALU_CYCLE_1)
	v_cmp_ne_u32_e32 vcc_lo, 0x7f800000, v11
                                        ; implicit-def: $vgpr11
	s_and_saveexec_b32 s22, vcc_lo
	s_xor_b32 s22, exec_lo, s22
; %bb.369:                              ;   in Loop: Header=BB10_128 Depth=2
	v_bfe_u32 v11, v116, 16, 1
	s_delay_alu instid0(VALU_DEP_1)
	v_add3_u32 v11, v116, v11, 0x7fff
                                        ; implicit-def: $vgpr116
; %bb.370:                              ;   in Loop: Header=BB10_128 Depth=2
	s_and_not1_saveexec_b32 s22, s22
; %bb.371:                              ;   in Loop: Header=BB10_128 Depth=2
	v_and_b32_e32 v11, 0xffff, v116
	v_or_b32_e32 v57, 0x10000, v116
	s_delay_alu instid0(VALU_DEP_2) | instskip(NEXT) | instid1(VALU_DEP_2)
	v_cmp_eq_u32_e32 vcc_lo, 0, v11
	v_cndmask_b32_e32 v11, v57, v116, vcc_lo
; %bb.372:                              ;   in Loop: Header=BB10_128 Depth=2
	s_or_b32 exec_lo, exec_lo, s22
	v_and_b32_e32 v12, 0xffff0000, v12
	v_and_b32_e32 v116, 0xffff0000, v47
	s_delay_alu instid0(VALU_DEP_1) | instskip(NEXT) | instid1(VALU_DEP_1)
	v_add_f32_e32 v116, v116, v12
	v_and_b32_e32 v12, 0x7f800000, v116
	s_delay_alu instid0(VALU_DEP_1) | instskip(SKIP_1) | instid1(SALU_CYCLE_1)
	v_cmp_ne_u32_e32 vcc_lo, 0x7f800000, v12
                                        ; implicit-def: $vgpr12
	s_and_saveexec_b32 s22, vcc_lo
	s_xor_b32 s22, exec_lo, s22
; %bb.373:                              ;   in Loop: Header=BB10_128 Depth=2
	v_bfe_u32 v12, v116, 16, 1
	s_delay_alu instid0(VALU_DEP_1)
	v_add3_u32 v12, v116, v12, 0x7fff
                                        ; implicit-def: $vgpr116
; %bb.374:                              ;   in Loop: Header=BB10_128 Depth=2
	s_and_not1_saveexec_b32 s22, s22
; %bb.375:                              ;   in Loop: Header=BB10_128 Depth=2
	v_and_b32_e32 v12, 0xffff, v116
	v_or_b32_e32 v47, 0x10000, v116
	s_delay_alu instid0(VALU_DEP_2) | instskip(NEXT) | instid1(VALU_DEP_2)
	v_cmp_eq_u32_e32 vcc_lo, 0, v12
	v_cndmask_b32_e32 v12, v47, v116, vcc_lo
; %bb.376:                              ;   in Loop: Header=BB10_128 Depth=2
	s_or_b32 exec_lo, exec_lo, s22
	v_and_b32_e32 v116, 0xffff0000, v56
	v_lshlrev_b32_e32 v47, 16, v13
	s_delay_alu instid0(VALU_DEP_1) | instskip(NEXT) | instid1(VALU_DEP_1)
	v_add_f32_e32 v47, v116, v47
	v_and_b32_e32 v116, 0x7f800000, v47
	s_delay_alu instid0(VALU_DEP_1) | instskip(SKIP_1) | instid1(SALU_CYCLE_1)
	v_cmp_ne_u32_e32 vcc_lo, 0x7f800000, v116
                                        ; implicit-def: $vgpr116
	s_and_saveexec_b32 s22, vcc_lo
	s_xor_b32 s22, exec_lo, s22
; %bb.377:                              ;   in Loop: Header=BB10_128 Depth=2
	v_bfe_u32 v116, v47, 16, 1
	s_delay_alu instid0(VALU_DEP_1)
	v_add3_u32 v116, v47, v116, 0x7fff
                                        ; implicit-def: $vgpr47
; %bb.378:                              ;   in Loop: Header=BB10_128 Depth=2
	s_and_not1_saveexec_b32 s22, s22
; %bb.379:                              ;   in Loop: Header=BB10_128 Depth=2
	v_and_b32_e32 v116, 0xffff, v47
	v_or_b32_e32 v56, 0x10000, v47
	s_delay_alu instid0(VALU_DEP_2) | instskip(NEXT) | instid1(VALU_DEP_2)
	v_cmp_eq_u32_e32 vcc_lo, 0, v116
	v_cndmask_b32_e32 v116, v56, v47, vcc_lo
; %bb.380:                              ;   in Loop: Header=BB10_128 Depth=2
	s_or_b32 exec_lo, exec_lo, s22
	v_and_b32_e32 v13, 0xffff0000, v13
	v_and_b32_e32 v46, 0xffff0000, v46
	s_delay_alu instid0(VALU_DEP_1) | instskip(NEXT) | instid1(VALU_DEP_1)
	v_add_f32_e32 v46, v46, v13
	v_and_b32_e32 v13, 0x7f800000, v46
	s_delay_alu instid0(VALU_DEP_1) | instskip(SKIP_1) | instid1(SALU_CYCLE_1)
	v_cmp_ne_u32_e32 vcc_lo, 0x7f800000, v13
                                        ; implicit-def: $vgpr13
	s_and_saveexec_b32 s22, vcc_lo
	s_xor_b32 s22, exec_lo, s22
; %bb.381:                              ;   in Loop: Header=BB10_128 Depth=2
	v_bfe_u32 v13, v46, 16, 1
	s_delay_alu instid0(VALU_DEP_1)
	v_add3_u32 v13, v46, v13, 0x7fff
                                        ; implicit-def: $vgpr46
; %bb.382:                              ;   in Loop: Header=BB10_128 Depth=2
	s_and_not1_saveexec_b32 s22, s22
	s_cbranch_execz .LBB10_127
; %bb.383:                              ;   in Loop: Header=BB10_128 Depth=2
	v_and_b32_e32 v13, 0xffff, v46
	v_or_b32_e32 v47, 0x10000, v46
	s_delay_alu instid0(VALU_DEP_2) | instskip(NEXT) | instid1(VALU_DEP_2)
	v_cmp_eq_u32_e32 vcc_lo, 0, v13
	v_cndmask_b32_e32 v13, v47, v46, vcc_lo
	s_branch .LBB10_127
.LBB10_384:                             ;   in Loop: Header=BB10_49 Depth=1
	s_or_b32 exec_lo, exec_lo, s21
.LBB10_385:                             ;   in Loop: Header=BB10_49 Depth=1
	s_delay_alu instid0(SALU_CYCLE_1) | instskip(SKIP_3) | instid1(VALU_DEP_1)
	s_or_b32 exec_lo, exec_lo, s7
	v_dual_lshlrev_b32 v20, 11, v43 :: v_dual_mov_b32 v16, 0
	s_mov_b32 s22, 0
	s_mov_b32 s21, exec_lo
                                        ; implicit-def: $vgpr17
	v_cmpx_ne_u32_e64 v41, v20
	s_cbranch_execz .LBB10_455
; %bb.386:                              ;   in Loop: Header=BB10_49 Depth=1
	v_dual_lshlrev_b32 v2, 5, v42 :: v_dual_sub_nc_u32 v10, v41, v20
	s_mov_b32 s22, exec_lo
	s_delay_alu instid0(VALU_DEP_1) | instskip(NEXT) | instid1(VALU_DEP_2)
	v_sub_nc_u32_e32 v2, v118, v2
	v_ashrrev_i32_e32 v11, 31, v10
	s_delay_alu instid0(VALU_DEP_1) | instskip(NEXT) | instid1(VALU_DEP_1)
	v_dual_ashrrev_i32 v3, 31, v2 :: v_dual_lshrrev_b32 v11, 23, v11
	v_lshrrev_b32_e32 v3, 27, v3
	s_delay_alu instid0(VALU_DEP_1) | instskip(NEXT) | instid1(VALU_DEP_1)
	v_add_nc_u32_e32 v3, v2, v3
	v_and_b32_e32 v12, 0xffffffe0, v3
	s_delay_alu instid0(VALU_DEP_1) | instskip(NEXT) | instid1(VALU_DEP_1)
	v_dual_ashrrev_i32 v3, 5, v3 :: v_dual_sub_nc_u32 v21, v2, v12
	v_dual_add_nc_u32 v11, v10, v11 :: v_dual_lshlrev_b32 v2, 4, v21
	s_delay_alu instid0(VALU_DEP_1) | instskip(SKIP_1) | instid1(VALU_DEP_3)
	v_and_b32_e32 v22, 0xfffffe00, v11
	v_ashrrev_i32_e32 v11, 9, v11
	v_lshl_add_u32 v2, v3, 9, v2
	s_delay_alu instid0(VALU_DEP_3) | instskip(NEXT) | instid1(VALU_DEP_1)
	v_sub_nc_u32_e32 v23, v10, v22
	v_cmp_lt_i32_e32 vcc_lo, 15, v23
	s_delay_alu instid0(VALU_DEP_4) | instskip(NEXT) | instid1(VALU_DEP_1)
	v_add_co_ci_u32_e64 v11, null, 0, v11, vcc_lo
	v_dual_sub_nc_u32 v25, v10, v2 :: v_dual_sub_nc_u32 v24, v11, v3
	s_delay_alu instid0(VALU_DEP_1)
	v_cmpx_lt_i32_e32 15, v25
	s_cbranch_execz .LBB10_454
; %bb.387:                              ;   in Loop: Header=BB10_49 Depth=1
	s_trap 2
	ds_load_b64 v[10:11], v0
	ds_load_b32 v12, v0
	v_add_nc_u32_e32 v2, v2, v20
	s_mov_b32 s23, 0
	s_wait_dscnt 0x0
	s_delay_alu instid0(VALU_DEP_1) | instskip(NEXT) | instid1(VALU_DEP_1)
	v_dual_ashrrev_i32 v3, 31, v2 :: v_dual_lshlrev_b32 v102, 16, v12
	v_add_nc_u64_e32 v[14:15], v[2:3], v[98:99]
	v_add_nc_u64_e32 v[16:17], v[10:11], v[2:3]
	;; [unrolled: 1-line block ×3, first 2 shown]
	s_branch .LBB10_389
.LBB10_388:                             ;   in Loop: Header=BB10_389 Depth=2
	s_or_b32 exec_lo, exec_lo, s24
	v_dual_lshrrev_b32 v3, 16, v3 :: v_dual_lshrrev_b32 v103, 16, v112
	v_dual_lshrrev_b32 v112, 16, v11 :: v_dual_lshrrev_b32 v113, 16, v113
	v_dual_sub_nc_u32 v25, v25, v70 :: v_dual_sub_nc_u32 v24, v24, v64
	s_delay_alu instid0(VALU_DEP_3) | instskip(NEXT) | instid1(VALU_DEP_4)
	v_and_or_b32 v11, 0xffff0000, v10, v3
	v_and_or_b32 v10, 0xffff0000, v2, v103
	s_delay_alu instid0(VALU_DEP_4)
	v_and_or_b32 v12, 0xffff0000, v12, v112
	v_and_or_b32 v13, 0xffff0000, v13, v113
	v_add_nc_u64_e32 v[14:15], v[14:15], v[70:71]
	v_add_nc_u64_e32 v[16:17], v[16:17], v[70:71]
	v_cmp_gt_i32_e64 s7, 16, v25
	global_store_b128 v[18:19], v[10:13], off th:TH_STORE_NT
	s_wait_xcnt 0x0
	v_add_nc_u64_e32 v[18:19], v[18:19], v[70:71]
	s_or_b32 s23, s7, s23
	s_delay_alu instid0(SALU_CYCLE_1)
	s_and_not1_b32 exec_lo, exec_lo, s23
	s_cbranch_execz .LBB10_453
.LBB10_389:                             ;   Parent Loop BB10_49 Depth=1
                                        ; =>  This Inner Loop Header: Depth=2
	global_load_b128 v[10:13], v[14:15], off th:TH_LOAD_NT
                                        ; implicit-def: $vgpr112
	s_wait_loadcnt 0x0
	v_lshlrev_b32_e32 v2, 16, v10
	s_delay_alu instid0(VALU_DEP_1) | instskip(NEXT) | instid1(VALU_DEP_1)
	v_mul_f32_e32 v2, v102, v2
	v_and_b32_e32 v3, 0x7f800000, v2
	s_delay_alu instid0(VALU_DEP_1) | instskip(SKIP_2) | instid1(SALU_CYCLE_1)
	v_cmp_ne_u32_e64 s7, 0x7f800000, v3
	s_wait_xcnt 0x0
	s_and_saveexec_b32 s24, s7
	s_xor_b32 s7, exec_lo, s24
; %bb.390:                              ;   in Loop: Header=BB10_389 Depth=2
	v_bfe_u32 v3, v2, 16, 1
	s_delay_alu instid0(VALU_DEP_1)
	v_add3_u32 v112, v2, v3, 0x7fff
                                        ; implicit-def: $vgpr2
; %bb.391:                              ;   in Loop: Header=BB10_389 Depth=2
	s_and_not1_saveexec_b32 s24, s7
; %bb.392:                              ;   in Loop: Header=BB10_389 Depth=2
	v_and_b32_e32 v3, 0xffff, v2
	v_or_b32_e32 v103, 0x10000, v2
	s_delay_alu instid0(VALU_DEP_2) | instskip(NEXT) | instid1(VALU_DEP_1)
	v_cmp_eq_u32_e64 s7, 0, v3
	v_cndmask_b32_e64 v112, v103, v2, s7
; %bb.393:                              ;   in Loop: Header=BB10_389 Depth=2
	s_or_b32 exec_lo, exec_lo, s24
	v_and_b32_e32 v2, 0xffff0000, v10
                                        ; implicit-def: $vgpr44
	s_delay_alu instid0(VALU_DEP_1) | instskip(NEXT) | instid1(VALU_DEP_1)
	v_mul_f32_e32 v2, v102, v2
	v_and_b32_e32 v3, 0x7f800000, v2
	s_delay_alu instid0(VALU_DEP_1) | instskip(SKIP_1) | instid1(SALU_CYCLE_1)
	v_cmp_ne_u32_e64 s7, 0x7f800000, v3
	s_and_saveexec_b32 s24, s7
	s_xor_b32 s7, exec_lo, s24
; %bb.394:                              ;   in Loop: Header=BB10_389 Depth=2
	v_bfe_u32 v3, v2, 16, 1
	s_delay_alu instid0(VALU_DEP_1)
	v_add3_u32 v44, v2, v3, 0x7fff
                                        ; implicit-def: $vgpr2
; %bb.395:                              ;   in Loop: Header=BB10_389 Depth=2
	s_and_not1_saveexec_b32 s24, s7
; %bb.396:                              ;   in Loop: Header=BB10_389 Depth=2
	v_and_b32_e32 v3, 0xffff, v2
	v_or_b32_e32 v10, 0x10000, v2
	s_delay_alu instid0(VALU_DEP_2) | instskip(NEXT) | instid1(VALU_DEP_1)
	v_cmp_eq_u32_e64 s7, 0, v3
	v_cndmask_b32_e64 v44, v10, v2, s7
; %bb.397:                              ;   in Loop: Header=BB10_389 Depth=2
	s_or_b32 exec_lo, exec_lo, s24
	v_lshlrev_b32_e32 v2, 16, v11
                                        ; implicit-def: $vgpr43
	s_delay_alu instid0(VALU_DEP_1) | instskip(NEXT) | instid1(VALU_DEP_1)
	v_mul_f32_e32 v2, v102, v2
	v_and_b32_e32 v3, 0x7f800000, v2
	s_delay_alu instid0(VALU_DEP_1) | instskip(SKIP_1) | instid1(SALU_CYCLE_1)
	v_cmp_ne_u32_e64 s7, 0x7f800000, v3
	s_and_saveexec_b32 s24, s7
	s_xor_b32 s7, exec_lo, s24
; %bb.398:                              ;   in Loop: Header=BB10_389 Depth=2
	v_bfe_u32 v3, v2, 16, 1
	s_delay_alu instid0(VALU_DEP_1)
	v_add3_u32 v43, v2, v3, 0x7fff
                                        ; implicit-def: $vgpr2
; %bb.399:                              ;   in Loop: Header=BB10_389 Depth=2
	s_and_not1_saveexec_b32 s24, s7
; %bb.400:                              ;   in Loop: Header=BB10_389 Depth=2
	v_and_b32_e32 v3, 0xffff, v2
	v_or_b32_e32 v10, 0x10000, v2
	s_delay_alu instid0(VALU_DEP_2) | instskip(NEXT) | instid1(VALU_DEP_1)
	v_cmp_eq_u32_e64 s7, 0, v3
	v_cndmask_b32_e64 v43, v10, v2, s7
; %bb.401:                              ;   in Loop: Header=BB10_389 Depth=2
	s_or_b32 exec_lo, exec_lo, s24
	v_and_b32_e32 v2, 0xffff0000, v11
                                        ; implicit-def: $vgpr42
	s_delay_alu instid0(VALU_DEP_1) | instskip(NEXT) | instid1(VALU_DEP_1)
	v_mul_f32_e32 v2, v102, v2
	v_and_b32_e32 v3, 0x7f800000, v2
	s_delay_alu instid0(VALU_DEP_1) | instskip(SKIP_1) | instid1(SALU_CYCLE_1)
	v_cmp_ne_u32_e64 s7, 0x7f800000, v3
	s_and_saveexec_b32 s24, s7
	s_xor_b32 s7, exec_lo, s24
; %bb.402:                              ;   in Loop: Header=BB10_389 Depth=2
	v_bfe_u32 v3, v2, 16, 1
	s_delay_alu instid0(VALU_DEP_1)
	v_add3_u32 v42, v2, v3, 0x7fff
                                        ; implicit-def: $vgpr2
; %bb.403:                              ;   in Loop: Header=BB10_389 Depth=2
	s_and_not1_saveexec_b32 s24, s7
; %bb.404:                              ;   in Loop: Header=BB10_389 Depth=2
	v_and_b32_e32 v3, 0xffff, v2
	v_or_b32_e32 v10, 0x10000, v2
	s_delay_alu instid0(VALU_DEP_2) | instskip(NEXT) | instid1(VALU_DEP_1)
	v_cmp_eq_u32_e64 s7, 0, v3
	v_cndmask_b32_e64 v42, v10, v2, s7
; %bb.405:                              ;   in Loop: Header=BB10_389 Depth=2
	s_or_b32 exec_lo, exec_lo, s24
	v_lshlrev_b32_e32 v2, 16, v12
                                        ; implicit-def: $vgpr115
	s_delay_alu instid0(VALU_DEP_1) | instskip(NEXT) | instid1(VALU_DEP_1)
	v_mul_f32_e32 v2, v102, v2
	v_and_b32_e32 v3, 0x7f800000, v2
	s_delay_alu instid0(VALU_DEP_1) | instskip(SKIP_1) | instid1(SALU_CYCLE_1)
	v_cmp_ne_u32_e64 s7, 0x7f800000, v3
	s_and_saveexec_b32 s24, s7
	s_xor_b32 s7, exec_lo, s24
; %bb.406:                              ;   in Loop: Header=BB10_389 Depth=2
	v_bfe_u32 v3, v2, 16, 1
	s_delay_alu instid0(VALU_DEP_1)
	v_add3_u32 v115, v2, v3, 0x7fff
                                        ; implicit-def: $vgpr2
; %bb.407:                              ;   in Loop: Header=BB10_389 Depth=2
	s_and_not1_saveexec_b32 s24, s7
; %bb.408:                              ;   in Loop: Header=BB10_389 Depth=2
	v_and_b32_e32 v3, 0xffff, v2
	v_or_b32_e32 v10, 0x10000, v2
	s_delay_alu instid0(VALU_DEP_2) | instskip(NEXT) | instid1(VALU_DEP_1)
	v_cmp_eq_u32_e64 s7, 0, v3
	v_cndmask_b32_e64 v115, v10, v2, s7
; %bb.409:                              ;   in Loop: Header=BB10_389 Depth=2
	s_or_b32 exec_lo, exec_lo, s24
	v_and_b32_e32 v2, 0xffff0000, v12
                                        ; implicit-def: $vgpr114
	s_delay_alu instid0(VALU_DEP_1) | instskip(NEXT) | instid1(VALU_DEP_1)
	v_mul_f32_e32 v2, v102, v2
	v_and_b32_e32 v3, 0x7f800000, v2
	s_delay_alu instid0(VALU_DEP_1) | instskip(SKIP_1) | instid1(SALU_CYCLE_1)
	v_cmp_ne_u32_e64 s7, 0x7f800000, v3
	s_and_saveexec_b32 s24, s7
	s_xor_b32 s7, exec_lo, s24
; %bb.410:                              ;   in Loop: Header=BB10_389 Depth=2
	v_bfe_u32 v3, v2, 16, 1
	s_delay_alu instid0(VALU_DEP_1)
	v_add3_u32 v114, v2, v3, 0x7fff
                                        ; implicit-def: $vgpr2
; %bb.411:                              ;   in Loop: Header=BB10_389 Depth=2
	s_and_not1_saveexec_b32 s24, s7
; %bb.412:                              ;   in Loop: Header=BB10_389 Depth=2
	v_and_b32_e32 v3, 0xffff, v2
	v_or_b32_e32 v10, 0x10000, v2
	s_delay_alu instid0(VALU_DEP_2) | instskip(NEXT) | instid1(VALU_DEP_1)
	v_cmp_eq_u32_e64 s7, 0, v3
	v_cndmask_b32_e64 v114, v10, v2, s7
; %bb.413:                              ;   in Loop: Header=BB10_389 Depth=2
	s_or_b32 exec_lo, exec_lo, s24
	v_lshlrev_b32_e32 v2, 16, v13
                                        ; implicit-def: $vgpr113
	s_delay_alu instid0(VALU_DEP_1) | instskip(NEXT) | instid1(VALU_DEP_1)
	v_mul_f32_e32 v2, v102, v2
	v_and_b32_e32 v3, 0x7f800000, v2
	s_delay_alu instid0(VALU_DEP_1) | instskip(SKIP_1) | instid1(SALU_CYCLE_1)
	v_cmp_ne_u32_e64 s7, 0x7f800000, v3
	s_and_saveexec_b32 s24, s7
	s_xor_b32 s7, exec_lo, s24
; %bb.414:                              ;   in Loop: Header=BB10_389 Depth=2
	v_bfe_u32 v3, v2, 16, 1
	s_delay_alu instid0(VALU_DEP_1)
	v_add3_u32 v113, v2, v3, 0x7fff
                                        ; implicit-def: $vgpr2
; %bb.415:                              ;   in Loop: Header=BB10_389 Depth=2
	s_and_not1_saveexec_b32 s24, s7
; %bb.416:                              ;   in Loop: Header=BB10_389 Depth=2
	v_and_b32_e32 v3, 0xffff, v2
	v_or_b32_e32 v10, 0x10000, v2
	s_delay_alu instid0(VALU_DEP_2) | instskip(NEXT) | instid1(VALU_DEP_1)
	v_cmp_eq_u32_e64 s7, 0, v3
	v_cndmask_b32_e64 v113, v10, v2, s7
; %bb.417:                              ;   in Loop: Header=BB10_389 Depth=2
	s_or_b32 exec_lo, exec_lo, s24
	v_and_b32_e32 v2, 0xffff0000, v13
                                        ; implicit-def: $vgpr103
	s_delay_alu instid0(VALU_DEP_1) | instskip(NEXT) | instid1(VALU_DEP_1)
	v_mul_f32_e32 v2, v102, v2
	v_and_b32_e32 v3, 0x7f800000, v2
	s_delay_alu instid0(VALU_DEP_1) | instskip(SKIP_1) | instid1(SALU_CYCLE_1)
	v_cmp_ne_u32_e64 s7, 0x7f800000, v3
	s_and_saveexec_b32 s24, s7
	s_xor_b32 s7, exec_lo, s24
; %bb.418:                              ;   in Loop: Header=BB10_389 Depth=2
	v_bfe_u32 v3, v2, 16, 1
	s_delay_alu instid0(VALU_DEP_1)
	v_add3_u32 v103, v2, v3, 0x7fff
                                        ; implicit-def: $vgpr2
; %bb.419:                              ;   in Loop: Header=BB10_389 Depth=2
	s_and_not1_saveexec_b32 s24, s7
; %bb.420:                              ;   in Loop: Header=BB10_389 Depth=2
	v_and_b32_e32 v3, 0xffff, v2
	v_or_b32_e32 v10, 0x10000, v2
	s_delay_alu instid0(VALU_DEP_2) | instskip(NEXT) | instid1(VALU_DEP_1)
	v_cmp_eq_u32_e64 s7, 0, v3
	v_cndmask_b32_e64 v103, v10, v2, s7
; %bb.421:                              ;   in Loop: Header=BB10_389 Depth=2
	s_or_b32 exec_lo, exec_lo, s24
	global_load_b128 v[10:13], v[16:17], off th:TH_LOAD_NT
	v_and_b32_e32 v2, 0xffff0000, v112
                                        ; implicit-def: $vgpr112
	s_wait_loadcnt 0x0
	v_lshlrev_b32_e32 v3, 16, v10
	s_delay_alu instid0(VALU_DEP_1) | instskip(NEXT) | instid1(VALU_DEP_1)
	v_add_f32_e32 v2, v2, v3
	v_and_b32_e32 v3, 0x7f800000, v2
	s_delay_alu instid0(VALU_DEP_1) | instskip(SKIP_2) | instid1(SALU_CYCLE_1)
	v_cmp_ne_u32_e64 s7, 0x7f800000, v3
	s_wait_xcnt 0x0
	s_and_saveexec_b32 s24, s7
	s_xor_b32 s7, exec_lo, s24
; %bb.422:                              ;   in Loop: Header=BB10_389 Depth=2
	v_bfe_u32 v3, v2, 16, 1
	s_delay_alu instid0(VALU_DEP_1)
	v_add3_u32 v112, v2, v3, 0x7fff
                                        ; implicit-def: $vgpr2
; %bb.423:                              ;   in Loop: Header=BB10_389 Depth=2
	s_and_not1_saveexec_b32 s24, s7
; %bb.424:                              ;   in Loop: Header=BB10_389 Depth=2
	v_and_b32_e32 v3, 0xffff, v2
	v_or_b32_e32 v112, 0x10000, v2
	s_delay_alu instid0(VALU_DEP_2) | instskip(NEXT) | instid1(VALU_DEP_1)
	v_cmp_eq_u32_e64 s7, 0, v3
	v_cndmask_b32_e64 v112, v112, v2, s7
; %bb.425:                              ;   in Loop: Header=BB10_389 Depth=2
	s_or_b32 exec_lo, exec_lo, s24
	v_and_b32_e32 v2, 0xffff0000, v44
	v_and_b32_e32 v3, 0xffff0000, v10
	s_delay_alu instid0(VALU_DEP_1) | instskip(NEXT) | instid1(VALU_DEP_1)
	v_add_f32_e32 v3, v2, v3
	v_and_b32_e32 v2, 0x7f800000, v3
	s_delay_alu instid0(VALU_DEP_1) | instskip(SKIP_1) | instid1(SALU_CYCLE_1)
	v_cmp_ne_u32_e64 s7, 0x7f800000, v2
                                        ; implicit-def: $vgpr2
	s_and_saveexec_b32 s24, s7
	s_xor_b32 s7, exec_lo, s24
; %bb.426:                              ;   in Loop: Header=BB10_389 Depth=2
	v_bfe_u32 v2, v3, 16, 1
	s_delay_alu instid0(VALU_DEP_1)
	v_add3_u32 v2, v3, v2, 0x7fff
                                        ; implicit-def: $vgpr3
; %bb.427:                              ;   in Loop: Header=BB10_389 Depth=2
	s_and_not1_saveexec_b32 s24, s7
; %bb.428:                              ;   in Loop: Header=BB10_389 Depth=2
	v_and_b32_e32 v2, 0xffff, v3
	v_or_b32_e32 v10, 0x10000, v3
	s_delay_alu instid0(VALU_DEP_2) | instskip(NEXT) | instid1(VALU_DEP_1)
	v_cmp_eq_u32_e64 s7, 0, v2
	v_cndmask_b32_e64 v2, v10, v3, s7
; %bb.429:                              ;   in Loop: Header=BB10_389 Depth=2
	s_or_b32 exec_lo, exec_lo, s24
	v_and_b32_e32 v3, 0xffff0000, v43
	v_lshlrev_b32_e32 v10, 16, v11
	s_delay_alu instid0(VALU_DEP_1) | instskip(NEXT) | instid1(VALU_DEP_1)
	v_add_f32_e32 v10, v3, v10
	v_and_b32_e32 v3, 0x7f800000, v10
	s_delay_alu instid0(VALU_DEP_1) | instskip(SKIP_1) | instid1(SALU_CYCLE_1)
	v_cmp_ne_u32_e64 s7, 0x7f800000, v3
                                        ; implicit-def: $vgpr3
	s_and_saveexec_b32 s24, s7
	s_xor_b32 s7, exec_lo, s24
; %bb.430:                              ;   in Loop: Header=BB10_389 Depth=2
	v_bfe_u32 v3, v10, 16, 1
	s_delay_alu instid0(VALU_DEP_1)
	v_add3_u32 v3, v10, v3, 0x7fff
                                        ; implicit-def: $vgpr10
; %bb.431:                              ;   in Loop: Header=BB10_389 Depth=2
	s_and_not1_saveexec_b32 s24, s7
; %bb.432:                              ;   in Loop: Header=BB10_389 Depth=2
	v_and_b32_e32 v3, 0xffff, v10
	v_or_b32_e32 v116, 0x10000, v10
	s_delay_alu instid0(VALU_DEP_2) | instskip(NEXT) | instid1(VALU_DEP_1)
	v_cmp_eq_u32_e64 s7, 0, v3
	v_cndmask_b32_e64 v3, v116, v10, s7
; %bb.433:                              ;   in Loop: Header=BB10_389 Depth=2
	s_or_b32 exec_lo, exec_lo, s24
	v_and_b32_e32 v10, 0xffff0000, v42
	v_and_b32_e32 v11, 0xffff0000, v11
	s_delay_alu instid0(VALU_DEP_1) | instskip(NEXT) | instid1(VALU_DEP_1)
	v_add_f32_e32 v11, v10, v11
	v_and_b32_e32 v10, 0x7f800000, v11
	s_delay_alu instid0(VALU_DEP_1) | instskip(SKIP_1) | instid1(SALU_CYCLE_1)
	v_cmp_ne_u32_e64 s7, 0x7f800000, v10
                                        ; implicit-def: $vgpr10
	s_and_saveexec_b32 s24, s7
	s_xor_b32 s7, exec_lo, s24
; %bb.434:                              ;   in Loop: Header=BB10_389 Depth=2
	v_bfe_u32 v10, v11, 16, 1
	s_delay_alu instid0(VALU_DEP_1)
	v_add3_u32 v10, v11, v10, 0x7fff
                                        ; implicit-def: $vgpr11
; %bb.435:                              ;   in Loop: Header=BB10_389 Depth=2
	s_and_not1_saveexec_b32 s24, s7
; %bb.436:                              ;   in Loop: Header=BB10_389 Depth=2
	v_and_b32_e32 v10, 0xffff, v11
	v_or_b32_e32 v116, 0x10000, v11
	s_delay_alu instid0(VALU_DEP_2) | instskip(NEXT) | instid1(VALU_DEP_1)
	v_cmp_eq_u32_e64 s7, 0, v10
	v_cndmask_b32_e64 v10, v116, v11, s7
; %bb.437:                              ;   in Loop: Header=BB10_389 Depth=2
	s_or_b32 exec_lo, exec_lo, s24
	v_and_b32_e32 v11, 0xffff0000, v115
	v_lshlrev_b32_e32 v115, 16, v12
	s_delay_alu instid0(VALU_DEP_1) | instskip(NEXT) | instid1(VALU_DEP_1)
	v_add_f32_e32 v115, v11, v115
	v_and_b32_e32 v11, 0x7f800000, v115
	s_delay_alu instid0(VALU_DEP_1) | instskip(SKIP_1) | instid1(SALU_CYCLE_1)
	v_cmp_ne_u32_e64 s7, 0x7f800000, v11
                                        ; implicit-def: $vgpr11
	s_and_saveexec_b32 s24, s7
	s_xor_b32 s7, exec_lo, s24
; %bb.438:                              ;   in Loop: Header=BB10_389 Depth=2
	v_bfe_u32 v11, v115, 16, 1
	s_delay_alu instid0(VALU_DEP_1)
	v_add3_u32 v11, v115, v11, 0x7fff
                                        ; implicit-def: $vgpr115
; %bb.439:                              ;   in Loop: Header=BB10_389 Depth=2
	s_and_not1_saveexec_b32 s24, s7
; %bb.440:                              ;   in Loop: Header=BB10_389 Depth=2
	v_and_b32_e32 v11, 0xffff, v115
	v_or_b32_e32 v116, 0x10000, v115
	s_delay_alu instid0(VALU_DEP_2) | instskip(NEXT) | instid1(VALU_DEP_1)
	v_cmp_eq_u32_e64 s7, 0, v11
	v_cndmask_b32_e64 v11, v116, v115, s7
; %bb.441:                              ;   in Loop: Header=BB10_389 Depth=2
	s_or_b32 exec_lo, exec_lo, s24
	v_and_b32_e32 v114, 0xffff0000, v114
	v_and_b32_e32 v12, 0xffff0000, v12
	s_delay_alu instid0(VALU_DEP_1) | instskip(NEXT) | instid1(VALU_DEP_1)
	v_add_f32_e32 v114, v114, v12
	v_and_b32_e32 v12, 0x7f800000, v114
	s_delay_alu instid0(VALU_DEP_1) | instskip(SKIP_1) | instid1(SALU_CYCLE_1)
	v_cmp_ne_u32_e64 s7, 0x7f800000, v12
                                        ; implicit-def: $vgpr12
	s_and_saveexec_b32 s24, s7
	s_xor_b32 s7, exec_lo, s24
; %bb.442:                              ;   in Loop: Header=BB10_389 Depth=2
	v_bfe_u32 v12, v114, 16, 1
	s_delay_alu instid0(VALU_DEP_1)
	v_add3_u32 v12, v114, v12, 0x7fff
                                        ; implicit-def: $vgpr114
; %bb.443:                              ;   in Loop: Header=BB10_389 Depth=2
	s_and_not1_saveexec_b32 s24, s7
; %bb.444:                              ;   in Loop: Header=BB10_389 Depth=2
	v_and_b32_e32 v12, 0xffff, v114
	v_or_b32_e32 v115, 0x10000, v114
	s_delay_alu instid0(VALU_DEP_2) | instskip(NEXT) | instid1(VALU_DEP_1)
	v_cmp_eq_u32_e64 s7, 0, v12
	v_cndmask_b32_e64 v12, v115, v114, s7
; %bb.445:                              ;   in Loop: Header=BB10_389 Depth=2
	s_or_b32 exec_lo, exec_lo, s24
	v_and_b32_e32 v113, 0xffff0000, v113
	v_lshlrev_b32_e32 v114, 16, v13
	s_delay_alu instid0(VALU_DEP_1) | instskip(NEXT) | instid1(VALU_DEP_1)
	v_add_f32_e32 v114, v113, v114
	v_and_b32_e32 v113, 0x7f800000, v114
	s_delay_alu instid0(VALU_DEP_1) | instskip(SKIP_1) | instid1(SALU_CYCLE_1)
	v_cmp_ne_u32_e64 s7, 0x7f800000, v113
                                        ; implicit-def: $vgpr113
	s_and_saveexec_b32 s24, s7
	s_xor_b32 s7, exec_lo, s24
; %bb.446:                              ;   in Loop: Header=BB10_389 Depth=2
	v_bfe_u32 v113, v114, 16, 1
	s_delay_alu instid0(VALU_DEP_1)
	v_add3_u32 v113, v114, v113, 0x7fff
                                        ; implicit-def: $vgpr114
; %bb.447:                              ;   in Loop: Header=BB10_389 Depth=2
	s_and_not1_saveexec_b32 s24, s7
; %bb.448:                              ;   in Loop: Header=BB10_389 Depth=2
	v_and_b32_e32 v113, 0xffff, v114
	v_or_b32_e32 v115, 0x10000, v114
	s_delay_alu instid0(VALU_DEP_2) | instskip(NEXT) | instid1(VALU_DEP_1)
	v_cmp_eq_u32_e64 s7, 0, v113
	v_cndmask_b32_e64 v113, v115, v114, s7
; %bb.449:                              ;   in Loop: Header=BB10_389 Depth=2
	s_or_b32 exec_lo, exec_lo, s24
	v_and_b32_e32 v103, 0xffff0000, v103
	v_and_b32_e32 v13, 0xffff0000, v13
	s_delay_alu instid0(VALU_DEP_1) | instskip(NEXT) | instid1(VALU_DEP_1)
	v_add_f32_e32 v103, v103, v13
	v_and_b32_e32 v13, 0x7f800000, v103
	s_delay_alu instid0(VALU_DEP_1) | instskip(SKIP_1) | instid1(SALU_CYCLE_1)
	v_cmp_ne_u32_e64 s7, 0x7f800000, v13
                                        ; implicit-def: $vgpr13
	s_and_saveexec_b32 s24, s7
	s_xor_b32 s7, exec_lo, s24
; %bb.450:                              ;   in Loop: Header=BB10_389 Depth=2
	v_bfe_u32 v13, v103, 16, 1
	s_delay_alu instid0(VALU_DEP_1)
	v_add3_u32 v13, v103, v13, 0x7fff
                                        ; implicit-def: $vgpr103
; %bb.451:                              ;   in Loop: Header=BB10_389 Depth=2
	s_and_not1_saveexec_b32 s24, s7
	s_cbranch_execz .LBB10_388
; %bb.452:                              ;   in Loop: Header=BB10_389 Depth=2
	v_and_b32_e32 v13, 0xffff, v103
	v_or_b32_e32 v114, 0x10000, v103
	s_delay_alu instid0(VALU_DEP_2) | instskip(NEXT) | instid1(VALU_DEP_1)
	v_cmp_eq_u32_e64 s7, 0, v13
	v_cndmask_b32_e64 v13, v114, v103, s7
	s_branch .LBB10_388
.LBB10_453:                             ;   in Loop: Header=BB10_49 Depth=1
	s_or_b32 exec_lo, exec_lo, s23
.LBB10_454:                             ;   in Loop: Header=BB10_49 Depth=1
	s_delay_alu instid0(SALU_CYCLE_1) | instskip(NEXT) | instid1(VALU_DEP_2)
	s_or_b32 exec_lo, exec_lo, s22
	v_cmp_lt_i32_e64 s7, 0, v24
	s_delay_alu instid0(VALU_DEP_1) | instskip(NEXT) | instid1(VALU_DEP_1)
	v_dual_cndmask_b32 v10, 0, v64, s7 :: v_dual_bitop2_b32 v2, 14, v41 bitop3:0x40
	v_dual_sub_nc_u32 v3, v23, v2 :: v_dual_cndmask_b32 v41, v23, v2, vcc_lo
	s_delay_alu instid0(VALU_DEP_1) | instskip(NEXT) | instid1(VALU_DEP_2)
	v_dual_cndmask_b32 v2, 0, v3 :: v_dual_sub_nc_u32 v3, v10, v24
	v_cmp_ne_u32_e32 vcc_lo, 0, v41
	s_delay_alu instid0(VALU_DEP_2) | instskip(NEXT) | instid1(VALU_DEP_3)
	v_add3_u32 v16, v22, v20, v2
	v_lshl_add_u32 v17, v3, 5, v21
	s_and_b32 s22, vcc_lo, exec_lo
.LBB10_455:                             ;   in Loop: Header=BB10_49 Depth=1
	s_or_b32 exec_lo, exec_lo, s21
	s_and_saveexec_b32 s7, s22
	s_cbranch_execz .LBB10_600
.LBB10_456:                             ;   in Loop: Header=BB10_49 Depth=1
	v_ashrrev_i32_e32 v3, 31, v41
	v_ashrrev_i32_e32 v2, 31, v17
	s_mov_b32 s21, exec_lo
	s_delay_alu instid0(VALU_DEP_1) | instskip(NEXT) | instid1(VALU_DEP_1)
	v_dual_lshrrev_b32 v3, 22, v3 :: v_dual_lshrrev_b32 v2, 27, v2
	v_add_nc_u32_e32 v3, v41, v3
	s_delay_alu instid0(VALU_DEP_1) | instskip(NEXT) | instid1(VALU_DEP_1)
	v_dual_add_nc_u32 v2, v17, v2 :: v_dual_ashrrev_i32 v20, 10, v3
	v_ashrrev_i32_e32 v18, 5, v2
	s_delay_alu instid0(VALU_DEP_1) | instskip(NEXT) | instid1(VALU_DEP_1)
	v_sub_nc_u32_e32 v19, v20, v18
	v_cmpx_lt_i32_e32 0, v19
	s_cbranch_execz .LBB10_588
; %bb.457:                              ;   in Loop: Header=BB10_49 Depth=1
	v_and_b32_e32 v2, 0x7fffffe0, v2
	s_trap 2
	v_lshlrev_b32_e32 v11, 10, v18
	v_add_nc_u64_e32 v[22:23], 0x3c0, v[100:101]
	s_mov_b32 s22, 0
	v_sub_nc_u32_e32 v10, v17, v2
	ds_load_b64 v[2:3], v0
	ds_load_b32 v21, v0
	s_wait_dscnt 0x0
	v_dual_lshlrev_b32 v21, 16, v21 :: v_dual_lshlrev_b32 v10, 1, v10
	s_delay_alu instid0(VALU_DEP_1) | instskip(NEXT) | instid1(VALU_DEP_1)
	v_add3_u32 v14, v10, v16, v11
	v_ashrrev_i32_e32 v15, 31, v14
	s_delay_alu instid0(VALU_DEP_1)
	v_add_nc_u64_e32 v[10:11], v[14:15], v[98:99]
	v_add_nc_u64_e32 v[12:13], v[2:3], v[14:15]
	;; [unrolled: 1-line block ×3, first 2 shown]
	s_branch .LBB10_459
.LBB10_458:                             ;   in Loop: Header=BB10_459 Depth=2
	s_or_b32 exec_lo, exec_lo, s23
	v_sub_nc_u32_e32 v19, v19, v64
	s_clause 0xf
	flat_store_d16_hi_b16 v[14:15], v22 offset:-960 th:TH_STORE_NT
	flat_store_d16_hi_b16 v[14:15], v23 offset:-896 th:TH_STORE_NT
	;; [unrolled: 1-line block ×15, first 2 shown]
	flat_store_d16_hi_b16 v[14:15], v44 th:TH_STORE_NT
	v_add_nc_u64_e32 v[10:11], v[10:11], v[80:81]
	v_add_nc_u64_e32 v[12:13], v[12:13], v[80:81]
	v_cmp_gt_i32_e32 vcc_lo, 1, v19
	s_wait_xcnt 0x0
	v_add_nc_u64_e32 v[14:15], v[14:15], v[80:81]
	s_or_b32 s22, vcc_lo, s22
	s_delay_alu instid0(SALU_CYCLE_1)
	s_and_not1_b32 exec_lo, exec_lo, s22
	s_cbranch_execz .LBB10_587
.LBB10_459:                             ;   Parent Loop BB10_49 Depth=1
                                        ; =>  This Inner Loop Header: Depth=2
	flat_load_u16 v2, v[10:11] th:TH_LOAD_NT
	s_mov_b32 s23, exec_lo
                                        ; implicit-def: $vgpr22
	s_wait_loadcnt_dscnt 0x0
	v_lshlrev_b32_e32 v2, 16, v2
	s_delay_alu instid0(VALU_DEP_1) | instskip(NEXT) | instid1(VALU_DEP_1)
	v_mul_f32_e32 v2, v21, v2
	v_and_b32_e32 v3, 0x7f800000, v2
	s_wait_xcnt 0x0
	s_delay_alu instid0(VALU_DEP_1)
	v_cmpx_ne_u32_e32 0x7f800000, v3
	s_xor_b32 s23, exec_lo, s23
; %bb.460:                              ;   in Loop: Header=BB10_459 Depth=2
	v_bfe_u32 v3, v2, 16, 1
	s_delay_alu instid0(VALU_DEP_1)
	v_add3_u32 v22, v2, v3, 0x7fff
                                        ; implicit-def: $vgpr2
; %bb.461:                              ;   in Loop: Header=BB10_459 Depth=2
	s_and_not1_saveexec_b32 s23, s23
; %bb.462:                              ;   in Loop: Header=BB10_459 Depth=2
	v_and_b32_e32 v3, 0xffff, v2
	v_or_b32_e32 v22, 0x10000, v2
	s_delay_alu instid0(VALU_DEP_2) | instskip(NEXT) | instid1(VALU_DEP_2)
	v_cmp_eq_u32_e32 vcc_lo, 0, v3
	v_cndmask_b32_e32 v22, v22, v2, vcc_lo
; %bb.463:                              ;   in Loop: Header=BB10_459 Depth=2
	s_or_b32 exec_lo, exec_lo, s23
	flat_load_u16 v2, v[10:11] offset:64 th:TH_LOAD_NT
	s_mov_b32 s23, exec_lo
                                        ; implicit-def: $vgpr23
	s_wait_loadcnt_dscnt 0x0
	v_lshlrev_b32_e32 v2, 16, v2
	s_delay_alu instid0(VALU_DEP_1) | instskip(NEXT) | instid1(VALU_DEP_1)
	v_mul_f32_e32 v2, v21, v2
	v_and_b32_e32 v3, 0x7f800000, v2
	s_wait_xcnt 0x0
	s_delay_alu instid0(VALU_DEP_1)
	v_cmpx_ne_u32_e32 0x7f800000, v3
	s_xor_b32 s23, exec_lo, s23
; %bb.464:                              ;   in Loop: Header=BB10_459 Depth=2
	v_bfe_u32 v3, v2, 16, 1
	s_delay_alu instid0(VALU_DEP_1)
	v_add3_u32 v23, v2, v3, 0x7fff
                                        ; implicit-def: $vgpr2
; %bb.465:                              ;   in Loop: Header=BB10_459 Depth=2
	s_and_not1_saveexec_b32 s23, s23
; %bb.466:                              ;   in Loop: Header=BB10_459 Depth=2
	v_and_b32_e32 v3, 0xffff, v2
	v_or_b32_e32 v23, 0x10000, v2
	s_delay_alu instid0(VALU_DEP_2) | instskip(NEXT) | instid1(VALU_DEP_2)
	v_cmp_eq_u32_e32 vcc_lo, 0, v3
	v_cndmask_b32_e32 v23, v23, v2, vcc_lo
; %bb.467:                              ;   in Loop: Header=BB10_459 Depth=2
	s_or_b32 exec_lo, exec_lo, s23
	flat_load_u16 v2, v[10:11] offset:128 th:TH_LOAD_NT
	s_mov_b32 s23, exec_lo
                                        ; implicit-def: $vgpr24
	s_wait_loadcnt_dscnt 0x0
	v_lshlrev_b32_e32 v2, 16, v2
	s_delay_alu instid0(VALU_DEP_1) | instskip(NEXT) | instid1(VALU_DEP_1)
	v_mul_f32_e32 v2, v21, v2
	v_and_b32_e32 v3, 0x7f800000, v2
	s_wait_xcnt 0x0
	s_delay_alu instid0(VALU_DEP_1)
	v_cmpx_ne_u32_e32 0x7f800000, v3
	s_xor_b32 s23, exec_lo, s23
; %bb.468:                              ;   in Loop: Header=BB10_459 Depth=2
	v_bfe_u32 v3, v2, 16, 1
	s_delay_alu instid0(VALU_DEP_1)
	v_add3_u32 v24, v2, v3, 0x7fff
                                        ; implicit-def: $vgpr2
; %bb.469:                              ;   in Loop: Header=BB10_459 Depth=2
	s_and_not1_saveexec_b32 s23, s23
; %bb.470:                              ;   in Loop: Header=BB10_459 Depth=2
	v_and_b32_e32 v3, 0xffff, v2
	v_or_b32_e32 v24, 0x10000, v2
	s_delay_alu instid0(VALU_DEP_2) | instskip(NEXT) | instid1(VALU_DEP_2)
	v_cmp_eq_u32_e32 vcc_lo, 0, v3
	v_cndmask_b32_e32 v24, v24, v2, vcc_lo
; %bb.471:                              ;   in Loop: Header=BB10_459 Depth=2
	s_or_b32 exec_lo, exec_lo, s23
	flat_load_u16 v2, v[10:11] offset:192 th:TH_LOAD_NT
	s_mov_b32 s23, exec_lo
                                        ; implicit-def: $vgpr25
	s_wait_loadcnt_dscnt 0x0
	v_lshlrev_b32_e32 v2, 16, v2
	s_delay_alu instid0(VALU_DEP_1) | instskip(NEXT) | instid1(VALU_DEP_1)
	v_mul_f32_e32 v2, v21, v2
	v_and_b32_e32 v3, 0x7f800000, v2
	s_wait_xcnt 0x0
	s_delay_alu instid0(VALU_DEP_1)
	v_cmpx_ne_u32_e32 0x7f800000, v3
	s_xor_b32 s23, exec_lo, s23
; %bb.472:                              ;   in Loop: Header=BB10_459 Depth=2
	v_bfe_u32 v3, v2, 16, 1
	s_delay_alu instid0(VALU_DEP_1)
	v_add3_u32 v25, v2, v3, 0x7fff
                                        ; implicit-def: $vgpr2
; %bb.473:                              ;   in Loop: Header=BB10_459 Depth=2
	s_and_not1_saveexec_b32 s23, s23
; %bb.474:                              ;   in Loop: Header=BB10_459 Depth=2
	v_and_b32_e32 v3, 0xffff, v2
	v_or_b32_e32 v25, 0x10000, v2
	s_delay_alu instid0(VALU_DEP_2) | instskip(NEXT) | instid1(VALU_DEP_2)
	v_cmp_eq_u32_e32 vcc_lo, 0, v3
	v_cndmask_b32_e32 v25, v25, v2, vcc_lo
; %bb.475:                              ;   in Loop: Header=BB10_459 Depth=2
	s_or_b32 exec_lo, exec_lo, s23
	flat_load_u16 v2, v[10:11] offset:256 th:TH_LOAD_NT
	s_mov_b32 s23, exec_lo
                                        ; implicit-def: $vgpr102
	s_wait_loadcnt_dscnt 0x0
	v_lshlrev_b32_e32 v2, 16, v2
	s_delay_alu instid0(VALU_DEP_1) | instskip(NEXT) | instid1(VALU_DEP_1)
	v_mul_f32_e32 v2, v21, v2
	v_and_b32_e32 v3, 0x7f800000, v2
	s_wait_xcnt 0x0
	s_delay_alu instid0(VALU_DEP_1)
	v_cmpx_ne_u32_e32 0x7f800000, v3
	s_xor_b32 s23, exec_lo, s23
; %bb.476:                              ;   in Loop: Header=BB10_459 Depth=2
	v_bfe_u32 v3, v2, 16, 1
	s_delay_alu instid0(VALU_DEP_1)
	v_add3_u32 v102, v2, v3, 0x7fff
                                        ; implicit-def: $vgpr2
; %bb.477:                              ;   in Loop: Header=BB10_459 Depth=2
	s_and_not1_saveexec_b32 s23, s23
; %bb.478:                              ;   in Loop: Header=BB10_459 Depth=2
	v_and_b32_e32 v3, 0xffff, v2
	v_or_b32_e32 v102, 0x10000, v2
	s_delay_alu instid0(VALU_DEP_2) | instskip(NEXT) | instid1(VALU_DEP_2)
	v_cmp_eq_u32_e32 vcc_lo, 0, v3
	v_cndmask_b32_e32 v102, v102, v2, vcc_lo
; %bb.479:                              ;   in Loop: Header=BB10_459 Depth=2
	s_or_b32 exec_lo, exec_lo, s23
	flat_load_u16 v2, v[10:11] offset:320 th:TH_LOAD_NT
	s_mov_b32 s23, exec_lo
                                        ; implicit-def: $vgpr103
	s_wait_loadcnt_dscnt 0x0
	v_lshlrev_b32_e32 v2, 16, v2
	s_delay_alu instid0(VALU_DEP_1) | instskip(NEXT) | instid1(VALU_DEP_1)
	v_mul_f32_e32 v2, v21, v2
	v_and_b32_e32 v3, 0x7f800000, v2
	s_wait_xcnt 0x0
	s_delay_alu instid0(VALU_DEP_1)
	v_cmpx_ne_u32_e32 0x7f800000, v3
	s_xor_b32 s23, exec_lo, s23
; %bb.480:                              ;   in Loop: Header=BB10_459 Depth=2
	v_bfe_u32 v3, v2, 16, 1
	s_delay_alu instid0(VALU_DEP_1)
	v_add3_u32 v103, v2, v3, 0x7fff
                                        ; implicit-def: $vgpr2
; %bb.481:                              ;   in Loop: Header=BB10_459 Depth=2
	s_and_not1_saveexec_b32 s23, s23
; %bb.482:                              ;   in Loop: Header=BB10_459 Depth=2
	v_and_b32_e32 v3, 0xffff, v2
	v_or_b32_e32 v103, 0x10000, v2
	s_delay_alu instid0(VALU_DEP_2) | instskip(NEXT) | instid1(VALU_DEP_2)
	v_cmp_eq_u32_e32 vcc_lo, 0, v3
	v_cndmask_b32_e32 v103, v103, v2, vcc_lo
; %bb.483:                              ;   in Loop: Header=BB10_459 Depth=2
	s_or_b32 exec_lo, exec_lo, s23
	flat_load_u16 v2, v[10:11] offset:384 th:TH_LOAD_NT
	s_mov_b32 s23, exec_lo
                                        ; implicit-def: $vgpr112
	s_wait_loadcnt_dscnt 0x0
	v_lshlrev_b32_e32 v2, 16, v2
	s_delay_alu instid0(VALU_DEP_1) | instskip(NEXT) | instid1(VALU_DEP_1)
	v_mul_f32_e32 v2, v21, v2
	v_and_b32_e32 v3, 0x7f800000, v2
	s_wait_xcnt 0x0
	s_delay_alu instid0(VALU_DEP_1)
	v_cmpx_ne_u32_e32 0x7f800000, v3
	s_xor_b32 s23, exec_lo, s23
; %bb.484:                              ;   in Loop: Header=BB10_459 Depth=2
	v_bfe_u32 v3, v2, 16, 1
	s_delay_alu instid0(VALU_DEP_1)
	v_add3_u32 v112, v2, v3, 0x7fff
                                        ; implicit-def: $vgpr2
; %bb.485:                              ;   in Loop: Header=BB10_459 Depth=2
	s_and_not1_saveexec_b32 s23, s23
; %bb.486:                              ;   in Loop: Header=BB10_459 Depth=2
	v_and_b32_e32 v3, 0xffff, v2
	v_or_b32_e32 v112, 0x10000, v2
	s_delay_alu instid0(VALU_DEP_2) | instskip(NEXT) | instid1(VALU_DEP_2)
	v_cmp_eq_u32_e32 vcc_lo, 0, v3
	v_cndmask_b32_e32 v112, v112, v2, vcc_lo
; %bb.487:                              ;   in Loop: Header=BB10_459 Depth=2
	s_or_b32 exec_lo, exec_lo, s23
	flat_load_u16 v2, v[10:11] offset:448 th:TH_LOAD_NT
	s_mov_b32 s23, exec_lo
                                        ; implicit-def: $vgpr113
	s_wait_loadcnt_dscnt 0x0
	v_lshlrev_b32_e32 v2, 16, v2
	s_delay_alu instid0(VALU_DEP_1) | instskip(NEXT) | instid1(VALU_DEP_1)
	v_mul_f32_e32 v2, v21, v2
	v_and_b32_e32 v3, 0x7f800000, v2
	s_wait_xcnt 0x0
	s_delay_alu instid0(VALU_DEP_1)
	v_cmpx_ne_u32_e32 0x7f800000, v3
	s_xor_b32 s23, exec_lo, s23
; %bb.488:                              ;   in Loop: Header=BB10_459 Depth=2
	v_bfe_u32 v3, v2, 16, 1
	s_delay_alu instid0(VALU_DEP_1)
	v_add3_u32 v113, v2, v3, 0x7fff
                                        ; implicit-def: $vgpr2
; %bb.489:                              ;   in Loop: Header=BB10_459 Depth=2
	s_and_not1_saveexec_b32 s23, s23
; %bb.490:                              ;   in Loop: Header=BB10_459 Depth=2
	v_and_b32_e32 v3, 0xffff, v2
	v_or_b32_e32 v113, 0x10000, v2
	s_delay_alu instid0(VALU_DEP_2) | instskip(NEXT) | instid1(VALU_DEP_2)
	v_cmp_eq_u32_e32 vcc_lo, 0, v3
	v_cndmask_b32_e32 v113, v113, v2, vcc_lo
; %bb.491:                              ;   in Loop: Header=BB10_459 Depth=2
	s_or_b32 exec_lo, exec_lo, s23
	flat_load_u16 v2, v[10:11] offset:512 th:TH_LOAD_NT
	s_mov_b32 s23, exec_lo
                                        ; implicit-def: $vgpr114
	s_wait_loadcnt_dscnt 0x0
	v_lshlrev_b32_e32 v2, 16, v2
	s_delay_alu instid0(VALU_DEP_1) | instskip(NEXT) | instid1(VALU_DEP_1)
	v_mul_f32_e32 v2, v21, v2
	v_and_b32_e32 v3, 0x7f800000, v2
	s_wait_xcnt 0x0
	s_delay_alu instid0(VALU_DEP_1)
	v_cmpx_ne_u32_e32 0x7f800000, v3
	s_xor_b32 s23, exec_lo, s23
; %bb.492:                              ;   in Loop: Header=BB10_459 Depth=2
	v_bfe_u32 v3, v2, 16, 1
	s_delay_alu instid0(VALU_DEP_1)
	v_add3_u32 v114, v2, v3, 0x7fff
                                        ; implicit-def: $vgpr2
; %bb.493:                              ;   in Loop: Header=BB10_459 Depth=2
	s_and_not1_saveexec_b32 s23, s23
; %bb.494:                              ;   in Loop: Header=BB10_459 Depth=2
	v_and_b32_e32 v3, 0xffff, v2
	v_or_b32_e32 v114, 0x10000, v2
	s_delay_alu instid0(VALU_DEP_2) | instskip(NEXT) | instid1(VALU_DEP_2)
	v_cmp_eq_u32_e32 vcc_lo, 0, v3
	v_cndmask_b32_e32 v114, v114, v2, vcc_lo
; %bb.495:                              ;   in Loop: Header=BB10_459 Depth=2
	s_or_b32 exec_lo, exec_lo, s23
	flat_load_u16 v2, v[10:11] offset:576 th:TH_LOAD_NT
	s_mov_b32 s23, exec_lo
                                        ; implicit-def: $vgpr115
	s_wait_loadcnt_dscnt 0x0
	v_lshlrev_b32_e32 v2, 16, v2
	s_delay_alu instid0(VALU_DEP_1) | instskip(NEXT) | instid1(VALU_DEP_1)
	v_mul_f32_e32 v2, v21, v2
	v_and_b32_e32 v3, 0x7f800000, v2
	s_wait_xcnt 0x0
	s_delay_alu instid0(VALU_DEP_1)
	v_cmpx_ne_u32_e32 0x7f800000, v3
	s_xor_b32 s23, exec_lo, s23
; %bb.496:                              ;   in Loop: Header=BB10_459 Depth=2
	v_bfe_u32 v3, v2, 16, 1
	s_delay_alu instid0(VALU_DEP_1)
	v_add3_u32 v115, v2, v3, 0x7fff
                                        ; implicit-def: $vgpr2
; %bb.497:                              ;   in Loop: Header=BB10_459 Depth=2
	s_and_not1_saveexec_b32 s23, s23
; %bb.498:                              ;   in Loop: Header=BB10_459 Depth=2
	v_and_b32_e32 v3, 0xffff, v2
	v_or_b32_e32 v115, 0x10000, v2
	s_delay_alu instid0(VALU_DEP_2) | instskip(NEXT) | instid1(VALU_DEP_2)
	v_cmp_eq_u32_e32 vcc_lo, 0, v3
	v_cndmask_b32_e32 v115, v115, v2, vcc_lo
; %bb.499:                              ;   in Loop: Header=BB10_459 Depth=2
	s_or_b32 exec_lo, exec_lo, s23
	flat_load_u16 v2, v[10:11] offset:640 th:TH_LOAD_NT
	s_mov_b32 s23, exec_lo
                                        ; implicit-def: $vgpr42
	s_wait_loadcnt_dscnt 0x0
	v_lshlrev_b32_e32 v2, 16, v2
	s_delay_alu instid0(VALU_DEP_1) | instskip(NEXT) | instid1(VALU_DEP_1)
	v_mul_f32_e32 v2, v21, v2
	v_and_b32_e32 v3, 0x7f800000, v2
	s_wait_xcnt 0x0
	s_delay_alu instid0(VALU_DEP_1)
	v_cmpx_ne_u32_e32 0x7f800000, v3
	s_xor_b32 s23, exec_lo, s23
; %bb.500:                              ;   in Loop: Header=BB10_459 Depth=2
	v_bfe_u32 v3, v2, 16, 1
	s_delay_alu instid0(VALU_DEP_1)
	v_add3_u32 v42, v2, v3, 0x7fff
                                        ; implicit-def: $vgpr2
; %bb.501:                              ;   in Loop: Header=BB10_459 Depth=2
	s_and_not1_saveexec_b32 s23, s23
; %bb.502:                              ;   in Loop: Header=BB10_459 Depth=2
	v_and_b32_e32 v3, 0xffff, v2
	v_or_b32_e32 v116, 0x10000, v2
	s_delay_alu instid0(VALU_DEP_2) | instskip(NEXT) | instid1(VALU_DEP_2)
	v_cmp_eq_u32_e32 vcc_lo, 0, v3
	v_cndmask_b32_e32 v42, v116, v2, vcc_lo
; %bb.503:                              ;   in Loop: Header=BB10_459 Depth=2
	s_or_b32 exec_lo, exec_lo, s23
	flat_load_u16 v2, v[10:11] offset:704 th:TH_LOAD_NT
	s_mov_b32 s23, exec_lo
                                        ; implicit-def: $vgpr43
	s_wait_loadcnt_dscnt 0x0
	v_lshlrev_b32_e32 v2, 16, v2
	s_delay_alu instid0(VALU_DEP_1) | instskip(NEXT) | instid1(VALU_DEP_1)
	v_mul_f32_e32 v2, v21, v2
	v_and_b32_e32 v3, 0x7f800000, v2
	s_wait_xcnt 0x0
	s_delay_alu instid0(VALU_DEP_1)
	v_cmpx_ne_u32_e32 0x7f800000, v3
	s_xor_b32 s23, exec_lo, s23
; %bb.504:                              ;   in Loop: Header=BB10_459 Depth=2
	v_bfe_u32 v3, v2, 16, 1
	s_delay_alu instid0(VALU_DEP_1)
	v_add3_u32 v43, v2, v3, 0x7fff
                                        ; implicit-def: $vgpr2
; %bb.505:                              ;   in Loop: Header=BB10_459 Depth=2
	s_and_not1_saveexec_b32 s23, s23
; %bb.506:                              ;   in Loop: Header=BB10_459 Depth=2
	v_and_b32_e32 v3, 0xffff, v2
	v_or_b32_e32 v116, 0x10000, v2
	s_delay_alu instid0(VALU_DEP_2) | instskip(NEXT) | instid1(VALU_DEP_2)
	v_cmp_eq_u32_e32 vcc_lo, 0, v3
	v_cndmask_b32_e32 v43, v116, v2, vcc_lo
; %bb.507:                              ;   in Loop: Header=BB10_459 Depth=2
	s_or_b32 exec_lo, exec_lo, s23
	flat_load_u16 v2, v[10:11] offset:768 th:TH_LOAD_NT
	s_mov_b32 s23, exec_lo
                                        ; implicit-def: $vgpr44
	s_wait_loadcnt_dscnt 0x0
	v_lshlrev_b32_e32 v2, 16, v2
	s_delay_alu instid0(VALU_DEP_1) | instskip(NEXT) | instid1(VALU_DEP_1)
	v_mul_f32_e32 v2, v21, v2
	v_and_b32_e32 v3, 0x7f800000, v2
	s_wait_xcnt 0x0
	s_delay_alu instid0(VALU_DEP_1)
	v_cmpx_ne_u32_e32 0x7f800000, v3
	s_xor_b32 s23, exec_lo, s23
; %bb.508:                              ;   in Loop: Header=BB10_459 Depth=2
	v_bfe_u32 v3, v2, 16, 1
	s_delay_alu instid0(VALU_DEP_1)
	v_add3_u32 v44, v2, v3, 0x7fff
                                        ; implicit-def: $vgpr2
; %bb.509:                              ;   in Loop: Header=BB10_459 Depth=2
	s_and_not1_saveexec_b32 s23, s23
; %bb.510:                              ;   in Loop: Header=BB10_459 Depth=2
	v_and_b32_e32 v3, 0xffff, v2
	v_or_b32_e32 v116, 0x10000, v2
	s_delay_alu instid0(VALU_DEP_2) | instskip(NEXT) | instid1(VALU_DEP_2)
	v_cmp_eq_u32_e32 vcc_lo, 0, v3
	v_cndmask_b32_e32 v44, v116, v2, vcc_lo
; %bb.511:                              ;   in Loop: Header=BB10_459 Depth=2
	s_or_b32 exec_lo, exec_lo, s23
	flat_load_u16 v2, v[10:11] offset:832 th:TH_LOAD_NT
	s_mov_b32 s23, exec_lo
                                        ; implicit-def: $vgpr45
	s_wait_loadcnt_dscnt 0x0
	v_lshlrev_b32_e32 v2, 16, v2
	s_delay_alu instid0(VALU_DEP_1) | instskip(NEXT) | instid1(VALU_DEP_1)
	v_mul_f32_e32 v2, v21, v2
	v_and_b32_e32 v3, 0x7f800000, v2
	s_wait_xcnt 0x0
	s_delay_alu instid0(VALU_DEP_1)
	v_cmpx_ne_u32_e32 0x7f800000, v3
	s_xor_b32 s23, exec_lo, s23
; %bb.512:                              ;   in Loop: Header=BB10_459 Depth=2
	v_bfe_u32 v3, v2, 16, 1
	s_delay_alu instid0(VALU_DEP_1)
	v_add3_u32 v45, v2, v3, 0x7fff
                                        ; implicit-def: $vgpr2
; %bb.513:                              ;   in Loop: Header=BB10_459 Depth=2
	s_and_not1_saveexec_b32 s23, s23
; %bb.514:                              ;   in Loop: Header=BB10_459 Depth=2
	v_and_b32_e32 v3, 0xffff, v2
	v_or_b32_e32 v116, 0x10000, v2
	s_delay_alu instid0(VALU_DEP_2) | instskip(NEXT) | instid1(VALU_DEP_2)
	v_cmp_eq_u32_e32 vcc_lo, 0, v3
	v_cndmask_b32_e32 v45, v116, v2, vcc_lo
; %bb.515:                              ;   in Loop: Header=BB10_459 Depth=2
	s_or_b32 exec_lo, exec_lo, s23
	flat_load_u16 v2, v[10:11] offset:896 th:TH_LOAD_NT
	s_mov_b32 s23, exec_lo
                                        ; implicit-def: $vgpr46
	s_wait_loadcnt_dscnt 0x0
	v_lshlrev_b32_e32 v2, 16, v2
	s_delay_alu instid0(VALU_DEP_1) | instskip(NEXT) | instid1(VALU_DEP_1)
	v_mul_f32_e32 v2, v21, v2
	v_and_b32_e32 v3, 0x7f800000, v2
	s_wait_xcnt 0x0
	s_delay_alu instid0(VALU_DEP_1)
	v_cmpx_ne_u32_e32 0x7f800000, v3
	s_xor_b32 s23, exec_lo, s23
; %bb.516:                              ;   in Loop: Header=BB10_459 Depth=2
	v_bfe_u32 v3, v2, 16, 1
	s_delay_alu instid0(VALU_DEP_1)
	v_add3_u32 v46, v2, v3, 0x7fff
                                        ; implicit-def: $vgpr2
; %bb.517:                              ;   in Loop: Header=BB10_459 Depth=2
	s_and_not1_saveexec_b32 s23, s23
; %bb.518:                              ;   in Loop: Header=BB10_459 Depth=2
	v_and_b32_e32 v3, 0xffff, v2
	v_or_b32_e32 v116, 0x10000, v2
	s_delay_alu instid0(VALU_DEP_2) | instskip(NEXT) | instid1(VALU_DEP_2)
	v_cmp_eq_u32_e32 vcc_lo, 0, v3
	v_cndmask_b32_e32 v46, v116, v2, vcc_lo
; %bb.519:                              ;   in Loop: Header=BB10_459 Depth=2
	s_or_b32 exec_lo, exec_lo, s23
	flat_load_u16 v2, v[10:11] offset:960 th:TH_LOAD_NT
	s_mov_b32 s23, exec_lo
                                        ; implicit-def: $vgpr47
	s_wait_loadcnt_dscnt 0x0
	v_lshlrev_b32_e32 v2, 16, v2
	s_delay_alu instid0(VALU_DEP_1) | instskip(NEXT) | instid1(VALU_DEP_1)
	v_mul_f32_e32 v2, v21, v2
	v_and_b32_e32 v3, 0x7f800000, v2
	s_wait_xcnt 0x0
	s_delay_alu instid0(VALU_DEP_1)
	v_cmpx_ne_u32_e32 0x7f800000, v3
	s_xor_b32 s23, exec_lo, s23
; %bb.520:                              ;   in Loop: Header=BB10_459 Depth=2
	v_bfe_u32 v3, v2, 16, 1
	s_delay_alu instid0(VALU_DEP_1)
	v_add3_u32 v47, v2, v3, 0x7fff
                                        ; implicit-def: $vgpr2
; %bb.521:                              ;   in Loop: Header=BB10_459 Depth=2
	s_and_not1_saveexec_b32 s23, s23
; %bb.522:                              ;   in Loop: Header=BB10_459 Depth=2
	v_and_b32_e32 v3, 0xffff, v2
	v_or_b32_e32 v116, 0x10000, v2
	s_delay_alu instid0(VALU_DEP_2) | instskip(NEXT) | instid1(VALU_DEP_2)
	v_cmp_eq_u32_e32 vcc_lo, 0, v3
	v_cndmask_b32_e32 v47, v116, v2, vcc_lo
; %bb.523:                              ;   in Loop: Header=BB10_459 Depth=2
	s_or_b32 exec_lo, exec_lo, s23
	s_clause 0xf
	flat_load_u16 v74, v[12:13] offset:128 th:TH_LOAD_NT
	flat_load_u16 v73, v[12:13] offset:192 th:TH_LOAD_NT
	;; [unrolled: 1-line block ×6, first 2 shown]
	flat_load_u16 v76, v[12:13] th:TH_LOAD_NT
	flat_load_u16 v75, v[12:13] offset:64 th:TH_LOAD_NT
	flat_load_u16 v63, v[12:13] offset:512 th:TH_LOAD_NT
	;; [unrolled: 1-line block ×9, first 2 shown]
	v_and_b32_e32 v22, 0xffff0000, v22
	s_wait_loadcnt_dscnt 0x909
	v_lshlrev_b32_e32 v76, 16, v76
	s_delay_alu instid0(VALU_DEP_1) | instskip(NEXT) | instid1(VALU_DEP_1)
	v_add_f32_e32 v76, v22, v76
	v_and_b32_e32 v22, 0x7f800000, v76
	s_delay_alu instid0(VALU_DEP_1) | instskip(SKIP_2) | instid1(SALU_CYCLE_1)
	v_cmp_ne_u32_e32 vcc_lo, 0x7f800000, v22
                                        ; implicit-def: $vgpr22
	s_wait_xcnt 0x0
	s_and_saveexec_b32 s23, vcc_lo
	s_xor_b32 s23, exec_lo, s23
; %bb.524:                              ;   in Loop: Header=BB10_459 Depth=2
	v_bfe_u32 v22, v76, 16, 1
	s_delay_alu instid0(VALU_DEP_1)
	v_add3_u32 v22, v76, v22, 0x7fff
                                        ; implicit-def: $vgpr76
; %bb.525:                              ;   in Loop: Header=BB10_459 Depth=2
	s_and_not1_saveexec_b32 s23, s23
; %bb.526:                              ;   in Loop: Header=BB10_459 Depth=2
	v_and_b32_e32 v22, 0xffff, v76
	v_or_b32_e32 v77, 0x10000, v76
	s_delay_alu instid0(VALU_DEP_2) | instskip(NEXT) | instid1(VALU_DEP_2)
	v_cmp_eq_u32_e32 vcc_lo, 0, v22
	v_cndmask_b32_e32 v22, v77, v76, vcc_lo
; %bb.527:                              ;   in Loop: Header=BB10_459 Depth=2
	s_or_b32 exec_lo, exec_lo, s23
	v_and_b32_e32 v23, 0xffff0000, v23
	s_wait_loadcnt_dscnt 0x808
	v_lshlrev_b32_e32 v75, 16, v75
	s_delay_alu instid0(VALU_DEP_1) | instskip(NEXT) | instid1(VALU_DEP_1)
	v_add_f32_e32 v75, v23, v75
	v_and_b32_e32 v23, 0x7f800000, v75
	s_delay_alu instid0(VALU_DEP_1) | instskip(SKIP_1) | instid1(SALU_CYCLE_1)
	v_cmp_ne_u32_e32 vcc_lo, 0x7f800000, v23
                                        ; implicit-def: $vgpr23
	s_and_saveexec_b32 s23, vcc_lo
	s_xor_b32 s23, exec_lo, s23
; %bb.528:                              ;   in Loop: Header=BB10_459 Depth=2
	v_bfe_u32 v23, v75, 16, 1
	s_delay_alu instid0(VALU_DEP_1)
	v_add3_u32 v23, v75, v23, 0x7fff
                                        ; implicit-def: $vgpr75
; %bb.529:                              ;   in Loop: Header=BB10_459 Depth=2
	s_and_not1_saveexec_b32 s23, s23
; %bb.530:                              ;   in Loop: Header=BB10_459 Depth=2
	v_and_b32_e32 v23, 0xffff, v75
	v_or_b32_e32 v76, 0x10000, v75
	s_delay_alu instid0(VALU_DEP_2) | instskip(NEXT) | instid1(VALU_DEP_2)
	v_cmp_eq_u32_e32 vcc_lo, 0, v23
	v_cndmask_b32_e32 v23, v76, v75, vcc_lo
; %bb.531:                              ;   in Loop: Header=BB10_459 Depth=2
	s_or_b32 exec_lo, exec_lo, s23
	v_and_b32_e32 v24, 0xffff0000, v24
	v_lshlrev_b32_e32 v74, 16, v74
	s_delay_alu instid0(VALU_DEP_1) | instskip(NEXT) | instid1(VALU_DEP_1)
	v_add_f32_e32 v74, v24, v74
	v_and_b32_e32 v24, 0x7f800000, v74
	s_delay_alu instid0(VALU_DEP_1) | instskip(SKIP_1) | instid1(SALU_CYCLE_1)
	v_cmp_ne_u32_e32 vcc_lo, 0x7f800000, v24
                                        ; implicit-def: $vgpr24
	s_and_saveexec_b32 s23, vcc_lo
	s_xor_b32 s23, exec_lo, s23
; %bb.532:                              ;   in Loop: Header=BB10_459 Depth=2
	v_bfe_u32 v24, v74, 16, 1
	s_delay_alu instid0(VALU_DEP_1)
	v_add3_u32 v24, v74, v24, 0x7fff
                                        ; implicit-def: $vgpr74
; %bb.533:                              ;   in Loop: Header=BB10_459 Depth=2
	s_and_not1_saveexec_b32 s23, s23
; %bb.534:                              ;   in Loop: Header=BB10_459 Depth=2
	v_and_b32_e32 v24, 0xffff, v74
	v_or_b32_e32 v75, 0x10000, v74
	s_delay_alu instid0(VALU_DEP_2) | instskip(NEXT) | instid1(VALU_DEP_2)
	v_cmp_eq_u32_e32 vcc_lo, 0, v24
	v_cndmask_b32_e32 v24, v75, v74, vcc_lo
; %bb.535:                              ;   in Loop: Header=BB10_459 Depth=2
	s_or_b32 exec_lo, exec_lo, s23
	v_and_b32_e32 v25, 0xffff0000, v25
	v_lshlrev_b32_e32 v73, 16, v73
	s_delay_alu instid0(VALU_DEP_1) | instskip(NEXT) | instid1(VALU_DEP_1)
	v_add_f32_e32 v73, v25, v73
	v_and_b32_e32 v25, 0x7f800000, v73
	s_delay_alu instid0(VALU_DEP_1) | instskip(SKIP_1) | instid1(SALU_CYCLE_1)
	v_cmp_ne_u32_e32 vcc_lo, 0x7f800000, v25
                                        ; implicit-def: $vgpr25
	s_and_saveexec_b32 s23, vcc_lo
	s_xor_b32 s23, exec_lo, s23
; %bb.536:                              ;   in Loop: Header=BB10_459 Depth=2
	v_bfe_u32 v25, v73, 16, 1
	s_delay_alu instid0(VALU_DEP_1)
	v_add3_u32 v25, v73, v25, 0x7fff
                                        ; implicit-def: $vgpr73
; %bb.537:                              ;   in Loop: Header=BB10_459 Depth=2
	s_and_not1_saveexec_b32 s23, s23
; %bb.538:                              ;   in Loop: Header=BB10_459 Depth=2
	v_and_b32_e32 v25, 0xffff, v73
	v_or_b32_e32 v74, 0x10000, v73
	s_delay_alu instid0(VALU_DEP_2) | instskip(NEXT) | instid1(VALU_DEP_2)
	v_cmp_eq_u32_e32 vcc_lo, 0, v25
	v_cndmask_b32_e32 v25, v74, v73, vcc_lo
; %bb.539:                              ;   in Loop: Header=BB10_459 Depth=2
	s_or_b32 exec_lo, exec_lo, s23
	v_and_b32_e32 v102, 0xffff0000, v102
	v_lshlrev_b32_e32 v116, 16, v116
	s_delay_alu instid0(VALU_DEP_1) | instskip(NEXT) | instid1(VALU_DEP_1)
	v_add_f32_e32 v116, v102, v116
	v_and_b32_e32 v102, 0x7f800000, v116
	s_delay_alu instid0(VALU_DEP_1) | instskip(SKIP_1) | instid1(SALU_CYCLE_1)
	v_cmp_ne_u32_e32 vcc_lo, 0x7f800000, v102
                                        ; implicit-def: $vgpr102
	s_and_saveexec_b32 s23, vcc_lo
	s_xor_b32 s23, exec_lo, s23
; %bb.540:                              ;   in Loop: Header=BB10_459 Depth=2
	v_bfe_u32 v102, v116, 16, 1
	s_delay_alu instid0(VALU_DEP_1)
	v_add3_u32 v102, v116, v102, 0x7fff
                                        ; implicit-def: $vgpr116
; %bb.541:                              ;   in Loop: Header=BB10_459 Depth=2
	s_and_not1_saveexec_b32 s23, s23
; %bb.542:                              ;   in Loop: Header=BB10_459 Depth=2
	v_and_b32_e32 v102, 0xffff, v116
	v_or_b32_e32 v73, 0x10000, v116
	s_delay_alu instid0(VALU_DEP_2) | instskip(NEXT) | instid1(VALU_DEP_2)
	v_cmp_eq_u32_e32 vcc_lo, 0, v102
	v_cndmask_b32_e32 v102, v73, v116, vcc_lo
; %bb.543:                              ;   in Loop: Header=BB10_459 Depth=2
	s_or_b32 exec_lo, exec_lo, s23
	v_and_b32_e32 v103, 0xffff0000, v103
	v_lshlrev_b32_e32 v3, 16, v3
	s_delay_alu instid0(VALU_DEP_1) | instskip(NEXT) | instid1(VALU_DEP_1)
	v_add_f32_e32 v3, v103, v3
	v_and_b32_e32 v103, 0x7f800000, v3
	s_delay_alu instid0(VALU_DEP_1) | instskip(SKIP_1) | instid1(SALU_CYCLE_1)
	v_cmp_ne_u32_e32 vcc_lo, 0x7f800000, v103
                                        ; implicit-def: $vgpr103
	s_and_saveexec_b32 s23, vcc_lo
	s_xor_b32 s23, exec_lo, s23
; %bb.544:                              ;   in Loop: Header=BB10_459 Depth=2
	v_bfe_u32 v103, v3, 16, 1
	s_delay_alu instid0(VALU_DEP_1)
	v_add3_u32 v103, v3, v103, 0x7fff
                                        ; implicit-def: $vgpr3
; %bb.545:                              ;   in Loop: Header=BB10_459 Depth=2
	s_and_not1_saveexec_b32 s23, s23
; %bb.546:                              ;   in Loop: Header=BB10_459 Depth=2
	v_and_b32_e32 v103, 0xffff, v3
	v_or_b32_e32 v116, 0x10000, v3
	s_delay_alu instid0(VALU_DEP_2) | instskip(NEXT) | instid1(VALU_DEP_2)
	v_cmp_eq_u32_e32 vcc_lo, 0, v103
	v_cndmask_b32_e32 v103, v116, v3, vcc_lo
; %bb.547:                              ;   in Loop: Header=BB10_459 Depth=2
	s_or_b32 exec_lo, exec_lo, s23
	v_and_b32_e32 v3, 0xffff0000, v112
	v_lshlrev_b32_e32 v2, 16, v2
	s_mov_b32 s23, exec_lo
                                        ; implicit-def: $vgpr112
	s_delay_alu instid0(VALU_DEP_1) | instskip(NEXT) | instid1(VALU_DEP_1)
	v_add_f32_e32 v2, v3, v2
	v_and_b32_e32 v3, 0x7f800000, v2
	s_delay_alu instid0(VALU_DEP_1)
	v_cmpx_ne_u32_e32 0x7f800000, v3
	s_xor_b32 s23, exec_lo, s23
; %bb.548:                              ;   in Loop: Header=BB10_459 Depth=2
	v_bfe_u32 v3, v2, 16, 1
	s_delay_alu instid0(VALU_DEP_1)
	v_add3_u32 v112, v2, v3, 0x7fff
                                        ; implicit-def: $vgpr2
; %bb.549:                              ;   in Loop: Header=BB10_459 Depth=2
	s_and_not1_saveexec_b32 s23, s23
; %bb.550:                              ;   in Loop: Header=BB10_459 Depth=2
	v_and_b32_e32 v3, 0xffff, v2
	v_or_b32_e32 v112, 0x10000, v2
	s_delay_alu instid0(VALU_DEP_2) | instskip(NEXT) | instid1(VALU_DEP_2)
	v_cmp_eq_u32_e32 vcc_lo, 0, v3
	v_cndmask_b32_e32 v112, v112, v2, vcc_lo
; %bb.551:                              ;   in Loop: Header=BB10_459 Depth=2
	s_or_b32 exec_lo, exec_lo, s23
	v_and_b32_e32 v2, 0xffff0000, v113
	v_lshlrev_b32_e32 v3, 16, v72
	s_mov_b32 s23, exec_lo
                                        ; implicit-def: $vgpr113
	s_delay_alu instid0(VALU_DEP_1) | instskip(NEXT) | instid1(VALU_DEP_1)
	v_add_f32_e32 v2, v2, v3
	v_and_b32_e32 v3, 0x7f800000, v2
	s_delay_alu instid0(VALU_DEP_1)
	v_cmpx_ne_u32_e32 0x7f800000, v3
	s_xor_b32 s23, exec_lo, s23
; %bb.552:                              ;   in Loop: Header=BB10_459 Depth=2
	v_bfe_u32 v3, v2, 16, 1
	s_delay_alu instid0(VALU_DEP_1)
	v_add3_u32 v113, v2, v3, 0x7fff
                                        ; implicit-def: $vgpr2
; %bb.553:                              ;   in Loop: Header=BB10_459 Depth=2
	s_and_not1_saveexec_b32 s23, s23
; %bb.554:                              ;   in Loop: Header=BB10_459 Depth=2
	v_and_b32_e32 v3, 0xffff, v2
	v_or_b32_e32 v113, 0x10000, v2
	s_delay_alu instid0(VALU_DEP_2) | instskip(NEXT) | instid1(VALU_DEP_2)
	v_cmp_eq_u32_e32 vcc_lo, 0, v3
	v_cndmask_b32_e32 v113, v113, v2, vcc_lo
; %bb.555:                              ;   in Loop: Header=BB10_459 Depth=2
	s_or_b32 exec_lo, exec_lo, s23
	v_and_b32_e32 v2, 0xffff0000, v114
	s_wait_loadcnt_dscnt 0x707
	v_lshlrev_b32_e32 v3, 16, v63
	s_mov_b32 s23, exec_lo
                                        ; implicit-def: $vgpr114
	s_delay_alu instid0(VALU_DEP_1) | instskip(NEXT) | instid1(VALU_DEP_1)
	v_add_f32_e32 v2, v2, v3
	v_and_b32_e32 v3, 0x7f800000, v2
	s_delay_alu instid0(VALU_DEP_1)
	v_cmpx_ne_u32_e32 0x7f800000, v3
	s_xor_b32 s23, exec_lo, s23
; %bb.556:                              ;   in Loop: Header=BB10_459 Depth=2
	v_bfe_u32 v3, v2, 16, 1
	s_delay_alu instid0(VALU_DEP_1)
	v_add3_u32 v114, v2, v3, 0x7fff
                                        ; implicit-def: $vgpr2
; %bb.557:                              ;   in Loop: Header=BB10_459 Depth=2
	s_and_not1_saveexec_b32 s23, s23
; %bb.558:                              ;   in Loop: Header=BB10_459 Depth=2
	v_and_b32_e32 v3, 0xffff, v2
	v_or_b32_e32 v114, 0x10000, v2
	s_delay_alu instid0(VALU_DEP_2) | instskip(NEXT) | instid1(VALU_DEP_2)
	v_cmp_eq_u32_e32 vcc_lo, 0, v3
	v_cndmask_b32_e32 v114, v114, v2, vcc_lo
; %bb.559:                              ;   in Loop: Header=BB10_459 Depth=2
	s_or_b32 exec_lo, exec_lo, s23
	v_and_b32_e32 v2, 0xffff0000, v115
	s_wait_loadcnt_dscnt 0x606
	v_lshlrev_b32_e32 v3, 16, v62
	s_mov_b32 s23, exec_lo
                                        ; implicit-def: $vgpr115
	s_delay_alu instid0(VALU_DEP_1) | instskip(NEXT) | instid1(VALU_DEP_1)
	v_add_f32_e32 v2, v2, v3
	v_and_b32_e32 v3, 0x7f800000, v2
	s_delay_alu instid0(VALU_DEP_1)
	v_cmpx_ne_u32_e32 0x7f800000, v3
	s_xor_b32 s23, exec_lo, s23
; %bb.560:                              ;   in Loop: Header=BB10_459 Depth=2
	v_bfe_u32 v3, v2, 16, 1
	s_delay_alu instid0(VALU_DEP_1)
	v_add3_u32 v115, v2, v3, 0x7fff
                                        ; implicit-def: $vgpr2
; %bb.561:                              ;   in Loop: Header=BB10_459 Depth=2
	s_and_not1_saveexec_b32 s23, s23
; %bb.562:                              ;   in Loop: Header=BB10_459 Depth=2
	v_and_b32_e32 v3, 0xffff, v2
	v_or_b32_e32 v115, 0x10000, v2
	s_delay_alu instid0(VALU_DEP_2) | instskip(NEXT) | instid1(VALU_DEP_2)
	v_cmp_eq_u32_e32 vcc_lo, 0, v3
	v_cndmask_b32_e32 v115, v115, v2, vcc_lo
; %bb.563:                              ;   in Loop: Header=BB10_459 Depth=2
	s_or_b32 exec_lo, exec_lo, s23
	v_and_b32_e32 v2, 0xffff0000, v42
	s_wait_loadcnt_dscnt 0x505
	v_lshlrev_b32_e32 v3, 16, v61
	s_delay_alu instid0(VALU_DEP_1) | instskip(NEXT) | instid1(VALU_DEP_1)
	v_add_f32_e32 v3, v2, v3
	v_and_b32_e32 v2, 0x7f800000, v3
	s_delay_alu instid0(VALU_DEP_1) | instskip(SKIP_1) | instid1(SALU_CYCLE_1)
	v_cmp_ne_u32_e32 vcc_lo, 0x7f800000, v2
                                        ; implicit-def: $vgpr2
	s_and_saveexec_b32 s23, vcc_lo
	s_xor_b32 s23, exec_lo, s23
; %bb.564:                              ;   in Loop: Header=BB10_459 Depth=2
	v_bfe_u32 v2, v3, 16, 1
	s_delay_alu instid0(VALU_DEP_1)
	v_add3_u32 v2, v3, v2, 0x7fff
                                        ; implicit-def: $vgpr3
; %bb.565:                              ;   in Loop: Header=BB10_459 Depth=2
	s_and_not1_saveexec_b32 s23, s23
; %bb.566:                              ;   in Loop: Header=BB10_459 Depth=2
	v_and_b32_e32 v2, 0xffff, v3
	v_or_b32_e32 v116, 0x10000, v3
	s_delay_alu instid0(VALU_DEP_2) | instskip(NEXT) | instid1(VALU_DEP_2)
	v_cmp_eq_u32_e32 vcc_lo, 0, v2
	v_cndmask_b32_e32 v2, v116, v3, vcc_lo
; %bb.567:                              ;   in Loop: Header=BB10_459 Depth=2
	s_or_b32 exec_lo, exec_lo, s23
	v_and_b32_e32 v3, 0xffff0000, v43
	s_wait_loadcnt_dscnt 0x404
	v_lshlrev_b32_e32 v116, 16, v60
	s_delay_alu instid0(VALU_DEP_1) | instskip(NEXT) | instid1(VALU_DEP_1)
	v_add_f32_e32 v116, v3, v116
	v_and_b32_e32 v3, 0x7f800000, v116
	s_delay_alu instid0(VALU_DEP_1) | instskip(SKIP_1) | instid1(SALU_CYCLE_1)
	v_cmp_ne_u32_e32 vcc_lo, 0x7f800000, v3
                                        ; implicit-def: $vgpr3
	s_and_saveexec_b32 s23, vcc_lo
	s_xor_b32 s23, exec_lo, s23
; %bb.568:                              ;   in Loop: Header=BB10_459 Depth=2
	v_bfe_u32 v3, v116, 16, 1
	s_delay_alu instid0(VALU_DEP_1)
	v_add3_u32 v3, v116, v3, 0x7fff
                                        ; implicit-def: $vgpr116
; %bb.569:                              ;   in Loop: Header=BB10_459 Depth=2
	s_and_not1_saveexec_b32 s23, s23
; %bb.570:                              ;   in Loop: Header=BB10_459 Depth=2
	v_and_b32_e32 v3, 0xffff, v116
	v_or_b32_e32 v42, 0x10000, v116
	s_delay_alu instid0(VALU_DEP_2) | instskip(NEXT) | instid1(VALU_DEP_2)
	v_cmp_eq_u32_e32 vcc_lo, 0, v3
	v_cndmask_b32_e32 v3, v42, v116, vcc_lo
; %bb.571:                              ;   in Loop: Header=BB10_459 Depth=2
	s_or_b32 exec_lo, exec_lo, s23
	v_and_b32_e32 v116, 0xffff0000, v44
	s_wait_loadcnt_dscnt 0x303
	v_lshlrev_b32_e32 v42, 16, v59
	s_delay_alu instid0(VALU_DEP_1) | instskip(NEXT) | instid1(VALU_DEP_1)
	v_add_f32_e32 v42, v116, v42
	v_and_b32_e32 v116, 0x7f800000, v42
	s_delay_alu instid0(VALU_DEP_1) | instskip(SKIP_1) | instid1(SALU_CYCLE_1)
	v_cmp_ne_u32_e32 vcc_lo, 0x7f800000, v116
                                        ; implicit-def: $vgpr116
	s_and_saveexec_b32 s23, vcc_lo
	s_xor_b32 s23, exec_lo, s23
; %bb.572:                              ;   in Loop: Header=BB10_459 Depth=2
	v_bfe_u32 v116, v42, 16, 1
	s_delay_alu instid0(VALU_DEP_1)
	v_add3_u32 v116, v42, v116, 0x7fff
                                        ; implicit-def: $vgpr42
; %bb.573:                              ;   in Loop: Header=BB10_459 Depth=2
	s_and_not1_saveexec_b32 s23, s23
; %bb.574:                              ;   in Loop: Header=BB10_459 Depth=2
	v_and_b32_e32 v116, 0xffff, v42
	v_or_b32_e32 v43, 0x10000, v42
	s_delay_alu instid0(VALU_DEP_2) | instskip(NEXT) | instid1(VALU_DEP_2)
	v_cmp_eq_u32_e32 vcc_lo, 0, v116
	v_cndmask_b32_e32 v116, v43, v42, vcc_lo
; %bb.575:                              ;   in Loop: Header=BB10_459 Depth=2
	s_or_b32 exec_lo, exec_lo, s23
	v_and_b32_e32 v42, 0xffff0000, v45
	s_wait_loadcnt_dscnt 0x202
	v_lshlrev_b32_e32 v43, 16, v58
	s_delay_alu instid0(VALU_DEP_1) | instskip(NEXT) | instid1(VALU_DEP_1)
	v_add_f32_e32 v43, v42, v43
	v_and_b32_e32 v42, 0x7f800000, v43
	s_delay_alu instid0(VALU_DEP_1) | instskip(SKIP_1) | instid1(SALU_CYCLE_1)
	v_cmp_ne_u32_e32 vcc_lo, 0x7f800000, v42
                                        ; implicit-def: $vgpr42
	s_and_saveexec_b32 s23, vcc_lo
	s_xor_b32 s23, exec_lo, s23
; %bb.576:                              ;   in Loop: Header=BB10_459 Depth=2
	v_bfe_u32 v42, v43, 16, 1
	s_delay_alu instid0(VALU_DEP_1)
	v_add3_u32 v42, v43, v42, 0x7fff
                                        ; implicit-def: $vgpr43
; %bb.577:                              ;   in Loop: Header=BB10_459 Depth=2
	s_and_not1_saveexec_b32 s23, s23
; %bb.578:                              ;   in Loop: Header=BB10_459 Depth=2
	v_and_b32_e32 v42, 0xffff, v43
	v_or_b32_e32 v44, 0x10000, v43
	s_delay_alu instid0(VALU_DEP_2) | instskip(NEXT) | instid1(VALU_DEP_2)
	v_cmp_eq_u32_e32 vcc_lo, 0, v42
	v_cndmask_b32_e32 v42, v44, v43, vcc_lo
; %bb.579:                              ;   in Loop: Header=BB10_459 Depth=2
	s_or_b32 exec_lo, exec_lo, s23
	v_and_b32_e32 v43, 0xffff0000, v46
	s_wait_loadcnt_dscnt 0x101
	v_lshlrev_b32_e32 v44, 16, v57
	s_delay_alu instid0(VALU_DEP_1) | instskip(NEXT) | instid1(VALU_DEP_1)
	v_add_f32_e32 v44, v43, v44
	v_and_b32_e32 v43, 0x7f800000, v44
	s_delay_alu instid0(VALU_DEP_1) | instskip(SKIP_1) | instid1(SALU_CYCLE_1)
	v_cmp_ne_u32_e32 vcc_lo, 0x7f800000, v43
                                        ; implicit-def: $vgpr43
	s_and_saveexec_b32 s23, vcc_lo
	s_xor_b32 s23, exec_lo, s23
; %bb.580:                              ;   in Loop: Header=BB10_459 Depth=2
	v_bfe_u32 v43, v44, 16, 1
	s_delay_alu instid0(VALU_DEP_1)
	v_add3_u32 v43, v44, v43, 0x7fff
                                        ; implicit-def: $vgpr44
; %bb.581:                              ;   in Loop: Header=BB10_459 Depth=2
	s_and_not1_saveexec_b32 s23, s23
; %bb.582:                              ;   in Loop: Header=BB10_459 Depth=2
	v_and_b32_e32 v43, 0xffff, v44
	v_or_b32_e32 v45, 0x10000, v44
	s_delay_alu instid0(VALU_DEP_2) | instskip(NEXT) | instid1(VALU_DEP_2)
	v_cmp_eq_u32_e32 vcc_lo, 0, v43
	v_cndmask_b32_e32 v43, v45, v44, vcc_lo
; %bb.583:                              ;   in Loop: Header=BB10_459 Depth=2
	s_or_b32 exec_lo, exec_lo, s23
	v_and_b32_e32 v44, 0xffff0000, v47
	s_wait_loadcnt_dscnt 0x0
	v_lshlrev_b32_e32 v45, 16, v56
	s_delay_alu instid0(VALU_DEP_1) | instskip(NEXT) | instid1(VALU_DEP_1)
	v_add_f32_e32 v45, v44, v45
	v_and_b32_e32 v44, 0x7f800000, v45
	s_delay_alu instid0(VALU_DEP_1) | instskip(SKIP_1) | instid1(SALU_CYCLE_1)
	v_cmp_ne_u32_e32 vcc_lo, 0x7f800000, v44
                                        ; implicit-def: $vgpr44
	s_and_saveexec_b32 s23, vcc_lo
	s_xor_b32 s23, exec_lo, s23
; %bb.584:                              ;   in Loop: Header=BB10_459 Depth=2
	v_bfe_u32 v44, v45, 16, 1
	s_delay_alu instid0(VALU_DEP_1)
	v_add3_u32 v44, v45, v44, 0x7fff
                                        ; implicit-def: $vgpr45
; %bb.585:                              ;   in Loop: Header=BB10_459 Depth=2
	s_and_not1_saveexec_b32 s23, s23
	s_cbranch_execz .LBB10_458
; %bb.586:                              ;   in Loop: Header=BB10_459 Depth=2
	v_and_b32_e32 v44, 0xffff, v45
	v_or_b32_e32 v46, 0x10000, v45
	s_delay_alu instid0(VALU_DEP_2) | instskip(NEXT) | instid1(VALU_DEP_2)
	v_cmp_eq_u32_e32 vcc_lo, 0, v44
	v_cndmask_b32_e32 v44, v46, v45, vcc_lo
	s_branch .LBB10_458
.LBB10_587:                             ;   in Loop: Header=BB10_49 Depth=1
	s_or_b32 exec_lo, exec_lo, s22
.LBB10_588:                             ;   in Loop: Header=BB10_49 Depth=1
	s_delay_alu instid0(SALU_CYCLE_1) | instskip(SKIP_1) | instid1(VALU_DEP_1)
	s_or_b32 exec_lo, exec_lo, s21
	v_lshlrev_b32_e32 v2, 10, v20
	v_cmp_ne_u32_e32 vcc_lo, v41, v2
	s_and_b32 exec_lo, exec_lo, vcc_lo
	s_cbranch_execz .LBB10_600
; %bb.589:                              ;   in Loop: Header=BB10_49 Depth=1
	v_dual_lshlrev_b32 v3, 5, v18 :: v_dual_lshlrev_b32 v10, 5, v19
	s_delay_alu instid0(VALU_DEP_1) | instskip(NEXT) | instid1(VALU_DEP_1)
	v_sub_nc_u32_e32 v3, v17, v3
	v_sub_nc_u32_e32 v3, v3, v10
	s_delay_alu instid0(VALU_DEP_1) | instskip(NEXT) | instid1(VALU_DEP_1)
	v_ashrrev_i32_e32 v10, 31, v3
	v_lshrrev_b32_e32 v10, 27, v10
	s_delay_alu instid0(VALU_DEP_1) | instskip(NEXT) | instid1(VALU_DEP_1)
	v_add_nc_u32_e32 v10, v3, v10
	v_and_b32_e32 v11, 0x7fffffe0, v10
	s_delay_alu instid0(VALU_DEP_1) | instskip(NEXT) | instid1(VALU_DEP_1)
	v_dual_lshlrev_b32 v10, 1, v10 :: v_dual_sub_nc_u32 v3, v3, v11
	v_and_b32_e32 v10, 0xffffffc0, v10
	s_delay_alu instid0(VALU_DEP_2) | instskip(NEXT) | instid1(VALU_DEP_1)
	v_lshlrev_b32_e32 v3, 1, v3
	v_add3_u32 v3, v10, v3, v2
	s_delay_alu instid0(VALU_DEP_1) | instskip(NEXT) | instid1(VALU_DEP_1)
	v_sub_nc_u32_e32 v2, v41, v3
	v_cmp_lt_i32_e32 vcc_lo, 1, v2
	s_and_b32 exec_lo, exec_lo, vcc_lo
	s_cbranch_execz .LBB10_600
; %bb.590:                              ;   in Loop: Header=BB10_49 Depth=1
	s_trap 2
	ds_load_b64 v[12:13], v0
	ds_load_b32 v17, v0
	v_add_nc_u32_e32 v14, v3, v16
	s_mov_b32 s21, 0
	s_wait_dscnt 0x0
	s_delay_alu instid0(VALU_DEP_1) | instskip(NEXT) | instid1(VALU_DEP_1)
	v_dual_lshlrev_b32 v3, 16, v17 :: v_dual_ashrrev_i32 v15, 31, v14
	v_add_nc_u64_e32 v[10:11], v[14:15], v[98:99]
	v_add_nc_u64_e32 v[12:13], v[12:13], v[14:15]
	;; [unrolled: 1-line block ×3, first 2 shown]
	s_branch .LBB10_592
.LBB10_591:                             ;   in Loop: Header=BB10_592 Depth=2
	s_or_b32 exec_lo, exec_lo, s22
	v_sub_nc_u32_e32 v2, v2, v82
	flat_store_d16_hi_b16 v[14:15], v16 th:TH_STORE_NT
	v_add_nc_u64_e32 v[10:11], v[10:11], v[82:83]
	v_add_nc_u64_e32 v[12:13], v[12:13], v[82:83]
	s_wait_xcnt 0x0
	v_add_nc_u64_e32 v[14:15], v[14:15], v[82:83]
	v_cmp_gt_i32_e32 vcc_lo, 2, v2
	s_or_b32 s21, vcc_lo, s21
	s_delay_alu instid0(SALU_CYCLE_1)
	s_and_not1_b32 exec_lo, exec_lo, s21
	s_cbranch_execz .LBB10_600
.LBB10_592:                             ;   Parent Loop BB10_49 Depth=1
                                        ; =>  This Inner Loop Header: Depth=2
	flat_load_u16 v16, v[10:11] th:TH_LOAD_NT
	s_wait_loadcnt_dscnt 0x0
	v_lshlrev_b32_e32 v16, 16, v16
	s_delay_alu instid0(VALU_DEP_1) | instskip(NEXT) | instid1(VALU_DEP_1)
	v_mul_f32_e32 v16, v3, v16
	v_and_b32_e32 v17, 0x7f800000, v16
	s_delay_alu instid0(VALU_DEP_1) | instskip(SKIP_2) | instid1(SALU_CYCLE_1)
	v_cmp_ne_u32_e32 vcc_lo, 0x7f800000, v17
                                        ; implicit-def: $vgpr17
	s_wait_xcnt 0x0
	s_and_saveexec_b32 s22, vcc_lo
	s_xor_b32 s22, exec_lo, s22
; %bb.593:                              ;   in Loop: Header=BB10_592 Depth=2
	v_bfe_u32 v17, v16, 16, 1
	s_delay_alu instid0(VALU_DEP_1)
	v_add3_u32 v17, v16, v17, 0x7fff
                                        ; implicit-def: $vgpr16
; %bb.594:                              ;   in Loop: Header=BB10_592 Depth=2
	s_and_not1_saveexec_b32 s22, s22
; %bb.595:                              ;   in Loop: Header=BB10_592 Depth=2
	v_and_b32_e32 v17, 0xffff, v16
	v_or_b32_e32 v18, 0x10000, v16
	s_delay_alu instid0(VALU_DEP_2) | instskip(NEXT) | instid1(VALU_DEP_2)
	v_cmp_eq_u32_e32 vcc_lo, 0, v17
	v_cndmask_b32_e32 v17, v18, v16, vcc_lo
; %bb.596:                              ;   in Loop: Header=BB10_592 Depth=2
	s_or_b32 exec_lo, exec_lo, s22
	flat_load_u16 v16, v[12:13] th:TH_LOAD_NT
	v_and_b32_e32 v17, 0xffff0000, v17
	s_wait_loadcnt_dscnt 0x0
	v_lshlrev_b32_e32 v16, 16, v16
	s_delay_alu instid0(VALU_DEP_1) | instskip(NEXT) | instid1(VALU_DEP_1)
	v_add_f32_e32 v17, v17, v16
	v_and_b32_e32 v16, 0x7f800000, v17
	s_delay_alu instid0(VALU_DEP_1) | instskip(SKIP_2) | instid1(SALU_CYCLE_1)
	v_cmp_ne_u32_e32 vcc_lo, 0x7f800000, v16
                                        ; implicit-def: $vgpr16
	s_wait_xcnt 0x0
	s_and_saveexec_b32 s22, vcc_lo
	s_xor_b32 s22, exec_lo, s22
; %bb.597:                              ;   in Loop: Header=BB10_592 Depth=2
	v_bfe_u32 v16, v17, 16, 1
	s_delay_alu instid0(VALU_DEP_1)
	v_add3_u32 v16, v17, v16, 0x7fff
                                        ; implicit-def: $vgpr17
; %bb.598:                              ;   in Loop: Header=BB10_592 Depth=2
	s_and_not1_saveexec_b32 s22, s22
	s_cbranch_execz .LBB10_591
; %bb.599:                              ;   in Loop: Header=BB10_592 Depth=2
	v_and_b32_e32 v16, 0xffff, v17
	v_or_b32_e32 v18, 0x10000, v17
	s_delay_alu instid0(VALU_DEP_2) | instskip(NEXT) | instid1(VALU_DEP_2)
	v_cmp_eq_u32_e32 vcc_lo, 0, v16
	v_cndmask_b32_e32 v16, v18, v17, vcc_lo
	s_branch .LBB10_591
.LBB10_600:                             ;   in Loop: Header=BB10_49 Depth=1
	s_or_b32 exec_lo, exec_lo, s7
	v_cmp_ne_u32_e64 s7, 0, v54
	s_and_saveexec_b32 s21, s2
	s_cbranch_execz .LBB10_619
.LBB10_601:                             ;   in Loop: Header=BB10_49 Depth=1
	s_and_saveexec_b32 s22, s3
	s_delay_alu instid0(SALU_CYCLE_1)
	s_xor_b32 s22, exec_lo, s22
	s_cbranch_execz .LBB10_616
; %bb.602:                              ;   in Loop: Header=BB10_49 Depth=1
	s_and_saveexec_b32 s23, s4
	s_cbranch_execz .LBB10_615
; %bb.603:                              ;   in Loop: Header=BB10_49 Depth=1
	s_mov_b32 s25, exec_lo
	s_mov_b32 s24, exec_lo
	v_mbcnt_lo_u32_b32 v2, s25, 0
	global_wb scope:SCOPE_DEV
	s_wait_storecnt 0x0
	s_wait_loadcnt_dscnt 0x0
	global_inv scope:SCOPE_DEV
	v_cmpx_eq_u32_e32 0, v2
	s_cbranch_execz .LBB10_605
; %bb.604:                              ;   in Loop: Header=BB10_49 Depth=1
	s_bcnt1_i32_b32 s25, s25
	s_delay_alu instid0(SALU_CYCLE_1)
	v_mov_b32_e32 v54, s25
	s_wait_loadcnt 0x0
	ds_add_u64 v0, v[54:55]
	s_trap 2
.LBB10_605:                             ;   in Loop: Header=BB10_49 Depth=1
	s_or_b32 exec_lo, exec_lo, s24
	s_trap 2
	ds_load_b64 v[2:3], v0
	s_wait_dscnt 0x0
	v_add_nc_u64_e32 v[38:39], v[38:39], v[64:65]
	s_mov_b32 s24, exec_lo
	s_delay_alu instid0(VALU_DEP_1)
	v_cmpx_lt_u64_e64 v[2:3], v[38:39]
	s_cbranch_execz .LBB10_614
; %bb.606:                              ;   in Loop: Header=BB10_49 Depth=1
	s_mov_b32 s25, 0
	s_mov_b32 s28, 0
                                        ; implicit-def: $sgpr26
                                        ; implicit-def: $sgpr27
	s_branch .LBB10_608
.LBB10_607:                             ;   in Loop: Header=BB10_608 Depth=2
	s_or_b32 exec_lo, exec_lo, s40
	s_delay_alu instid0(SALU_CYCLE_1) | instskip(NEXT) | instid1(SALU_CYCLE_1)
	s_and_b32 s29, exec_lo, s41
	s_or_b32 s25, s29, s25
	s_and_not1_b32 s26, s26, exec_lo
	s_and_b32 s29, s27, exec_lo
	s_delay_alu instid0(SALU_CYCLE_1)
	s_or_b32 s26, s26, s29
	s_and_not1_b32 exec_lo, exec_lo, s25
	s_cbranch_execz .LBB10_612
.LBB10_608:                             ;   Parent Loop BB10_49 Depth=1
                                        ; =>  This Inner Loop Header: Depth=2
	s_add_co_i32 s28, s28, 1
	s_delay_alu instid0(SALU_CYCLE_1) | instskip(SKIP_1) | instid1(SALU_CYCLE_1)
	s_cmp_lg_u32 s28, 0x2710
	s_cselect_b32 s29, -1, 0
	s_and_b32 vcc_lo, exec_lo, s29
	s_cbranch_vccz .LBB10_610
; %bb.609:                              ;   in Loop: Header=BB10_608 Depth=2
	s_mov_b32 s41, -1
	s_or_b32 s27, s27, exec_lo
	s_and_saveexec_b32 s40, s29
	s_cbranch_execz .LBB10_607
	s_branch .LBB10_611
.LBB10_610:                             ;   in Loop: Header=BB10_608 Depth=2
	s_trap 2
	ds_load_b64 v[2:3], v0
	s_and_not1_b32 s29, s29, exec_lo
	s_mov_b32 s28, 0
	s_wait_loadcnt_dscnt 0x0
	flat_load_b32 v2, v[2:3] scope:SCOPE_SYS
	s_wait_loadcnt_dscnt 0x0
	global_inv scope:SCOPE_SYS
	v_cmp_eq_u32_e32 vcc_lo, 0, v2
	s_and_b32 s40, vcc_lo, exec_lo
	s_delay_alu instid0(SALU_CYCLE_1)
	s_or_b32 s29, s29, s40
	s_mov_b32 s41, -1
	s_or_b32 s27, s27, exec_lo
	s_and_saveexec_b32 s40, s29
	s_cbranch_execz .LBB10_607
.LBB10_611:                             ;   in Loop: Header=BB10_608 Depth=2
	s_sleep 1
	s_trap 2
	ds_load_b64 v[2:3], v0
	s_wait_dscnt 0x0
	s_and_not1_b32 s27, s27, exec_lo
	v_cmp_ge_u64_e32 vcc_lo, v[2:3], v[38:39]
	s_or_not1_b32 s41, vcc_lo, exec_lo
	s_branch .LBB10_607
.LBB10_612:                             ;   in Loop: Header=BB10_49 Depth=1
	s_or_b32 exec_lo, exec_lo, s25
	s_and_saveexec_b32 s25, s26
	s_delay_alu instid0(SALU_CYCLE_1)
	s_xor_b32 s25, exec_lo, s25
	s_cbranch_execz .LBB10_614
; %bb.613:                              ;   in Loop: Header=BB10_49 Depth=1
	ds_store_b32 v0, v119
	s_trap 2
.LBB10_614:                             ;   in Loop: Header=BB10_49 Depth=1
	s_or_b32 exec_lo, exec_lo, s24
	;;#ASMSTART
	s_wakeup
	;;#ASMEND
.LBB10_615:                             ;   in Loop: Header=BB10_49 Depth=1
	s_or_b32 exec_lo, exec_lo, s23
.LBB10_616:                             ;   in Loop: Header=BB10_49 Depth=1
	s_and_not1_saveexec_b32 s22, s22
	s_cbranch_execz .LBB10_618
; %bb.617:                              ;   in Loop: Header=BB10_49 Depth=1
	global_wb scope:SCOPE_DEV
	s_wait_storecnt 0x0
	s_wait_loadcnt_dscnt 0x0
	global_inv scope:SCOPE_DEV
	s_barrier_signal -1
	s_barrier_wait -1
.LBB10_618:                             ;   in Loop: Header=BB10_49 Depth=1
	s_or_b32 exec_lo, exec_lo, s22
.LBB10_619:                             ;   in Loop: Header=BB10_49 Depth=1
	s_delay_alu instid0(SALU_CYCLE_1) | instskip(SKIP_1) | instid1(VALU_DEP_1)
	s_or_b32 exec_lo, exec_lo, s21
	v_and_b32_e32 v2, 16, v30
	v_cmp_ne_u32_e32 vcc_lo, 0, v2
	s_and_b32 s21, vcc_lo, s7
	s_delay_alu instid0(SALU_CYCLE_1)
	s_and_saveexec_b32 s7, s21
	s_cbranch_execz .LBB10_621
; %bb.620:                              ;   in Loop: Header=BB10_49 Depth=1
	global_wb scope:SCOPE_SYS
	s_wait_storecnt 0x0
	s_wait_loadcnt_dscnt 0x0
	global_inv scope:SCOPE_SYS
.LBB10_621:                             ;   in Loop: Header=BB10_49 Depth=1
	s_or_b32 exec_lo, exec_lo, s7
	v_cmp_ne_u32_e32 vcc_lo, 0, v2
	s_and_b32 s21, vcc_lo, s18
	s_delay_alu instid0(SALU_CYCLE_1)
	s_and_saveexec_b32 s7, s21
	s_cbranch_execz .LBB10_623
; %bb.622:                              ;   in Loop: Header=BB10_49 Depth=1
	global_wb scope:SCOPE_SYS
	s_wait_storecnt 0x0
	s_wait_loadcnt_dscnt 0x0
	flat_store_b32 v[52:53], v119 scope:SCOPE_SYS
.LBB10_623:                             ;   in Loop: Header=BB10_49 Depth=1
	s_wait_xcnt 0x0
	s_or_b32 exec_lo, exec_lo, s7
	v_and_b32_e32 v2, 48, v30
	s_mov_b32 s7, exec_lo
	s_delay_alu instid0(VALU_DEP_1)
	v_cmpx_ne_u32_e32 0, v2
	s_cbranch_execz .LBB10_625
; %bb.624:                              ;   in Loop: Header=BB10_49 Depth=1
	v_add_nc_u64_e32 v[8:9], 1, v[8:9]
	global_wb scope:SCOPE_SYS
	s_wait_storecnt 0x0
	s_wait_loadcnt_dscnt 0x0
	flat_store_b64 v[32:33], v[8:9] scope:SCOPE_SYS
.LBB10_625:                             ;   in Loop: Header=BB10_49 Depth=1
	s_wait_xcnt 0x0
	s_or_b32 exec_lo, exec_lo, s7
	v_mov_b32_e32 v2, v97
.LBB10_626:                             ;   in Loop: Header=BB10_49 Depth=1
	s_or_b32 exec_lo, exec_lo, s20
	s_and_saveexec_b32 s20, s19
	s_cbranch_execz .LBB10_48
; %bb.627:                              ;   in Loop: Header=BB10_49 Depth=1
	s_delay_alu instid0(VALU_DEP_1) | instskip(SKIP_2) | instid1(VALU_DEP_2)
	v_sub_nc_u32_e32 v2, v96, v2
	v_and_b32_e32 v3, 12, v30
	s_mov_b32 s19, exec_lo
	v_min_i32_e32 v10, v97, v2
	s_delay_alu instid0(VALU_DEP_2)
	v_cmpx_ne_u32_e32 0, v3
	s_cbranch_execz .LBB10_653
; %bb.628:                              ;   in Loop: Header=BB10_49 Depth=1
	v_and_b32_e32 v54, 8, v30
	v_add_nc_u64_e32 v[12:13], 1, v[8:9]
	s_mov_b32 s21, exec_lo
	s_wait_loadcnt 0x0
	s_delay_alu instid0(VALU_DEP_2) | instskip(NEXT) | instid1(VALU_DEP_1)
	v_add_nc_u64_e32 v[2:3], v[48:49], v[54:55]
	v_cmpx_lt_u64_e64 v[2:3], v[12:13]
	s_cbranch_execz .LBB10_640
; %bb.629:                              ;   in Loop: Header=BB10_49 Depth=1
	v_and_b32_e32 v2, 64, v30
	s_mov_b32 s22, 0
	s_mov_b32 s26, 0
                                        ; implicit-def: $sgpr23
                                        ; implicit-def: $sgpr24
                                        ; implicit-def: $sgpr25
	s_delay_alu instid0(VALU_DEP_1)
	v_cmp_eq_u32_e32 vcc_lo, 0, v2
	s_branch .LBB10_633
.LBB10_630:                             ;   in Loop: Header=BB10_633 Depth=2
	s_wait_loadcnt_dscnt 0x0
	v_add_nc_u64_e32 v[14:15], v[48:49], v[54:55]
	s_or_b32 s29, s29, exec_lo
	s_delay_alu instid0(VALU_DEP_1)
	v_cmp_ge_u64_e64 s7, v[14:15], v[12:13]
	s_or_not1_b32 s28, s7, exec_lo
.LBB10_631:                             ;   in Loop: Header=BB10_633 Depth=2
	s_or_b32 exec_lo, exec_lo, s41
	s_delay_alu instid0(SALU_CYCLE_1)
	s_and_not1_b32 s7, s25, exec_lo
	s_and_b32 s25, s29, exec_lo
	s_and_not1_b32 s24, s24, exec_lo
	s_and_b32 s28, s28, exec_lo
	s_or_b32 s25, s7, s25
	s_or_b32 s24, s24, s28
.LBB10_632:                             ;   in Loop: Header=BB10_633 Depth=2
	s_or_b32 exec_lo, exec_lo, s27
	s_delay_alu instid0(SALU_CYCLE_1) | instskip(NEXT) | instid1(SALU_CYCLE_1)
	s_and_b32 s7, exec_lo, s24
	s_or_b32 s22, s7, s22
	s_and_not1_b32 s7, s23, exec_lo
	s_and_b32 s23, s25, exec_lo
	s_delay_alu instid0(SALU_CYCLE_1)
	s_or_b32 s23, s7, s23
	s_and_not1_b32 exec_lo, exec_lo, s22
	s_cbranch_execz .LBB10_637
.LBB10_633:                             ;   Parent Loop BB10_49 Depth=1
                                        ; =>  This Inner Loop Header: Depth=2
	s_sleep 1
	s_wait_loadcnt_dscnt 0x0
	flat_load_b64 v[48:49], v[32:33] scope:SCOPE_SYS
	s_or_b32 s25, s25, exec_lo
	s_or_b32 s24, s24, exec_lo
                                        ; implicit-def: $vgpr2
	s_wait_xcnt 0x0
	s_and_saveexec_b32 s27, vcc_lo
	s_cbranch_execz .LBB10_632
; %bb.634:                              ;   in Loop: Header=BB10_633 Depth=2
	s_cmp_lt_i32 s26, 0x270f
	s_mov_b32 s28, -1
	s_cselect_b32 s40, -1, 0
	s_cmp_gt_i32 s26, 0x270e
	s_cbranch_scc0 .LBB10_636
; %bb.635:                              ;   in Loop: Header=BB10_633 Depth=2
	s_trap 2
	ds_load_b64 v[2:3], v0
	s_and_not1_b32 s26, s40, exec_lo
	s_mov_b32 s29, 0
	s_wait_storecnt 0x0
	s_wait_loadcnt_dscnt 0x0
	flat_load_b32 v2, v[2:3] scope:SCOPE_SYS
	s_wait_loadcnt_dscnt 0x0
	global_inv scope:SCOPE_SYS
	v_cmp_eq_u32_e64 s7, 0, v2
	s_and_b32 s7, s7, exec_lo
	s_delay_alu instid0(SALU_CYCLE_1)
	s_or_b32 s40, s26, s7
	s_mov_b32 s26, 0
	s_and_saveexec_b32 s41, s40
	s_cbranch_execz .LBB10_631
	s_branch .LBB10_630
.LBB10_636:                             ;   in Loop: Header=BB10_633 Depth=2
	s_add_co_i32 s26, s26, 1
	s_mov_b32 s29, -1
                                        ; implicit-def: $vgpr2
	s_and_saveexec_b32 s41, s40
	s_cbranch_execz .LBB10_631
	s_branch .LBB10_630
.LBB10_637:                             ;   in Loop: Header=BB10_49 Depth=1
	s_or_b32 exec_lo, exec_lo, s22
	s_xor_b32 s7, s23, -1
	s_delay_alu instid0(SALU_CYCLE_1) | instskip(NEXT) | instid1(SALU_CYCLE_1)
	s_and_saveexec_b32 s22, s7
	s_xor_b32 s7, exec_lo, s22
	s_cbranch_execz .LBB10_639
; %bb.638:                              ;   in Loop: Header=BB10_49 Depth=1
	v_or_b32_e32 v30, 64, v30
	s_wait_storecnt 0x0
	s_wait_loadcnt_dscnt 0x0
	ds_store_b32 v0, v2
	s_trap 2
.LBB10_639:                             ;   in Loop: Header=BB10_49 Depth=1
	s_or_b32 exec_lo, exec_lo, s7
.LBB10_640:                             ;   in Loop: Header=BB10_49 Depth=1
	s_delay_alu instid0(SALU_CYCLE_1) | instskip(SKIP_4) | instid1(VALU_DEP_2)
	s_or_b32 exec_lo, exec_lo, s21
	v_and_b32_e32 v2, 0x108, v30
	v_and_b32_e32 v8, 7, v8
	s_mov_b32 s7, exec_lo
	;;#ASMSTART
	s_wakeup
	;;#ASMEND
	v_cmpx_ne_u32_e32 0x108, v2
	s_xor_b32 s7, exec_lo, s7
; %bb.641:                              ;   in Loop: Header=BB10_49 Depth=1
	v_mov_b32_e32 v9, v55
; %bb.642:                              ;   in Loop: Header=BB10_49 Depth=1
	s_and_not1_saveexec_b32 s7, s7
	s_cbranch_execz .LBB10_644
; %bb.643:                              ;   in Loop: Header=BB10_49 Depth=1
	v_dual_ashrrev_i32 v11, 31, v10 :: v_dual_mov_b32 v9, v55
	v_mad_nc_u64_u32 v[2:3], v8, 24, v[6:7]
	s_delay_alu instid0(VALU_DEP_2)
	v_lshlrev_b64_e32 v[14:15], 1, v[10:11]
	flat_store_b64 v[2:3], v[14:15] offset:8
.LBB10_644:                             ;   in Loop: Header=BB10_49 Depth=1
	s_wait_xcnt 0x0
	s_or_b32 exec_lo, exec_lo, s7
	v_and_b32_e32 v2, 0x100, v30
	s_mov_b32 s7, -1
	s_mov_b32 s21, exec_lo
                                        ; implicit-def: $vgpr14_vgpr15
	s_delay_alu instid0(VALU_DEP_1)
	v_cmpx_ne_u32_e32 0, v2
	s_cbranch_execz .LBB10_648
; %bb.645:                              ;   in Loop: Header=BB10_49 Depth=1
	v_mad_nc_u64_u32 v[16:17], v8, 24, v[6:7]
	s_mov_b32 s22, exec_lo
                                        ; implicit-def: $vgpr14_vgpr15
	s_delay_alu instid0(VALU_DEP_1)
	v_mad_u32 v17, v9, 24, v17
	flat_load_b32 v2, v[16:17]
	s_wait_loadcnt_dscnt 0x0
	v_cmp_ne_u32_e32 vcc_lo, 1, v2
	s_wait_xcnt 0x0
	v_cmpx_eq_u32_e32 1, v2
	s_cbranch_execz .LBB10_647
; %bb.646:                              ;   in Loop: Header=BB10_49 Depth=1
	flat_load_b32 v2, v[16:17] offset:4 scope:SCOPE_SYS
	s_wait_loadcnt_dscnt 0x0
	v_ashrrev_i32_e32 v3, 31, v2
	s_delay_alu instid0(VALU_DEP_1)
	v_lshrrev_b64 v[14:15], 1, v[2:3]
.LBB10_647:                             ;   in Loop: Header=BB10_49 Depth=1
	s_wait_xcnt 0x0
	s_or_b32 exec_lo, exec_lo, s22
	s_delay_alu instid0(SALU_CYCLE_1)
	s_or_not1_b32 s7, vcc_lo, exec_lo
.LBB10_648:                             ;   in Loop: Header=BB10_49 Depth=1
	s_or_b32 exec_lo, exec_lo, s21
	s_and_saveexec_b32 s21, s7
; %bb.649:                              ;   in Loop: Header=BB10_49 Depth=1
	v_mul_u64_e32 v[14:15], v[8:9], v[34:35]
; %bb.650:                              ;   in Loop: Header=BB10_49 Depth=1
	s_or_b32 exec_lo, exec_lo, s21
	v_cmp_eq_u32_e32 vcc_lo, 0, v54
	v_and_b32_e32 v9, 0x2000, v30
	s_delay_alu instid0(VALU_DEP_3) | instskip(SKIP_2) | instid1(VALU_DEP_1)
	v_lshl_add_u64 v[2:3], v[14:15], 1, v[36:37]
	s_mov_b32 s7, exec_lo
	v_cndmask_b32_e32 v8, 0xc8, v40, vcc_lo
	v_add_nc_u32_e32 v8, v0, v8
	ds_store_b64 v8, v[2:3] offset:584
	v_cmpx_ne_u32_e32 0, v9
	s_cbranch_execz .LBB10_652
; %bb.651:                              ;   in Loop: Header=BB10_49 Depth=1
	ds_load_b64 v[2:3], v0 offset:872
	s_wait_dscnt 0x0
	v_add_nc_u64_e32 v[2:3], 1, v[2:3]
	ds_store_b64 v0, v[2:3] offset:872
.LBB10_652:                             ;   in Loop: Header=BB10_49 Depth=1
	s_or_b32 exec_lo, exec_lo, s7
	v_mov_b64_e32 v[8:9], v[12:13]
.LBB10_653:                             ;   in Loop: Header=BB10_49 Depth=1
	s_or_b32 exec_lo, exec_lo, s19
	s_and_saveexec_b32 s7, s2
	s_cbranch_execz .LBB10_672
; %bb.654:                              ;   in Loop: Header=BB10_49 Depth=1
	s_and_saveexec_b32 s19, s3
	s_delay_alu instid0(SALU_CYCLE_1)
	s_xor_b32 s19, exec_lo, s19
	s_cbranch_execz .LBB10_669
; %bb.655:                              ;   in Loop: Header=BB10_49 Depth=1
	s_and_saveexec_b32 s21, s4
	s_cbranch_execz .LBB10_668
; %bb.656:                              ;   in Loop: Header=BB10_49 Depth=1
	s_mov_b32 s23, exec_lo
	s_mov_b32 s22, exec_lo
	v_mbcnt_lo_u32_b32 v2, s23, 0
	global_wb scope:SCOPE_DEV
	s_wait_storecnt 0x0
	s_wait_loadcnt_dscnt 0x0
	global_inv scope:SCOPE_DEV
	v_cmpx_eq_u32_e32 0, v2
	s_cbranch_execz .LBB10_658
; %bb.657:                              ;   in Loop: Header=BB10_49 Depth=1
	s_bcnt1_i32_b32 s23, s23
	s_delay_alu instid0(SALU_CYCLE_1)
	v_mov_b32_e32 v54, s23
	s_wait_loadcnt 0x0
	ds_add_u64 v0, v[54:55]
	s_trap 2
.LBB10_658:                             ;   in Loop: Header=BB10_49 Depth=1
	s_or_b32 exec_lo, exec_lo, s22
	s_trap 2
	ds_load_b64 v[2:3], v0
	s_wait_dscnt 0x0
	v_add_nc_u64_e32 v[38:39], v[38:39], v[64:65]
	s_mov_b32 s22, exec_lo
	s_delay_alu instid0(VALU_DEP_1)
	v_cmpx_lt_u64_e64 v[2:3], v[38:39]
	s_cbranch_execz .LBB10_667
; %bb.659:                              ;   in Loop: Header=BB10_49 Depth=1
	s_mov_b32 s23, 0
	s_mov_b32 s26, 0
                                        ; implicit-def: $sgpr24
                                        ; implicit-def: $sgpr25
	s_branch .LBB10_661
.LBB10_660:                             ;   in Loop: Header=BB10_661 Depth=2
	s_or_b32 exec_lo, exec_lo, s28
	s_delay_alu instid0(SALU_CYCLE_1) | instskip(NEXT) | instid1(SALU_CYCLE_1)
	s_and_b32 s27, exec_lo, s29
	s_or_b32 s23, s27, s23
	s_and_not1_b32 s24, s24, exec_lo
	s_and_b32 s27, s25, exec_lo
	s_delay_alu instid0(SALU_CYCLE_1)
	s_or_b32 s24, s24, s27
	s_and_not1_b32 exec_lo, exec_lo, s23
	s_cbranch_execz .LBB10_665
.LBB10_661:                             ;   Parent Loop BB10_49 Depth=1
                                        ; =>  This Inner Loop Header: Depth=2
	s_add_co_i32 s26, s26, 1
	s_delay_alu instid0(SALU_CYCLE_1) | instskip(SKIP_1) | instid1(SALU_CYCLE_1)
	s_cmp_lg_u32 s26, 0x2710
	s_cselect_b32 s27, -1, 0
	s_and_b32 vcc_lo, exec_lo, s27
	s_cbranch_vccz .LBB10_663
; %bb.662:                              ;   in Loop: Header=BB10_661 Depth=2
	s_mov_b32 s29, -1
	s_or_b32 s25, s25, exec_lo
	s_and_saveexec_b32 s28, s27
	s_cbranch_execz .LBB10_660
	s_branch .LBB10_664
.LBB10_663:                             ;   in Loop: Header=BB10_661 Depth=2
	s_trap 2
	ds_load_b64 v[2:3], v0
	s_and_not1_b32 s27, s27, exec_lo
	s_mov_b32 s26, 0
	s_wait_loadcnt_dscnt 0x0
	flat_load_b32 v2, v[2:3] scope:SCOPE_SYS
	s_wait_loadcnt_dscnt 0x0
	global_inv scope:SCOPE_SYS
	v_cmp_eq_u32_e32 vcc_lo, 0, v2
	s_and_b32 s28, vcc_lo, exec_lo
	s_delay_alu instid0(SALU_CYCLE_1)
	s_or_b32 s27, s27, s28
	s_mov_b32 s29, -1
	s_or_b32 s25, s25, exec_lo
	s_and_saveexec_b32 s28, s27
	s_cbranch_execz .LBB10_660
.LBB10_664:                             ;   in Loop: Header=BB10_661 Depth=2
	s_sleep 1
	s_trap 2
	ds_load_b64 v[2:3], v0
	s_wait_dscnt 0x0
	s_and_not1_b32 s25, s25, exec_lo
	v_cmp_ge_u64_e32 vcc_lo, v[2:3], v[38:39]
	s_or_not1_b32 s29, vcc_lo, exec_lo
	s_branch .LBB10_660
.LBB10_665:                             ;   in Loop: Header=BB10_49 Depth=1
	s_or_b32 exec_lo, exec_lo, s23
	s_and_saveexec_b32 s23, s24
	s_delay_alu instid0(SALU_CYCLE_1)
	s_xor_b32 s23, exec_lo, s23
	s_cbranch_execz .LBB10_667
; %bb.666:                              ;   in Loop: Header=BB10_49 Depth=1
	ds_store_b32 v0, v119
	s_trap 2
.LBB10_667:                             ;   in Loop: Header=BB10_49 Depth=1
	s_or_b32 exec_lo, exec_lo, s22
	;;#ASMSTART
	s_wakeup
	;;#ASMEND
.LBB10_668:                             ;   in Loop: Header=BB10_49 Depth=1
	s_or_b32 exec_lo, exec_lo, s21
.LBB10_669:                             ;   in Loop: Header=BB10_49 Depth=1
	s_and_not1_saveexec_b32 s19, s19
	s_cbranch_execz .LBB10_671
; %bb.670:                              ;   in Loop: Header=BB10_49 Depth=1
	global_wb scope:SCOPE_DEV
	s_wait_storecnt 0x0
	s_wait_loadcnt_dscnt 0x0
	global_inv scope:SCOPE_DEV
	s_barrier_signal -1
	s_barrier_wait -1
.LBB10_671:                             ;   in Loop: Header=BB10_49 Depth=1
	s_or_b32 exec_lo, exec_lo, s19
.LBB10_672:                             ;   in Loop: Header=BB10_49 Depth=1
	s_delay_alu instid0(SALU_CYCLE_1)
	s_or_b32 exec_lo, exec_lo, s7
	s_trap 2
	ds_load_b32 v2, v0
	v_cmp_lt_i32_e32 vcc_lo, 0, v10
	s_wait_dscnt 0x0
	v_readfirstlane_b32 s7, v2
	v_and_b32_e32 v2, 16, v30
	s_cmp_eq_u32 s7, 0
	s_delay_alu instid0(VALU_DEP_1) | instskip(SKIP_1) | instid1(SALU_CYCLE_1)
	v_cmp_ne_u32_e64 s7, 0, v2
	s_cselect_b32 s19, -1, 0
	s_and_b32 s19, vcc_lo, s19
	s_delay_alu instid0(SALU_CYCLE_1) | instskip(NEXT) | instid1(SALU_CYCLE_1)
	s_and_b32 s19, s7, s19
	s_and_saveexec_b32 s7, s19
	s_cbranch_execz .LBB10_674
; %bb.673:                              ;   in Loop: Header=BB10_49 Depth=1
	global_wb scope:SCOPE_SYS
	s_wait_loadcnt 0x0
	s_wait_storecnt 0x0
	global_inv scope:SCOPE_SYS
.LBB10_674:                             ;   in Loop: Header=BB10_49 Depth=1
	s_or_b32 exec_lo, exec_lo, s7
	v_cmp_ne_u32_e32 vcc_lo, 0, v2
	s_and_b32 s19, vcc_lo, s18
	s_delay_alu instid0(SALU_CYCLE_1)
	s_and_saveexec_b32 s7, s19
	s_cbranch_execz .LBB10_676
; %bb.675:                              ;   in Loop: Header=BB10_49 Depth=1
	global_wb scope:SCOPE_SYS
	s_wait_loadcnt 0x0
	s_wait_storecnt 0x0
	flat_store_b32 v[52:53], v119 scope:SCOPE_SYS
.LBB10_676:                             ;   in Loop: Header=BB10_49 Depth=1
	s_wait_xcnt 0x0
	s_or_b32 exec_lo, exec_lo, s7
	v_and_b32_e32 v2, 48, v30
	s_mov_b32 s7, exec_lo
	s_delay_alu instid0(VALU_DEP_1)
	v_cmpx_ne_u32_e32 0, v2
	s_cbranch_execz .LBB10_47
; %bb.677:                              ;   in Loop: Header=BB10_49 Depth=1
	v_add_nc_u64_e32 v[8:9], 1, v[8:9]
	global_wb scope:SCOPE_SYS
	s_wait_storecnt 0x0
	s_wait_loadcnt_dscnt 0x0
	flat_store_b64 v[32:33], v[8:9] scope:SCOPE_SYS
	s_branch .LBB10_47
.LBB10_678:
	s_or_b32 exec_lo, exec_lo, s16
	v_mov_b32_e32 v10, v109
.LBB10_679:
	s_or_b32 exec_lo, exec_lo, s14
                                        ; implicit-def: $vgpr26_vgpr27
                                        ; implicit-def: $vgpr4_vgpr5
                                        ; implicit-def: $vgpr34
                                        ; implicit-def: $vgpr48_vgpr49
                                        ; implicit-def: $vgpr36_vgpr37
                                        ; implicit-def: $vgpr32_vgpr33
                                        ; implicit-def: $vgpr0
                                        ; implicit-def: $vgpr19
                                        ; implicit-def: $vgpr50_vgpr51
.LBB10_680:
	s_and_not1_saveexec_b32 s13, s13
	s_cbranch_execz .LBB10_1304
; %bb.681:
	v_mov_b64_e32 v[38:39], 0
	s_mov_b32 s14, exec_lo
	v_cmpx_ne_u64_e32 0, v[4:5]
	s_cbranch_execz .LBB10_1303
; %bb.682:
	v_dual_ashrrev_i32 v35, 31, v34 :: v_dual_bitop2_b32 v2, 31, v31 bitop3:0x40
	v_dual_lshrrev_b32 v112, 5, v0 :: v_dual_mov_b32 v104, v10
	v_dual_mov_b32 v53, 0 :: v_dual_bitop2_b32 v113, 31, v0 bitop3:0x40
	s_delay_alu instid0(VALU_DEP_3) | instskip(NEXT) | instid1(VALU_DEP_3)
	v_cmp_eq_u32_e64 s4, 0, v2
	v_dual_lshlrev_b32 v2, 11, v112 :: v_dual_lshrrev_b32 v54, 5, v1
	s_lshr_b32 s2, s10, 27
	v_cmp_eq_u32_e32 vcc_lo, 32, v1
	v_mov_b64_e32 v[82:83], 0
	s_delay_alu instid0(VALU_DEP_3)
	v_lshl_or_b32 v64, v113, 4, v2
	v_dual_lshlrev_b32 v2, 1, v1 :: v_dual_lshlrev_b32 v68, 9, v54
	v_mov_b64_e32 v[38:39], 0
	v_cmp_ge_u32_e64 s1, v0, v1
	s_add_co_i32 s7, s10, s2
	v_cmp_ne_u32_e64 s2, 32, v1
	v_cmp_ne_u32_e64 s3, v1, v10
	v_dual_mov_b32 v55, v53 :: v_dual_mov_b32 v65, v53
	v_cmp_le_u32_e64 s5, v113, v19
	v_cmp_eq_u32_e64 s6, 0, v113
	v_dual_mov_b32 v67, v53 :: v_dual_lshlrev_b32 v66, 11, v54
	v_dual_mov_b32 v69, v53 :: v_dual_lshlrev_b32 v70, 10, v54
	v_dual_mov_b32 v71, v53 :: v_dual_mov_b32 v81, v53
	v_and_b32_e32 v80, 0x3fc0, v2
	v_mov_b32_e32 v114, 1
	s_ashr_i32 s16, s7, 5
	s_mov_b32 s15, 0
	s_xor_b32 s17, vcc_lo, -1
	s_trap 2
	s_branch .LBB10_685
.LBB10_683:                             ;   in Loop: Header=BB10_685 Depth=1
	s_wait_xcnt 0x0
	s_or_b32 exec_lo, exec_lo, s7
.LBB10_684:                             ;   in Loop: Header=BB10_685 Depth=1
	s_delay_alu instid0(SALU_CYCLE_1) | instskip(SKIP_1) | instid1(VALU_DEP_1)
	s_or_b32 exec_lo, exec_lo, s19
	v_add_nc_u64_e32 v[82:83], v[82:83], v[50:51]
	v_cmp_ge_u64_e32 vcc_lo, v[82:83], v[4:5]
	s_or_b32 s15, vcc_lo, s15
	s_delay_alu instid0(SALU_CYCLE_1)
	s_and_not1_b32 exec_lo, exec_lo, s15
	s_cbranch_execz .LBB10_1302
.LBB10_685:                             ; =>This Loop Header: Depth=1
                                        ;     Child Loop BB10_694 Depth 2
                                        ;     Child Loop BB10_718 Depth 2
	;; [unrolled: 1-line block ×10, first 2 shown]
	v_sub_nc_u64_e32 v[2:3], v[4:5], v[82:83]
	v_mov_b32_e32 v14, 0
	s_delay_alu instid0(VALU_DEP_2) | instskip(NEXT) | instid1(VALU_DEP_1)
	v_min_u64 v[84:85], v[50:51], v[2:3]
	v_add_nc_u32_e32 v2, 15, v84
	s_delay_alu instid0(VALU_DEP_2) | instskip(NEXT) | instid1(VALU_DEP_2)
	v_cmp_eq_u64_e32 vcc_lo, 0, v[84:85]
	v_and_b32_e32 v2, 0x3ffffff0, v2
	s_or_b32 s18, s1, vcc_lo
	s_delay_alu instid0(SALU_CYCLE_1) | instskip(NEXT) | instid1(VALU_DEP_1)
	s_xor_b32 s7, s18, -1
	v_max_i32_e32 v85, s16, v2
	s_and_saveexec_b32 s19, s7
	s_cbranch_execz .LBB10_1256
; %bb.686:                              ;   in Loop: Header=BB10_685 Depth=1
	s_and_saveexec_b32 s7, s0
	s_cbranch_execz .LBB10_688
; %bb.687:                              ;   in Loop: Header=BB10_685 Depth=1
	s_trap 2
	ds_load_b64 v[2:3], v0
	ds_load_2addr_b64 v[10:13], v0 offset1:1
	v_add_nc_u64_e32 v[14:15], v[82:83], v[26:27]
	s_delay_alu instid0(VALU_DEP_1) | instskip(SKIP_1) | instid1(VALU_DEP_1)
	v_lshlrev_b64_e32 v[14:15], 1, v[14:15]
	s_wait_dscnt 0x1
	v_add_nc_u64_e32 v[16:17], v[2:3], v[14:15]
	v_cmp_ne_u64_e32 vcc_lo, 0, v[2:3]
	s_wait_dscnt 0x0
	v_add_nc_u64_e32 v[2:3], v[10:11], v[14:15]
	v_add_nc_u64_e32 v[10:11], v[12:13], v[14:15]
	s_delay_alu instid0(VALU_DEP_4)
	v_dual_cndmask_b32 v13, 0, v17 :: v_dual_cndmask_b32 v12, 0, v16
	ds_store_b64 v0, v[2:3]
	ds_store_b64 v0, v[10:11]
	;; [unrolled: 1-line block ×3, first 2 shown]
.LBB10_688:                             ;   in Loop: Header=BB10_685 Depth=1
	s_or_b32 exec_lo, exec_lo, s7
	v_and_b32_e32 v2, 4, v30
	s_mov_b32 s20, exec_lo
	s_delay_alu instid0(VALU_DEP_1)
	v_cmpx_ne_u32_e32 0, v2
	s_cbranch_execz .LBB10_710
; %bb.689:                              ;   in Loop: Header=BB10_685 Depth=1
	v_add_nc_u64_e32 v[10:11], 1, v[8:9]
	s_mov_b32 s21, exec_lo
	s_wait_loadcnt 0x0
	s_delay_alu instid0(VALU_DEP_1)
	v_cmpx_lt_u64_e64 v[48:49], v[10:11]
	s_cbranch_execz .LBB10_701
; %bb.690:                              ;   in Loop: Header=BB10_685 Depth=1
	v_and_b32_e32 v2, 64, v30
	s_mov_b32 s22, 0
	s_mov_b32 s26, 0
                                        ; implicit-def: $sgpr23
                                        ; implicit-def: $sgpr24
                                        ; implicit-def: $sgpr25
	s_delay_alu instid0(VALU_DEP_1)
	v_cmp_eq_u32_e32 vcc_lo, 0, v2
	s_branch .LBB10_694
.LBB10_691:                             ;   in Loop: Header=BB10_694 Depth=2
	s_wait_loadcnt_dscnt 0x0
	v_cmp_ge_u64_e64 s7, v[48:49], v[10:11]
	s_or_b32 s29, s29, exec_lo
	s_or_not1_b32 s28, s7, exec_lo
.LBB10_692:                             ;   in Loop: Header=BB10_694 Depth=2
	s_or_b32 exec_lo, exec_lo, s41
	s_delay_alu instid0(SALU_CYCLE_1)
	s_and_not1_b32 s7, s25, exec_lo
	s_and_b32 s25, s29, exec_lo
	s_and_not1_b32 s24, s24, exec_lo
	s_and_b32 s28, s28, exec_lo
	s_or_b32 s25, s7, s25
	s_or_b32 s24, s24, s28
.LBB10_693:                             ;   in Loop: Header=BB10_694 Depth=2
	s_or_b32 exec_lo, exec_lo, s27
	s_delay_alu instid0(SALU_CYCLE_1) | instskip(NEXT) | instid1(SALU_CYCLE_1)
	s_and_b32 s7, exec_lo, s24
	s_or_b32 s22, s7, s22
	s_and_not1_b32 s7, s23, exec_lo
	s_and_b32 s23, s25, exec_lo
	s_delay_alu instid0(SALU_CYCLE_1)
	s_or_b32 s23, s7, s23
	s_and_not1_b32 exec_lo, exec_lo, s22
	s_cbranch_execz .LBB10_698
.LBB10_694:                             ;   Parent Loop BB10_685 Depth=1
                                        ; =>  This Inner Loop Header: Depth=2
	s_sleep 1
	s_wait_loadcnt_dscnt 0x0
	flat_load_b64 v[48:49], v[32:33] scope:SCOPE_SYS
	s_or_b32 s25, s25, exec_lo
	s_or_b32 s24, s24, exec_lo
                                        ; implicit-def: $vgpr2
	s_wait_xcnt 0x0
	s_and_saveexec_b32 s27, vcc_lo
	s_cbranch_execz .LBB10_693
; %bb.695:                              ;   in Loop: Header=BB10_694 Depth=2
	s_cmp_lt_i32 s26, 0x270f
	s_mov_b32 s28, -1
	s_cselect_b32 s40, -1, 0
	s_cmp_gt_i32 s26, 0x270e
	s_cbranch_scc0 .LBB10_697
; %bb.696:                              ;   in Loop: Header=BB10_694 Depth=2
	s_trap 2
	ds_load_b64 v[2:3], v0
	s_and_not1_b32 s26, s40, exec_lo
	s_mov_b32 s29, 0
	s_wait_storecnt 0x0
	s_wait_loadcnt_dscnt 0x0
	flat_load_b32 v2, v[2:3] scope:SCOPE_SYS
	s_wait_loadcnt_dscnt 0x0
	global_inv scope:SCOPE_SYS
	v_cmp_eq_u32_e64 s7, 0, v2
	s_and_b32 s7, s7, exec_lo
	s_delay_alu instid0(SALU_CYCLE_1)
	s_or_b32 s40, s26, s7
	s_mov_b32 s26, 0
	s_and_saveexec_b32 s41, s40
	s_cbranch_execz .LBB10_692
	s_branch .LBB10_691
.LBB10_697:                             ;   in Loop: Header=BB10_694 Depth=2
	s_add_co_i32 s26, s26, 1
	s_mov_b32 s29, -1
                                        ; implicit-def: $vgpr2
	s_and_saveexec_b32 s41, s40
	s_cbranch_execz .LBB10_692
	s_branch .LBB10_691
.LBB10_698:                             ;   in Loop: Header=BB10_685 Depth=1
	s_or_b32 exec_lo, exec_lo, s22
	s_xor_b32 s7, s23, -1
	s_delay_alu instid0(SALU_CYCLE_1) | instskip(NEXT) | instid1(SALU_CYCLE_1)
	s_and_saveexec_b32 s22, s7
	s_xor_b32 s7, exec_lo, s22
	s_cbranch_execz .LBB10_700
; %bb.699:                              ;   in Loop: Header=BB10_685 Depth=1
	v_or_b32_e32 v30, 64, v30
	s_wait_storecnt 0x0
	s_wait_loadcnt_dscnt 0x0
	ds_store_b32 v0, v2
	s_trap 2
.LBB10_700:                             ;   in Loop: Header=BB10_685 Depth=1
	s_or_b32 exec_lo, exec_lo, s7
.LBB10_701:                             ;   in Loop: Header=BB10_685 Depth=1
	s_delay_alu instid0(SALU_CYCLE_1)
	s_or_b32 exec_lo, exec_lo, s21
	v_and_b32_e32 v2, 0x100, v30
	v_and_b32_e32 v52, 7, v8
	s_mov_b32 s7, -1
	s_mov_b32 s21, exec_lo
	;;#ASMSTART
	s_wakeup
	;;#ASMEND
                                        ; implicit-def: $vgpr8_vgpr9
	v_cmpx_ne_u32_e32 0, v2
	s_cbranch_execz .LBB10_705
; %bb.702:                              ;   in Loop: Header=BB10_685 Depth=1
	v_mad_nc_u64_u32 v[12:13], v52, 24, v[6:7]
	s_mov_b32 s22, exec_lo
                                        ; implicit-def: $vgpr8_vgpr9
	flat_load_b32 v2, v[12:13]
	s_wait_loadcnt_dscnt 0x0
	v_cmp_ne_u32_e32 vcc_lo, 1, v2
	s_wait_xcnt 0x0
	v_cmpx_eq_u32_e32 1, v2
	s_cbranch_execz .LBB10_704
; %bb.703:                              ;   in Loop: Header=BB10_685 Depth=1
	flat_load_b32 v2, v[12:13] offset:4 scope:SCOPE_SYS
	s_wait_loadcnt_dscnt 0x0
	v_ashrrev_i32_e32 v3, 31, v2
	s_delay_alu instid0(VALU_DEP_1)
	v_lshrrev_b64 v[8:9], 1, v[2:3]
.LBB10_704:                             ;   in Loop: Header=BB10_685 Depth=1
	s_wait_xcnt 0x0
	s_or_b32 exec_lo, exec_lo, s22
	s_delay_alu instid0(SALU_CYCLE_1)
	s_or_not1_b32 s7, vcc_lo, exec_lo
.LBB10_705:                             ;   in Loop: Header=BB10_685 Depth=1
	s_or_b32 exec_lo, exec_lo, s21
	s_and_saveexec_b32 s21, s7
; %bb.706:                              ;   in Loop: Header=BB10_685 Depth=1
	v_mul_u64_e32 v[8:9], v[52:53], v[34:35]
; %bb.707:                              ;   in Loop: Header=BB10_685 Depth=1
	s_or_b32 exec_lo, exec_lo, s21
	v_and_b32_e32 v12, 0x2000, v30
	s_delay_alu instid0(VALU_DEP_2)
	v_lshl_add_u64 v[2:3], v[8:9], 1, v[36:37]
	s_mov_b32 s7, exec_lo
	ds_store_b64 v0, v[2:3] offset:728
	v_cmpx_ne_u32_e32 0, v12
	s_cbranch_execz .LBB10_709
; %bb.708:                              ;   in Loop: Header=BB10_685 Depth=1
	ds_load_b64 v[2:3], v0 offset:872
	s_wait_dscnt 0x0
	v_add_nc_u64_e32 v[2:3], 1, v[2:3]
	ds_store_b64 v0, v[2:3] offset:872
.LBB10_709:                             ;   in Loop: Header=BB10_685 Depth=1
	s_or_b32 exec_lo, exec_lo, s7
	v_mov_b64_e32 v[8:9], v[10:11]
.LBB10_710:                             ;   in Loop: Header=BB10_685 Depth=1
	s_or_b32 exec_lo, exec_lo, s20
	s_and_saveexec_b32 s7, s2
	s_cbranch_execz .LBB10_729
; %bb.711:                              ;   in Loop: Header=BB10_685 Depth=1
	s_and_saveexec_b32 s20, s3
	s_delay_alu instid0(SALU_CYCLE_1)
	s_xor_b32 s20, exec_lo, s20
	s_cbranch_execz .LBB10_726
; %bb.712:                              ;   in Loop: Header=BB10_685 Depth=1
	s_and_saveexec_b32 s21, s4
	s_cbranch_execz .LBB10_725
; %bb.713:                              ;   in Loop: Header=BB10_685 Depth=1
	s_mov_b32 s23, exec_lo
	s_mov_b32 s22, exec_lo
	v_mbcnt_lo_u32_b32 v2, s23, 0
	global_wb scope:SCOPE_DEV
	s_wait_storecnt 0x0
	s_wait_loadcnt_dscnt 0x0
	global_inv scope:SCOPE_DEV
	v_cmpx_eq_u32_e32 0, v2
	s_cbranch_execz .LBB10_715
; %bb.714:                              ;   in Loop: Header=BB10_685 Depth=1
	s_bcnt1_i32_b32 s23, s23
	s_delay_alu instid0(SALU_CYCLE_1)
	v_mov_b32_e32 v52, s23
	s_wait_loadcnt 0x0
	ds_add_u64 v0, v[52:53]
	s_trap 2
.LBB10_715:                             ;   in Loop: Header=BB10_685 Depth=1
	s_or_b32 exec_lo, exec_lo, s22
	s_trap 2
	ds_load_b64 v[2:3], v0
	s_wait_dscnt 0x0
	v_add_nc_u64_e32 v[38:39], v[38:39], v[54:55]
	s_mov_b32 s22, exec_lo
	s_delay_alu instid0(VALU_DEP_1)
	v_cmpx_lt_u64_e64 v[2:3], v[38:39]
	s_cbranch_execz .LBB10_724
; %bb.716:                              ;   in Loop: Header=BB10_685 Depth=1
	s_mov_b32 s23, 0
	s_mov_b32 s26, 0
                                        ; implicit-def: $sgpr24
                                        ; implicit-def: $sgpr25
	s_branch .LBB10_718
.LBB10_717:                             ;   in Loop: Header=BB10_718 Depth=2
	s_or_b32 exec_lo, exec_lo, s28
	s_delay_alu instid0(SALU_CYCLE_1) | instskip(NEXT) | instid1(SALU_CYCLE_1)
	s_and_b32 s27, exec_lo, s29
	s_or_b32 s23, s27, s23
	s_and_not1_b32 s24, s24, exec_lo
	s_and_b32 s27, s25, exec_lo
	s_delay_alu instid0(SALU_CYCLE_1)
	s_or_b32 s24, s24, s27
	s_and_not1_b32 exec_lo, exec_lo, s23
	s_cbranch_execz .LBB10_722
.LBB10_718:                             ;   Parent Loop BB10_685 Depth=1
                                        ; =>  This Inner Loop Header: Depth=2
	s_add_co_i32 s26, s26, 1
	s_delay_alu instid0(SALU_CYCLE_1) | instskip(SKIP_1) | instid1(SALU_CYCLE_1)
	s_cmp_lg_u32 s26, 0x2710
	s_cselect_b32 s27, -1, 0
	s_and_b32 vcc_lo, exec_lo, s27
	s_cbranch_vccz .LBB10_720
; %bb.719:                              ;   in Loop: Header=BB10_718 Depth=2
	s_mov_b32 s29, -1
	s_or_b32 s25, s25, exec_lo
	s_and_saveexec_b32 s28, s27
	s_cbranch_execz .LBB10_717
	s_branch .LBB10_721
.LBB10_720:                             ;   in Loop: Header=BB10_718 Depth=2
	s_trap 2
	ds_load_b64 v[2:3], v0
	s_and_not1_b32 s27, s27, exec_lo
	s_mov_b32 s26, 0
	s_wait_loadcnt_dscnt 0x0
	flat_load_b32 v2, v[2:3] scope:SCOPE_SYS
	s_wait_loadcnt_dscnt 0x0
	global_inv scope:SCOPE_SYS
	v_cmp_eq_u32_e32 vcc_lo, 0, v2
	s_and_b32 s28, vcc_lo, exec_lo
	s_delay_alu instid0(SALU_CYCLE_1)
	s_or_b32 s27, s27, s28
	s_mov_b32 s29, -1
	s_or_b32 s25, s25, exec_lo
	s_and_saveexec_b32 s28, s27
	s_cbranch_execz .LBB10_717
.LBB10_721:                             ;   in Loop: Header=BB10_718 Depth=2
	s_sleep 1
	s_trap 2
	ds_load_b64 v[2:3], v0
	s_wait_dscnt 0x0
	s_and_not1_b32 s25, s25, exec_lo
	v_cmp_ge_u64_e32 vcc_lo, v[2:3], v[38:39]
	s_or_not1_b32 s29, vcc_lo, exec_lo
	s_branch .LBB10_717
.LBB10_722:                             ;   in Loop: Header=BB10_685 Depth=1
	s_or_b32 exec_lo, exec_lo, s23
	s_and_saveexec_b32 s23, s24
	s_delay_alu instid0(SALU_CYCLE_1)
	s_xor_b32 s23, exec_lo, s23
	s_cbranch_execz .LBB10_724
; %bb.723:                              ;   in Loop: Header=BB10_685 Depth=1
	ds_store_b32 v0, v114
	s_trap 2
.LBB10_724:                             ;   in Loop: Header=BB10_685 Depth=1
	s_or_b32 exec_lo, exec_lo, s22
	;;#ASMSTART
	s_wakeup
	;;#ASMEND
.LBB10_725:                             ;   in Loop: Header=BB10_685 Depth=1
	s_or_b32 exec_lo, exec_lo, s21
.LBB10_726:                             ;   in Loop: Header=BB10_685 Depth=1
	s_and_not1_saveexec_b32 s20, s20
	s_cbranch_execz .LBB10_728
; %bb.727:                              ;   in Loop: Header=BB10_685 Depth=1
	global_wb scope:SCOPE_DEV
	s_wait_storecnt 0x0
	s_wait_loadcnt_dscnt 0x0
	global_inv scope:SCOPE_DEV
	s_barrier_signal -1
	s_barrier_wait -1
.LBB10_728:                             ;   in Loop: Header=BB10_685 Depth=1
	s_or_b32 exec_lo, exec_lo, s20
.LBB10_729:                             ;   in Loop: Header=BB10_685 Depth=1
	s_delay_alu instid0(SALU_CYCLE_1) | instskip(SKIP_3) | instid1(VALU_DEP_1)
	s_or_b32 exec_lo, exec_lo, s7
	s_trap 2
	ds_load_b32 v2, v0
	v_and_b32_e32 v3, 0x4000, v30
	v_cmp_ne_u32_e32 vcc_lo, 0, v3
	s_and_b32 s20, s17, vcc_lo
	s_delay_alu instid0(SALU_CYCLE_1)
	s_and_saveexec_b32 s7, s20
	s_cbranch_execz .LBB10_748
; %bb.730:                              ;   in Loop: Header=BB10_685 Depth=1
	s_and_saveexec_b32 s20, s3
	s_delay_alu instid0(SALU_CYCLE_1)
	s_xor_b32 s20, exec_lo, s20
	s_cbranch_execz .LBB10_745
; %bb.731:                              ;   in Loop: Header=BB10_685 Depth=1
	s_and_saveexec_b32 s21, s4
	s_cbranch_execz .LBB10_744
; %bb.732:                              ;   in Loop: Header=BB10_685 Depth=1
	s_mov_b32 s23, exec_lo
	s_mov_b32 s22, exec_lo
	v_mbcnt_lo_u32_b32 v3, s23, 0
	global_wb scope:SCOPE_DEV
	s_wait_storecnt 0x0
	s_wait_loadcnt_dscnt 0x0
	global_inv scope:SCOPE_DEV
	v_cmpx_eq_u32_e32 0, v3
	s_cbranch_execz .LBB10_734
; %bb.733:                              ;   in Loop: Header=BB10_685 Depth=1
	s_bcnt1_i32_b32 s23, s23
	s_delay_alu instid0(SALU_CYCLE_1)
	v_mov_b32_e32 v52, s23
	s_wait_loadcnt 0x0
	ds_add_u64 v0, v[52:53]
	s_trap 2
.LBB10_734:                             ;   in Loop: Header=BB10_685 Depth=1
	s_or_b32 exec_lo, exec_lo, s22
	s_trap 2
	ds_load_b64 v[10:11], v0
	s_wait_dscnt 0x0
	v_add_nc_u64_e32 v[38:39], v[38:39], v[54:55]
	s_mov_b32 s22, exec_lo
	s_delay_alu instid0(VALU_DEP_1)
	v_cmpx_lt_u64_e64 v[10:11], v[38:39]
	s_cbranch_execz .LBB10_743
; %bb.735:                              ;   in Loop: Header=BB10_685 Depth=1
	s_mov_b32 s23, 0
	s_mov_b32 s26, 0
                                        ; implicit-def: $sgpr24
                                        ; implicit-def: $sgpr25
	s_branch .LBB10_737
.LBB10_736:                             ;   in Loop: Header=BB10_737 Depth=2
	s_or_b32 exec_lo, exec_lo, s28
	s_delay_alu instid0(SALU_CYCLE_1) | instskip(NEXT) | instid1(SALU_CYCLE_1)
	s_and_b32 s27, exec_lo, s29
	s_or_b32 s23, s27, s23
	s_and_not1_b32 s24, s24, exec_lo
	s_and_b32 s27, s25, exec_lo
	s_delay_alu instid0(SALU_CYCLE_1)
	s_or_b32 s24, s24, s27
	s_and_not1_b32 exec_lo, exec_lo, s23
	s_cbranch_execz .LBB10_741
.LBB10_737:                             ;   Parent Loop BB10_685 Depth=1
                                        ; =>  This Inner Loop Header: Depth=2
	s_add_co_i32 s26, s26, 1
	s_delay_alu instid0(SALU_CYCLE_1) | instskip(SKIP_1) | instid1(SALU_CYCLE_1)
	s_cmp_lg_u32 s26, 0x2710
	s_cselect_b32 s27, -1, 0
	s_and_b32 vcc_lo, exec_lo, s27
	s_cbranch_vccz .LBB10_739
; %bb.738:                              ;   in Loop: Header=BB10_737 Depth=2
	s_mov_b32 s29, -1
	s_or_b32 s25, s25, exec_lo
	s_and_saveexec_b32 s28, s27
	s_cbranch_execz .LBB10_736
	s_branch .LBB10_740
.LBB10_739:                             ;   in Loop: Header=BB10_737 Depth=2
	s_trap 2
	ds_load_b64 v[10:11], v0
	s_and_not1_b32 s27, s27, exec_lo
	s_mov_b32 s26, 0
	s_wait_loadcnt_dscnt 0x0
	flat_load_b32 v3, v[10:11] scope:SCOPE_SYS
	s_wait_loadcnt_dscnt 0x0
	global_inv scope:SCOPE_SYS
	v_cmp_eq_u32_e32 vcc_lo, 0, v3
	s_and_b32 s28, vcc_lo, exec_lo
	s_delay_alu instid0(SALU_CYCLE_1)
	s_or_b32 s27, s27, s28
	s_mov_b32 s29, -1
	s_or_b32 s25, s25, exec_lo
	s_and_saveexec_b32 s28, s27
	s_cbranch_execz .LBB10_736
.LBB10_740:                             ;   in Loop: Header=BB10_737 Depth=2
	s_sleep 1
	s_trap 2
	ds_load_b64 v[10:11], v0
	s_wait_dscnt 0x0
	s_and_not1_b32 s25, s25, exec_lo
	v_cmp_ge_u64_e32 vcc_lo, v[10:11], v[38:39]
	s_or_not1_b32 s29, vcc_lo, exec_lo
	s_branch .LBB10_736
.LBB10_741:                             ;   in Loop: Header=BB10_685 Depth=1
	s_or_b32 exec_lo, exec_lo, s23
	s_and_saveexec_b32 s23, s24
	s_delay_alu instid0(SALU_CYCLE_1)
	s_xor_b32 s23, exec_lo, s23
	s_cbranch_execz .LBB10_743
; %bb.742:                              ;   in Loop: Header=BB10_685 Depth=1
	ds_store_b32 v0, v114
	s_trap 2
.LBB10_743:                             ;   in Loop: Header=BB10_685 Depth=1
	s_or_b32 exec_lo, exec_lo, s22
	;;#ASMSTART
	s_wakeup
	;;#ASMEND
.LBB10_744:                             ;   in Loop: Header=BB10_685 Depth=1
	s_or_b32 exec_lo, exec_lo, s21
.LBB10_745:                             ;   in Loop: Header=BB10_685 Depth=1
	s_and_not1_saveexec_b32 s20, s20
	s_cbranch_execz .LBB10_747
; %bb.746:                              ;   in Loop: Header=BB10_685 Depth=1
	global_wb scope:SCOPE_DEV
	s_wait_storecnt 0x0
	s_wait_loadcnt_dscnt 0x0
	global_inv scope:SCOPE_DEV
	s_barrier_signal -1
	s_barrier_wait -1
.LBB10_747:                             ;   in Loop: Header=BB10_685 Depth=1
	s_or_b32 exec_lo, exec_lo, s20
.LBB10_748:                             ;   in Loop: Header=BB10_685 Depth=1
	s_delay_alu instid0(SALU_CYCLE_1)
	s_or_b32 exec_lo, exec_lo, s7
	s_trap 2
	ds_load_b64 v[86:87], v0
	v_min_u32_e32 v85, v85, v84
	s_wait_dscnt 0x0
	v_cmp_eq_u64_e32 vcc_lo, 0, v[86:87]
	s_cbranch_vccnz .LBB10_756
; %bb.749:                              ;   in Loop: Header=BB10_685 Depth=1
	s_trap 2
	ds_load_b64 v[96:97], v0
	s_wait_dscnt 0x0
	v_cmp_eq_u64_e32 vcc_lo, 0, v[96:97]
	s_cbranch_vccnz .LBB10_756
; %bb.750:                              ;   in Loop: Header=BB10_685 Depth=1
	s_mov_b32 s7, -1
	s_and_saveexec_b32 s20, s5
	s_cbranch_execz .LBB10_752
; %bb.751:                              ;   in Loop: Header=BB10_685 Depth=1
	ds_load_b32 v3, v0 offset:720
	s_wait_dscnt 0x0
	v_and_b32_e32 v3, 15, v3
	s_delay_alu instid0(VALU_DEP_1)
	v_cmp_eq_u32_e32 vcc_lo, 0, v3
	s_or_not1_b32 s7, vcc_lo, exec_lo
.LBB10_752:                             ;   in Loop: Header=BB10_685 Depth=1
	s_or_b32 exec_lo, exec_lo, s20
	s_and_saveexec_b32 s20, s6
	s_cbranch_execz .LBB10_754
; %bb.753:                              ;   in Loop: Header=BB10_685 Depth=1
	ds_load_b32 v3, v0 offset:784
	s_wait_dscnt 0x0
	v_and_b32_e32 v3, 15, v3
	s_delay_alu instid0(VALU_DEP_1) | instskip(SKIP_3) | instid1(SALU_CYCLE_1)
	v_cmp_eq_u32_e32 vcc_lo, 0, v3
	s_and_b32 s21, s7, vcc_lo
	s_and_not1_b32 s7, s7, exec_lo
	s_and_b32 s21, s21, exec_lo
	s_or_b32 s7, s7, s21
.LBB10_754:                             ;   in Loop: Header=BB10_685 Depth=1
	s_or_b32 exec_lo, exec_lo, s20
	v_cmp_eq_u32_e32 vcc_lo, 0, v2
	s_xor_b32 s7, s7, -1
	s_mov_b32 s21, -1
	v_cndmask_b32_e64 v3, 0, 1, s7
	v_dual_mov_b32 v16, 0 :: v_dual_cndmask_b32 v52, 0, v85, vcc_lo
	s_delay_alu instid0(VALU_DEP_2) | instskip(NEXT) | instid1(VALU_DEP_2)
	v_cmp_ne_u32_e32 vcc_lo, 0, v3
	v_lshlrev_b32_e32 v115, 1, v52
	s_cbranch_vccz .LBB10_757
; %bb.755:                              ;   in Loop: Header=BB10_685 Depth=1
	v_mov_b32_e32 v17, v0
	s_and_saveexec_b32 s7, s21
	s_cbranch_execnz .LBB10_1088
	s_branch .LBB10_1232
.LBB10_756:                             ;   in Loop: Header=BB10_685 Depth=1
	s_mov_b32 s7, 0
	s_and_saveexec_b32 s20, s2
	s_cbranch_execnz .LBB10_1233
	s_branch .LBB10_1251
.LBB10_757:                             ;   in Loop: Header=BB10_685 Depth=1
	v_lshrrev_b32_e32 v118, 10, v52
	s_mov_b32 s7, exec_lo
	s_delay_alu instid0(VALU_DEP_1) | instskip(NEXT) | instid1(VALU_DEP_1)
	v_sub_nc_u32_e32 v117, v118, v112
	v_cmpx_lt_i32_e32 0, v117
	s_cbranch_execz .LBB10_1017
; %bb.758:                              ;   in Loop: Header=BB10_685 Depth=1
	s_trap 2
	ds_load_b64 v[2:3], v0
	ds_load_b32 v10, v0
	v_add_nc_u64_e32 v[98:99], v[86:87], v[64:65]
	v_add_nc_u64_e32 v[102:103], v[96:97], v[64:65]
	s_mov_b32 s20, 0
	s_wait_dscnt 0x1
	v_add_nc_u64_e32 v[100:101], v[2:3], v[64:65]
	s_wait_dscnt 0x0
	v_lshlrev_b32_e32 v119, 16, v10
	s_branch .LBB10_760
.LBB10_759:                             ;   in Loop: Header=BB10_760 Depth=2
	s_or_b32 exec_lo, exec_lo, s21
	v_dual_lshrrev_b32 v41, 16, v62 :: v_dual_lshrrev_b32 v42, 16, v72
	v_dual_lshrrev_b32 v43, 16, v60 :: v_dual_lshrrev_b32 v44, 16, v58
	v_lshrrev_b32_e32 v45, 16, v78
	s_delay_alu instid0(VALU_DEP_3) | instskip(SKIP_1) | instid1(VALU_DEP_4)
	v_and_or_b32 v15, 0xffff0000, v15, v41
	v_lshrrev_b32_e32 v41, 16, v88
	v_and_or_b32 v16, 0xffff0000, v16, v43
	v_dual_lshrrev_b32 v43, 16, v94 :: v_dual_lshrrev_b32 v40, 16, v40
	v_and_or_b32 v14, 0xffff0000, v14, v42
	s_delay_alu instid0(VALU_DEP_4)
	v_and_or_b32 v18, 0xffff0000, v18, v41
	v_dual_lshrrev_b32 v41, 16, v76 :: v_dual_lshrrev_b32 v42, 16, v74
	v_and_or_b32 v17, 0xffff0000, v17, v44
	v_lshrrev_b32_e32 v44, 16, v92
	v_and_or_b32 v22, 0xffff0000, v22, v40
	v_lshrrev_b32_e32 v40, 16, v90
	v_and_or_b32 v20, 0xffff0000, v20, v41
	v_and_or_b32 v21, 0xffff0000, v21, v42
	v_dual_lshrrev_b32 v2, 16, v2 :: v_dual_lshrrev_b32 v41, 16, v56
	v_dual_lshrrev_b32 v42, 16, v11 :: v_dual_lshrrev_b32 v116, 16, v116
	v_and_or_b32 v23, 0xffff0000, v23, v43
	v_and_or_b32 v24, 0xffff0000, v24, v44
	;; [unrolled: 1-line block ×3, first 2 shown]
	v_sub_nc_u32_e32 v117, v117, v54
	v_and_or_b32 v19, 0xffff0000, v19, v45
	v_and_or_b32 v11, 0xffff0000, v3, v2
	;; [unrolled: 1-line block ×5, first 2 shown]
	s_clause 0x3
	global_store_b128 v[102:103], v[22:25], off th:TH_STORE_NT
	global_store_b128 v[102:103], v[18:21], off offset:512 th:TH_STORE_NT
	global_store_b128 v[102:103], v[14:17], off offset:1024 th:TH_STORE_NT
	;; [unrolled: 1-line block ×3, first 2 shown]
	v_add_nc_u64_e32 v[98:99], v[98:99], v[66:67]
	v_add_nc_u64_e32 v[100:101], v[100:101], v[66:67]
	v_cmp_gt_i32_e32 vcc_lo, 1, v117
	s_wait_xcnt 0x0
	v_add_nc_u64_e32 v[102:103], v[102:103], v[66:67]
	s_or_b32 s20, vcc_lo, s20
	s_delay_alu instid0(SALU_CYCLE_1)
	s_and_not1_b32 exec_lo, exec_lo, s20
	s_cbranch_execz .LBB10_1016
.LBB10_760:                             ;   Parent Loop BB10_685 Depth=1
                                        ; =>  This Inner Loop Header: Depth=2
	global_load_b128 v[10:13], v[98:99], off th:TH_LOAD_NT
	s_mov_b32 s21, exec_lo
                                        ; implicit-def: $vgpr40
	s_wait_loadcnt 0x0
	v_lshlrev_b32_e32 v2, 16, v10
	s_delay_alu instid0(VALU_DEP_1) | instskip(NEXT) | instid1(VALU_DEP_1)
	v_mul_f32_e32 v2, v119, v2
	v_and_b32_e32 v3, 0x7f800000, v2
	s_wait_xcnt 0x0
	s_delay_alu instid0(VALU_DEP_1)
	v_cmpx_ne_u32_e32 0x7f800000, v3
	s_xor_b32 s21, exec_lo, s21
; %bb.761:                              ;   in Loop: Header=BB10_760 Depth=2
	v_bfe_u32 v3, v2, 16, 1
	s_delay_alu instid0(VALU_DEP_1)
	v_add3_u32 v40, v2, v3, 0x7fff
                                        ; implicit-def: $vgpr2
; %bb.762:                              ;   in Loop: Header=BB10_760 Depth=2
	s_and_not1_saveexec_b32 s21, s21
; %bb.763:                              ;   in Loop: Header=BB10_760 Depth=2
	v_and_b32_e32 v3, 0xffff, v2
	v_or_b32_e32 v14, 0x10000, v2
	s_delay_alu instid0(VALU_DEP_2) | instskip(NEXT) | instid1(VALU_DEP_2)
	v_cmp_eq_u32_e32 vcc_lo, 0, v3
	v_cndmask_b32_e32 v40, v14, v2, vcc_lo
; %bb.764:                              ;   in Loop: Header=BB10_760 Depth=2
	s_or_b32 exec_lo, exec_lo, s21
	v_and_b32_e32 v2, 0xffff0000, v10
	s_mov_b32 s21, exec_lo
                                        ; implicit-def: $vgpr94
	s_delay_alu instid0(VALU_DEP_1) | instskip(NEXT) | instid1(VALU_DEP_1)
	v_mul_f32_e32 v2, v119, v2
	v_and_b32_e32 v3, 0x7f800000, v2
	s_delay_alu instid0(VALU_DEP_1)
	v_cmpx_ne_u32_e32 0x7f800000, v3
	s_xor_b32 s21, exec_lo, s21
; %bb.765:                              ;   in Loop: Header=BB10_760 Depth=2
	v_bfe_u32 v3, v2, 16, 1
	s_delay_alu instid0(VALU_DEP_1)
	v_add3_u32 v94, v2, v3, 0x7fff
                                        ; implicit-def: $vgpr2
; %bb.766:                              ;   in Loop: Header=BB10_760 Depth=2
	s_and_not1_saveexec_b32 s21, s21
; %bb.767:                              ;   in Loop: Header=BB10_760 Depth=2
	v_and_b32_e32 v3, 0xffff, v2
	v_or_b32_e32 v10, 0x10000, v2
	s_delay_alu instid0(VALU_DEP_2) | instskip(NEXT) | instid1(VALU_DEP_2)
	v_cmp_eq_u32_e32 vcc_lo, 0, v3
	v_cndmask_b32_e32 v94, v10, v2, vcc_lo
; %bb.768:                              ;   in Loop: Header=BB10_760 Depth=2
	s_or_b32 exec_lo, exec_lo, s21
	v_lshlrev_b32_e32 v2, 16, v11
	s_mov_b32 s21, exec_lo
                                        ; implicit-def: $vgpr95
	s_delay_alu instid0(VALU_DEP_1) | instskip(NEXT) | instid1(VALU_DEP_1)
	v_mul_f32_e32 v2, v119, v2
	v_and_b32_e32 v3, 0x7f800000, v2
	s_delay_alu instid0(VALU_DEP_1)
	v_cmpx_ne_u32_e32 0x7f800000, v3
	s_xor_b32 s21, exec_lo, s21
; %bb.769:                              ;   in Loop: Header=BB10_760 Depth=2
	v_bfe_u32 v3, v2, 16, 1
	s_delay_alu instid0(VALU_DEP_1)
	v_add3_u32 v95, v2, v3, 0x7fff
                                        ; implicit-def: $vgpr2
; %bb.770:                              ;   in Loop: Header=BB10_760 Depth=2
	s_and_not1_saveexec_b32 s21, s21
; %bb.771:                              ;   in Loop: Header=BB10_760 Depth=2
	v_and_b32_e32 v3, 0xffff, v2
	v_or_b32_e32 v10, 0x10000, v2
	s_delay_alu instid0(VALU_DEP_2) | instskip(NEXT) | instid1(VALU_DEP_2)
	v_cmp_eq_u32_e32 vcc_lo, 0, v3
	v_cndmask_b32_e32 v95, v10, v2, vcc_lo
; %bb.772:                              ;   in Loop: Header=BB10_760 Depth=2
	s_or_b32 exec_lo, exec_lo, s21
	v_and_b32_e32 v2, 0xffff0000, v11
	s_mov_b32 s21, exec_lo
                                        ; implicit-def: $vgpr92
	s_delay_alu instid0(VALU_DEP_1) | instskip(NEXT) | instid1(VALU_DEP_1)
	v_mul_f32_e32 v2, v119, v2
	v_and_b32_e32 v3, 0x7f800000, v2
	s_delay_alu instid0(VALU_DEP_1)
	v_cmpx_ne_u32_e32 0x7f800000, v3
	s_xor_b32 s21, exec_lo, s21
; %bb.773:                              ;   in Loop: Header=BB10_760 Depth=2
	v_bfe_u32 v3, v2, 16, 1
	s_delay_alu instid0(VALU_DEP_1)
	v_add3_u32 v92, v2, v3, 0x7fff
                                        ; implicit-def: $vgpr2
; %bb.774:                              ;   in Loop: Header=BB10_760 Depth=2
	s_and_not1_saveexec_b32 s21, s21
; %bb.775:                              ;   in Loop: Header=BB10_760 Depth=2
	v_and_b32_e32 v3, 0xffff, v2
	v_or_b32_e32 v10, 0x10000, v2
	s_delay_alu instid0(VALU_DEP_2) | instskip(NEXT) | instid1(VALU_DEP_2)
	v_cmp_eq_u32_e32 vcc_lo, 0, v3
	v_cndmask_b32_e32 v92, v10, v2, vcc_lo
; %bb.776:                              ;   in Loop: Header=BB10_760 Depth=2
	s_or_b32 exec_lo, exec_lo, s21
	v_lshlrev_b32_e32 v2, 16, v12
	s_mov_b32 s21, exec_lo
                                        ; implicit-def: $vgpr93
	s_delay_alu instid0(VALU_DEP_1) | instskip(NEXT) | instid1(VALU_DEP_1)
	v_mul_f32_e32 v2, v119, v2
	v_and_b32_e32 v3, 0x7f800000, v2
	s_delay_alu instid0(VALU_DEP_1)
	v_cmpx_ne_u32_e32 0x7f800000, v3
	s_xor_b32 s21, exec_lo, s21
; %bb.777:                              ;   in Loop: Header=BB10_760 Depth=2
	v_bfe_u32 v3, v2, 16, 1
	s_delay_alu instid0(VALU_DEP_1)
	v_add3_u32 v93, v2, v3, 0x7fff
                                        ; implicit-def: $vgpr2
; %bb.778:                              ;   in Loop: Header=BB10_760 Depth=2
	s_and_not1_saveexec_b32 s21, s21
; %bb.779:                              ;   in Loop: Header=BB10_760 Depth=2
	v_and_b32_e32 v3, 0xffff, v2
	v_or_b32_e32 v10, 0x10000, v2
	s_delay_alu instid0(VALU_DEP_2) | instskip(NEXT) | instid1(VALU_DEP_2)
	v_cmp_eq_u32_e32 vcc_lo, 0, v3
	v_cndmask_b32_e32 v93, v10, v2, vcc_lo
; %bb.780:                              ;   in Loop: Header=BB10_760 Depth=2
	s_or_b32 exec_lo, exec_lo, s21
	v_and_b32_e32 v2, 0xffff0000, v12
	s_mov_b32 s21, exec_lo
                                        ; implicit-def: $vgpr90
	s_delay_alu instid0(VALU_DEP_1) | instskip(NEXT) | instid1(VALU_DEP_1)
	v_mul_f32_e32 v2, v119, v2
	v_and_b32_e32 v3, 0x7f800000, v2
	s_delay_alu instid0(VALU_DEP_1)
	v_cmpx_ne_u32_e32 0x7f800000, v3
	s_xor_b32 s21, exec_lo, s21
; %bb.781:                              ;   in Loop: Header=BB10_760 Depth=2
	v_bfe_u32 v3, v2, 16, 1
	s_delay_alu instid0(VALU_DEP_1)
	v_add3_u32 v90, v2, v3, 0x7fff
                                        ; implicit-def: $vgpr2
; %bb.782:                              ;   in Loop: Header=BB10_760 Depth=2
	s_and_not1_saveexec_b32 s21, s21
; %bb.783:                              ;   in Loop: Header=BB10_760 Depth=2
	v_and_b32_e32 v3, 0xffff, v2
	v_or_b32_e32 v10, 0x10000, v2
	s_delay_alu instid0(VALU_DEP_2) | instskip(NEXT) | instid1(VALU_DEP_2)
	v_cmp_eq_u32_e32 vcc_lo, 0, v3
	v_cndmask_b32_e32 v90, v10, v2, vcc_lo
; %bb.784:                              ;   in Loop: Header=BB10_760 Depth=2
	s_or_b32 exec_lo, exec_lo, s21
	v_lshlrev_b32_e32 v2, 16, v13
	s_mov_b32 s21, exec_lo
                                        ; implicit-def: $vgpr91
	s_delay_alu instid0(VALU_DEP_1) | instskip(NEXT) | instid1(VALU_DEP_1)
	v_mul_f32_e32 v2, v119, v2
	v_and_b32_e32 v3, 0x7f800000, v2
	s_delay_alu instid0(VALU_DEP_1)
	v_cmpx_ne_u32_e32 0x7f800000, v3
	s_xor_b32 s21, exec_lo, s21
; %bb.785:                              ;   in Loop: Header=BB10_760 Depth=2
	v_bfe_u32 v3, v2, 16, 1
	s_delay_alu instid0(VALU_DEP_1)
	v_add3_u32 v91, v2, v3, 0x7fff
                                        ; implicit-def: $vgpr2
; %bb.786:                              ;   in Loop: Header=BB10_760 Depth=2
	s_and_not1_saveexec_b32 s21, s21
; %bb.787:                              ;   in Loop: Header=BB10_760 Depth=2
	v_and_b32_e32 v3, 0xffff, v2
	v_or_b32_e32 v10, 0x10000, v2
	s_delay_alu instid0(VALU_DEP_2) | instskip(NEXT) | instid1(VALU_DEP_2)
	v_cmp_eq_u32_e32 vcc_lo, 0, v3
	v_cndmask_b32_e32 v91, v10, v2, vcc_lo
; %bb.788:                              ;   in Loop: Header=BB10_760 Depth=2
	s_or_b32 exec_lo, exec_lo, s21
	v_and_b32_e32 v2, 0xffff0000, v13
	s_mov_b32 s21, exec_lo
                                        ; implicit-def: $vgpr88
	s_delay_alu instid0(VALU_DEP_1) | instskip(NEXT) | instid1(VALU_DEP_1)
	v_mul_f32_e32 v2, v119, v2
	v_and_b32_e32 v3, 0x7f800000, v2
	s_delay_alu instid0(VALU_DEP_1)
	v_cmpx_ne_u32_e32 0x7f800000, v3
	s_xor_b32 s21, exec_lo, s21
; %bb.789:                              ;   in Loop: Header=BB10_760 Depth=2
	v_bfe_u32 v3, v2, 16, 1
	s_delay_alu instid0(VALU_DEP_1)
	v_add3_u32 v88, v2, v3, 0x7fff
                                        ; implicit-def: $vgpr2
; %bb.790:                              ;   in Loop: Header=BB10_760 Depth=2
	s_and_not1_saveexec_b32 s21, s21
; %bb.791:                              ;   in Loop: Header=BB10_760 Depth=2
	v_and_b32_e32 v3, 0xffff, v2
	v_or_b32_e32 v10, 0x10000, v2
	s_delay_alu instid0(VALU_DEP_2) | instskip(NEXT) | instid1(VALU_DEP_2)
	v_cmp_eq_u32_e32 vcc_lo, 0, v3
	v_cndmask_b32_e32 v88, v10, v2, vcc_lo
; %bb.792:                              ;   in Loop: Header=BB10_760 Depth=2
	s_or_b32 exec_lo, exec_lo, s21
	global_load_b128 v[10:13], v[98:99], off offset:512 th:TH_LOAD_NT
	s_mov_b32 s21, exec_lo
                                        ; implicit-def: $vgpr89
	s_wait_loadcnt 0x0
	v_lshlrev_b32_e32 v2, 16, v10
	s_delay_alu instid0(VALU_DEP_1) | instskip(NEXT) | instid1(VALU_DEP_1)
	v_mul_f32_e32 v2, v119, v2
	v_and_b32_e32 v3, 0x7f800000, v2
	s_wait_xcnt 0x0
	s_delay_alu instid0(VALU_DEP_1)
	v_cmpx_ne_u32_e32 0x7f800000, v3
	s_xor_b32 s21, exec_lo, s21
; %bb.793:                              ;   in Loop: Header=BB10_760 Depth=2
	v_bfe_u32 v3, v2, 16, 1
	s_delay_alu instid0(VALU_DEP_1)
	v_add3_u32 v89, v2, v3, 0x7fff
                                        ; implicit-def: $vgpr2
; %bb.794:                              ;   in Loop: Header=BB10_760 Depth=2
	s_and_not1_saveexec_b32 s21, s21
; %bb.795:                              ;   in Loop: Header=BB10_760 Depth=2
	v_and_b32_e32 v3, 0xffff, v2
	v_or_b32_e32 v14, 0x10000, v2
	s_delay_alu instid0(VALU_DEP_2) | instskip(NEXT) | instid1(VALU_DEP_2)
	v_cmp_eq_u32_e32 vcc_lo, 0, v3
	v_cndmask_b32_e32 v89, v14, v2, vcc_lo
; %bb.796:                              ;   in Loop: Header=BB10_760 Depth=2
	s_or_b32 exec_lo, exec_lo, s21
	v_and_b32_e32 v2, 0xffff0000, v10
	s_mov_b32 s21, exec_lo
                                        ; implicit-def: $vgpr78
	s_delay_alu instid0(VALU_DEP_1) | instskip(NEXT) | instid1(VALU_DEP_1)
	v_mul_f32_e32 v2, v119, v2
	v_and_b32_e32 v3, 0x7f800000, v2
	s_delay_alu instid0(VALU_DEP_1)
	v_cmpx_ne_u32_e32 0x7f800000, v3
	s_xor_b32 s21, exec_lo, s21
; %bb.797:                              ;   in Loop: Header=BB10_760 Depth=2
	v_bfe_u32 v3, v2, 16, 1
	s_delay_alu instid0(VALU_DEP_1)
	v_add3_u32 v78, v2, v3, 0x7fff
                                        ; implicit-def: $vgpr2
; %bb.798:                              ;   in Loop: Header=BB10_760 Depth=2
	s_and_not1_saveexec_b32 s21, s21
; %bb.799:                              ;   in Loop: Header=BB10_760 Depth=2
	v_and_b32_e32 v3, 0xffff, v2
	v_or_b32_e32 v10, 0x10000, v2
	s_delay_alu instid0(VALU_DEP_2) | instskip(NEXT) | instid1(VALU_DEP_2)
	v_cmp_eq_u32_e32 vcc_lo, 0, v3
	v_cndmask_b32_e32 v78, v10, v2, vcc_lo
; %bb.800:                              ;   in Loop: Header=BB10_760 Depth=2
	s_or_b32 exec_lo, exec_lo, s21
	v_lshlrev_b32_e32 v2, 16, v11
	s_mov_b32 s21, exec_lo
                                        ; implicit-def: $vgpr79
	s_delay_alu instid0(VALU_DEP_1) | instskip(NEXT) | instid1(VALU_DEP_1)
	v_mul_f32_e32 v2, v119, v2
	v_and_b32_e32 v3, 0x7f800000, v2
	s_delay_alu instid0(VALU_DEP_1)
	v_cmpx_ne_u32_e32 0x7f800000, v3
	s_xor_b32 s21, exec_lo, s21
; %bb.801:                              ;   in Loop: Header=BB10_760 Depth=2
	v_bfe_u32 v3, v2, 16, 1
	s_delay_alu instid0(VALU_DEP_1)
	v_add3_u32 v79, v2, v3, 0x7fff
                                        ; implicit-def: $vgpr2
; %bb.802:                              ;   in Loop: Header=BB10_760 Depth=2
	s_and_not1_saveexec_b32 s21, s21
; %bb.803:                              ;   in Loop: Header=BB10_760 Depth=2
	v_and_b32_e32 v3, 0xffff, v2
	v_or_b32_e32 v10, 0x10000, v2
	s_delay_alu instid0(VALU_DEP_2) | instskip(NEXT) | instid1(VALU_DEP_2)
	v_cmp_eq_u32_e32 vcc_lo, 0, v3
	v_cndmask_b32_e32 v79, v10, v2, vcc_lo
; %bb.804:                              ;   in Loop: Header=BB10_760 Depth=2
	s_or_b32 exec_lo, exec_lo, s21
	v_and_b32_e32 v2, 0xffff0000, v11
	s_mov_b32 s21, exec_lo
                                        ; implicit-def: $vgpr76
	s_delay_alu instid0(VALU_DEP_1) | instskip(NEXT) | instid1(VALU_DEP_1)
	v_mul_f32_e32 v2, v119, v2
	v_and_b32_e32 v3, 0x7f800000, v2
	s_delay_alu instid0(VALU_DEP_1)
	v_cmpx_ne_u32_e32 0x7f800000, v3
	s_xor_b32 s21, exec_lo, s21
; %bb.805:                              ;   in Loop: Header=BB10_760 Depth=2
	v_bfe_u32 v3, v2, 16, 1
	s_delay_alu instid0(VALU_DEP_1)
	v_add3_u32 v76, v2, v3, 0x7fff
                                        ; implicit-def: $vgpr2
; %bb.806:                              ;   in Loop: Header=BB10_760 Depth=2
	s_and_not1_saveexec_b32 s21, s21
; %bb.807:                              ;   in Loop: Header=BB10_760 Depth=2
	v_and_b32_e32 v3, 0xffff, v2
	v_or_b32_e32 v10, 0x10000, v2
	s_delay_alu instid0(VALU_DEP_2) | instskip(NEXT) | instid1(VALU_DEP_2)
	v_cmp_eq_u32_e32 vcc_lo, 0, v3
	v_cndmask_b32_e32 v76, v10, v2, vcc_lo
; %bb.808:                              ;   in Loop: Header=BB10_760 Depth=2
	s_or_b32 exec_lo, exec_lo, s21
	v_lshlrev_b32_e32 v2, 16, v12
	s_mov_b32 s21, exec_lo
                                        ; implicit-def: $vgpr77
	s_delay_alu instid0(VALU_DEP_1) | instskip(NEXT) | instid1(VALU_DEP_1)
	v_mul_f32_e32 v2, v119, v2
	v_and_b32_e32 v3, 0x7f800000, v2
	s_delay_alu instid0(VALU_DEP_1)
	v_cmpx_ne_u32_e32 0x7f800000, v3
	s_xor_b32 s21, exec_lo, s21
; %bb.809:                              ;   in Loop: Header=BB10_760 Depth=2
	v_bfe_u32 v3, v2, 16, 1
	s_delay_alu instid0(VALU_DEP_1)
	v_add3_u32 v77, v2, v3, 0x7fff
                                        ; implicit-def: $vgpr2
; %bb.810:                              ;   in Loop: Header=BB10_760 Depth=2
	s_and_not1_saveexec_b32 s21, s21
; %bb.811:                              ;   in Loop: Header=BB10_760 Depth=2
	v_and_b32_e32 v3, 0xffff, v2
	v_or_b32_e32 v10, 0x10000, v2
	s_delay_alu instid0(VALU_DEP_2) | instskip(NEXT) | instid1(VALU_DEP_2)
	v_cmp_eq_u32_e32 vcc_lo, 0, v3
	v_cndmask_b32_e32 v77, v10, v2, vcc_lo
; %bb.812:                              ;   in Loop: Header=BB10_760 Depth=2
	s_or_b32 exec_lo, exec_lo, s21
	v_and_b32_e32 v2, 0xffff0000, v12
	s_mov_b32 s21, exec_lo
                                        ; implicit-def: $vgpr74
	s_delay_alu instid0(VALU_DEP_1) | instskip(NEXT) | instid1(VALU_DEP_1)
	v_mul_f32_e32 v2, v119, v2
	v_and_b32_e32 v3, 0x7f800000, v2
	s_delay_alu instid0(VALU_DEP_1)
	v_cmpx_ne_u32_e32 0x7f800000, v3
	s_xor_b32 s21, exec_lo, s21
; %bb.813:                              ;   in Loop: Header=BB10_760 Depth=2
	v_bfe_u32 v3, v2, 16, 1
	s_delay_alu instid0(VALU_DEP_1)
	v_add3_u32 v74, v2, v3, 0x7fff
                                        ; implicit-def: $vgpr2
; %bb.814:                              ;   in Loop: Header=BB10_760 Depth=2
	s_and_not1_saveexec_b32 s21, s21
; %bb.815:                              ;   in Loop: Header=BB10_760 Depth=2
	v_and_b32_e32 v3, 0xffff, v2
	v_or_b32_e32 v10, 0x10000, v2
	s_delay_alu instid0(VALU_DEP_2) | instskip(NEXT) | instid1(VALU_DEP_2)
	v_cmp_eq_u32_e32 vcc_lo, 0, v3
	v_cndmask_b32_e32 v74, v10, v2, vcc_lo
; %bb.816:                              ;   in Loop: Header=BB10_760 Depth=2
	s_or_b32 exec_lo, exec_lo, s21
	v_lshlrev_b32_e32 v2, 16, v13
	s_mov_b32 s21, exec_lo
                                        ; implicit-def: $vgpr75
	s_delay_alu instid0(VALU_DEP_1) | instskip(NEXT) | instid1(VALU_DEP_1)
	v_mul_f32_e32 v2, v119, v2
	v_and_b32_e32 v3, 0x7f800000, v2
	s_delay_alu instid0(VALU_DEP_1)
	v_cmpx_ne_u32_e32 0x7f800000, v3
	s_xor_b32 s21, exec_lo, s21
; %bb.817:                              ;   in Loop: Header=BB10_760 Depth=2
	v_bfe_u32 v3, v2, 16, 1
	s_delay_alu instid0(VALU_DEP_1)
	v_add3_u32 v75, v2, v3, 0x7fff
                                        ; implicit-def: $vgpr2
; %bb.818:                              ;   in Loop: Header=BB10_760 Depth=2
	s_and_not1_saveexec_b32 s21, s21
; %bb.819:                              ;   in Loop: Header=BB10_760 Depth=2
	v_and_b32_e32 v3, 0xffff, v2
	v_or_b32_e32 v10, 0x10000, v2
	s_delay_alu instid0(VALU_DEP_2) | instskip(NEXT) | instid1(VALU_DEP_2)
	v_cmp_eq_u32_e32 vcc_lo, 0, v3
	v_cndmask_b32_e32 v75, v10, v2, vcc_lo
; %bb.820:                              ;   in Loop: Header=BB10_760 Depth=2
	s_or_b32 exec_lo, exec_lo, s21
	v_and_b32_e32 v2, 0xffff0000, v13
	s_mov_b32 s21, exec_lo
                                        ; implicit-def: $vgpr72
	s_delay_alu instid0(VALU_DEP_1) | instskip(NEXT) | instid1(VALU_DEP_1)
	v_mul_f32_e32 v2, v119, v2
	v_and_b32_e32 v3, 0x7f800000, v2
	s_delay_alu instid0(VALU_DEP_1)
	v_cmpx_ne_u32_e32 0x7f800000, v3
	s_xor_b32 s21, exec_lo, s21
; %bb.821:                              ;   in Loop: Header=BB10_760 Depth=2
	v_bfe_u32 v3, v2, 16, 1
	s_delay_alu instid0(VALU_DEP_1)
	v_add3_u32 v72, v2, v3, 0x7fff
                                        ; implicit-def: $vgpr2
; %bb.822:                              ;   in Loop: Header=BB10_760 Depth=2
	s_and_not1_saveexec_b32 s21, s21
; %bb.823:                              ;   in Loop: Header=BB10_760 Depth=2
	v_and_b32_e32 v3, 0xffff, v2
	v_or_b32_e32 v10, 0x10000, v2
	s_delay_alu instid0(VALU_DEP_2) | instskip(NEXT) | instid1(VALU_DEP_2)
	v_cmp_eq_u32_e32 vcc_lo, 0, v3
	v_cndmask_b32_e32 v72, v10, v2, vcc_lo
; %bb.824:                              ;   in Loop: Header=BB10_760 Depth=2
	s_or_b32 exec_lo, exec_lo, s21
	global_load_b128 v[10:13], v[98:99], off offset:1024 th:TH_LOAD_NT
	s_mov_b32 s21, exec_lo
                                        ; implicit-def: $vgpr73
	s_wait_loadcnt 0x0
	v_lshlrev_b32_e32 v2, 16, v10
	s_delay_alu instid0(VALU_DEP_1) | instskip(NEXT) | instid1(VALU_DEP_1)
	v_mul_f32_e32 v2, v119, v2
	v_and_b32_e32 v3, 0x7f800000, v2
	s_wait_xcnt 0x0
	s_delay_alu instid0(VALU_DEP_1)
	v_cmpx_ne_u32_e32 0x7f800000, v3
	s_xor_b32 s21, exec_lo, s21
; %bb.825:                              ;   in Loop: Header=BB10_760 Depth=2
	v_bfe_u32 v3, v2, 16, 1
	s_delay_alu instid0(VALU_DEP_1)
	v_add3_u32 v73, v2, v3, 0x7fff
                                        ; implicit-def: $vgpr2
; %bb.826:                              ;   in Loop: Header=BB10_760 Depth=2
	s_and_not1_saveexec_b32 s21, s21
; %bb.827:                              ;   in Loop: Header=BB10_760 Depth=2
	v_and_b32_e32 v3, 0xffff, v2
	v_or_b32_e32 v14, 0x10000, v2
	s_delay_alu instid0(VALU_DEP_2) | instskip(NEXT) | instid1(VALU_DEP_2)
	v_cmp_eq_u32_e32 vcc_lo, 0, v3
	v_cndmask_b32_e32 v73, v14, v2, vcc_lo
; %bb.828:                              ;   in Loop: Header=BB10_760 Depth=2
	s_or_b32 exec_lo, exec_lo, s21
	v_and_b32_e32 v2, 0xffff0000, v10
	s_mov_b32 s21, exec_lo
                                        ; implicit-def: $vgpr62
	s_delay_alu instid0(VALU_DEP_1) | instskip(NEXT) | instid1(VALU_DEP_1)
	v_mul_f32_e32 v2, v119, v2
	v_and_b32_e32 v3, 0x7f800000, v2
	s_delay_alu instid0(VALU_DEP_1)
	v_cmpx_ne_u32_e32 0x7f800000, v3
	s_xor_b32 s21, exec_lo, s21
; %bb.829:                              ;   in Loop: Header=BB10_760 Depth=2
	v_bfe_u32 v3, v2, 16, 1
	s_delay_alu instid0(VALU_DEP_1)
	v_add3_u32 v62, v2, v3, 0x7fff
                                        ; implicit-def: $vgpr2
; %bb.830:                              ;   in Loop: Header=BB10_760 Depth=2
	s_and_not1_saveexec_b32 s21, s21
; %bb.831:                              ;   in Loop: Header=BB10_760 Depth=2
	v_and_b32_e32 v3, 0xffff, v2
	v_or_b32_e32 v10, 0x10000, v2
	s_delay_alu instid0(VALU_DEP_2) | instskip(NEXT) | instid1(VALU_DEP_2)
	v_cmp_eq_u32_e32 vcc_lo, 0, v3
	v_cndmask_b32_e32 v62, v10, v2, vcc_lo
; %bb.832:                              ;   in Loop: Header=BB10_760 Depth=2
	s_or_b32 exec_lo, exec_lo, s21
	v_lshlrev_b32_e32 v2, 16, v11
	s_mov_b32 s21, exec_lo
                                        ; implicit-def: $vgpr63
	s_delay_alu instid0(VALU_DEP_1) | instskip(NEXT) | instid1(VALU_DEP_1)
	v_mul_f32_e32 v2, v119, v2
	v_and_b32_e32 v3, 0x7f800000, v2
	s_delay_alu instid0(VALU_DEP_1)
	v_cmpx_ne_u32_e32 0x7f800000, v3
	s_xor_b32 s21, exec_lo, s21
; %bb.833:                              ;   in Loop: Header=BB10_760 Depth=2
	v_bfe_u32 v3, v2, 16, 1
	s_delay_alu instid0(VALU_DEP_1)
	v_add3_u32 v63, v2, v3, 0x7fff
                                        ; implicit-def: $vgpr2
; %bb.834:                              ;   in Loop: Header=BB10_760 Depth=2
	s_and_not1_saveexec_b32 s21, s21
; %bb.835:                              ;   in Loop: Header=BB10_760 Depth=2
	v_and_b32_e32 v3, 0xffff, v2
	v_or_b32_e32 v10, 0x10000, v2
	s_delay_alu instid0(VALU_DEP_2) | instskip(NEXT) | instid1(VALU_DEP_2)
	v_cmp_eq_u32_e32 vcc_lo, 0, v3
	v_cndmask_b32_e32 v63, v10, v2, vcc_lo
; %bb.836:                              ;   in Loop: Header=BB10_760 Depth=2
	s_or_b32 exec_lo, exec_lo, s21
	v_and_b32_e32 v2, 0xffff0000, v11
	s_mov_b32 s21, exec_lo
                                        ; implicit-def: $vgpr60
	s_delay_alu instid0(VALU_DEP_1) | instskip(NEXT) | instid1(VALU_DEP_1)
	v_mul_f32_e32 v2, v119, v2
	v_and_b32_e32 v3, 0x7f800000, v2
	s_delay_alu instid0(VALU_DEP_1)
	v_cmpx_ne_u32_e32 0x7f800000, v3
	s_xor_b32 s21, exec_lo, s21
; %bb.837:                              ;   in Loop: Header=BB10_760 Depth=2
	v_bfe_u32 v3, v2, 16, 1
	s_delay_alu instid0(VALU_DEP_1)
	v_add3_u32 v60, v2, v3, 0x7fff
                                        ; implicit-def: $vgpr2
; %bb.838:                              ;   in Loop: Header=BB10_760 Depth=2
	s_and_not1_saveexec_b32 s21, s21
; %bb.839:                              ;   in Loop: Header=BB10_760 Depth=2
	v_and_b32_e32 v3, 0xffff, v2
	v_or_b32_e32 v10, 0x10000, v2
	s_delay_alu instid0(VALU_DEP_2) | instskip(NEXT) | instid1(VALU_DEP_2)
	v_cmp_eq_u32_e32 vcc_lo, 0, v3
	v_cndmask_b32_e32 v60, v10, v2, vcc_lo
; %bb.840:                              ;   in Loop: Header=BB10_760 Depth=2
	s_or_b32 exec_lo, exec_lo, s21
	v_lshlrev_b32_e32 v2, 16, v12
	s_mov_b32 s21, exec_lo
                                        ; implicit-def: $vgpr61
	s_delay_alu instid0(VALU_DEP_1) | instskip(NEXT) | instid1(VALU_DEP_1)
	v_mul_f32_e32 v2, v119, v2
	v_and_b32_e32 v3, 0x7f800000, v2
	s_delay_alu instid0(VALU_DEP_1)
	v_cmpx_ne_u32_e32 0x7f800000, v3
	s_xor_b32 s21, exec_lo, s21
; %bb.841:                              ;   in Loop: Header=BB10_760 Depth=2
	v_bfe_u32 v3, v2, 16, 1
	s_delay_alu instid0(VALU_DEP_1)
	v_add3_u32 v61, v2, v3, 0x7fff
                                        ; implicit-def: $vgpr2
; %bb.842:                              ;   in Loop: Header=BB10_760 Depth=2
	s_and_not1_saveexec_b32 s21, s21
; %bb.843:                              ;   in Loop: Header=BB10_760 Depth=2
	v_and_b32_e32 v3, 0xffff, v2
	v_or_b32_e32 v10, 0x10000, v2
	s_delay_alu instid0(VALU_DEP_2) | instskip(NEXT) | instid1(VALU_DEP_2)
	v_cmp_eq_u32_e32 vcc_lo, 0, v3
	v_cndmask_b32_e32 v61, v10, v2, vcc_lo
; %bb.844:                              ;   in Loop: Header=BB10_760 Depth=2
	s_or_b32 exec_lo, exec_lo, s21
	v_and_b32_e32 v2, 0xffff0000, v12
	s_mov_b32 s21, exec_lo
                                        ; implicit-def: $vgpr58
	s_delay_alu instid0(VALU_DEP_1) | instskip(NEXT) | instid1(VALU_DEP_1)
	v_mul_f32_e32 v2, v119, v2
	v_and_b32_e32 v3, 0x7f800000, v2
	s_delay_alu instid0(VALU_DEP_1)
	v_cmpx_ne_u32_e32 0x7f800000, v3
	s_xor_b32 s21, exec_lo, s21
; %bb.845:                              ;   in Loop: Header=BB10_760 Depth=2
	v_bfe_u32 v3, v2, 16, 1
	s_delay_alu instid0(VALU_DEP_1)
	v_add3_u32 v58, v2, v3, 0x7fff
                                        ; implicit-def: $vgpr2
; %bb.846:                              ;   in Loop: Header=BB10_760 Depth=2
	s_and_not1_saveexec_b32 s21, s21
; %bb.847:                              ;   in Loop: Header=BB10_760 Depth=2
	v_and_b32_e32 v3, 0xffff, v2
	v_or_b32_e32 v10, 0x10000, v2
	s_delay_alu instid0(VALU_DEP_2) | instskip(NEXT) | instid1(VALU_DEP_2)
	v_cmp_eq_u32_e32 vcc_lo, 0, v3
	v_cndmask_b32_e32 v58, v10, v2, vcc_lo
; %bb.848:                              ;   in Loop: Header=BB10_760 Depth=2
	s_or_b32 exec_lo, exec_lo, s21
	v_lshlrev_b32_e32 v2, 16, v13
	s_mov_b32 s21, exec_lo
                                        ; implicit-def: $vgpr59
	s_delay_alu instid0(VALU_DEP_1) | instskip(NEXT) | instid1(VALU_DEP_1)
	v_mul_f32_e32 v2, v119, v2
	v_and_b32_e32 v3, 0x7f800000, v2
	s_delay_alu instid0(VALU_DEP_1)
	v_cmpx_ne_u32_e32 0x7f800000, v3
	s_xor_b32 s21, exec_lo, s21
; %bb.849:                              ;   in Loop: Header=BB10_760 Depth=2
	v_bfe_u32 v3, v2, 16, 1
	s_delay_alu instid0(VALU_DEP_1)
	v_add3_u32 v59, v2, v3, 0x7fff
                                        ; implicit-def: $vgpr2
; %bb.850:                              ;   in Loop: Header=BB10_760 Depth=2
	s_and_not1_saveexec_b32 s21, s21
; %bb.851:                              ;   in Loop: Header=BB10_760 Depth=2
	v_and_b32_e32 v3, 0xffff, v2
	v_or_b32_e32 v10, 0x10000, v2
	s_delay_alu instid0(VALU_DEP_2) | instskip(NEXT) | instid1(VALU_DEP_2)
	v_cmp_eq_u32_e32 vcc_lo, 0, v3
	v_cndmask_b32_e32 v59, v10, v2, vcc_lo
; %bb.852:                              ;   in Loop: Header=BB10_760 Depth=2
	s_or_b32 exec_lo, exec_lo, s21
	v_and_b32_e32 v2, 0xffff0000, v13
	s_mov_b32 s21, exec_lo
                                        ; implicit-def: $vgpr56
	s_delay_alu instid0(VALU_DEP_1) | instskip(NEXT) | instid1(VALU_DEP_1)
	v_mul_f32_e32 v2, v119, v2
	v_and_b32_e32 v3, 0x7f800000, v2
	s_delay_alu instid0(VALU_DEP_1)
	v_cmpx_ne_u32_e32 0x7f800000, v3
	s_xor_b32 s21, exec_lo, s21
; %bb.853:                              ;   in Loop: Header=BB10_760 Depth=2
	v_bfe_u32 v3, v2, 16, 1
	s_delay_alu instid0(VALU_DEP_1)
	v_add3_u32 v56, v2, v3, 0x7fff
                                        ; implicit-def: $vgpr2
; %bb.854:                              ;   in Loop: Header=BB10_760 Depth=2
	s_and_not1_saveexec_b32 s21, s21
; %bb.855:                              ;   in Loop: Header=BB10_760 Depth=2
	v_and_b32_e32 v3, 0xffff, v2
	v_or_b32_e32 v10, 0x10000, v2
	s_delay_alu instid0(VALU_DEP_2) | instskip(NEXT) | instid1(VALU_DEP_2)
	v_cmp_eq_u32_e32 vcc_lo, 0, v3
	v_cndmask_b32_e32 v56, v10, v2, vcc_lo
; %bb.856:                              ;   in Loop: Header=BB10_760 Depth=2
	s_or_b32 exec_lo, exec_lo, s21
	global_load_b128 v[10:13], v[98:99], off offset:1536 th:TH_LOAD_NT
	s_mov_b32 s21, exec_lo
                                        ; implicit-def: $vgpr57
	s_wait_loadcnt 0x0
	v_lshlrev_b32_e32 v2, 16, v10
	s_delay_alu instid0(VALU_DEP_1) | instskip(NEXT) | instid1(VALU_DEP_1)
	v_mul_f32_e32 v2, v119, v2
	v_and_b32_e32 v3, 0x7f800000, v2
	s_wait_xcnt 0x0
	s_delay_alu instid0(VALU_DEP_1)
	v_cmpx_ne_u32_e32 0x7f800000, v3
	s_xor_b32 s21, exec_lo, s21
; %bb.857:                              ;   in Loop: Header=BB10_760 Depth=2
	v_bfe_u32 v3, v2, 16, 1
	s_delay_alu instid0(VALU_DEP_1)
	v_add3_u32 v57, v2, v3, 0x7fff
                                        ; implicit-def: $vgpr2
; %bb.858:                              ;   in Loop: Header=BB10_760 Depth=2
	s_and_not1_saveexec_b32 s21, s21
; %bb.859:                              ;   in Loop: Header=BB10_760 Depth=2
	v_and_b32_e32 v3, 0xffff, v2
	v_or_b32_e32 v14, 0x10000, v2
	s_delay_alu instid0(VALU_DEP_2) | instskip(NEXT) | instid1(VALU_DEP_2)
	v_cmp_eq_u32_e32 vcc_lo, 0, v3
	v_cndmask_b32_e32 v57, v14, v2, vcc_lo
; %bb.860:                              ;   in Loop: Header=BB10_760 Depth=2
	s_or_b32 exec_lo, exec_lo, s21
	v_and_b32_e32 v2, 0xffff0000, v10
	s_mov_b32 s21, exec_lo
                                        ; implicit-def: $vgpr46
	s_delay_alu instid0(VALU_DEP_1) | instskip(NEXT) | instid1(VALU_DEP_1)
	v_mul_f32_e32 v2, v119, v2
	v_and_b32_e32 v3, 0x7f800000, v2
	s_delay_alu instid0(VALU_DEP_1)
	v_cmpx_ne_u32_e32 0x7f800000, v3
	s_xor_b32 s21, exec_lo, s21
; %bb.861:                              ;   in Loop: Header=BB10_760 Depth=2
	v_bfe_u32 v3, v2, 16, 1
	s_delay_alu instid0(VALU_DEP_1)
	v_add3_u32 v46, v2, v3, 0x7fff
                                        ; implicit-def: $vgpr2
; %bb.862:                              ;   in Loop: Header=BB10_760 Depth=2
	s_and_not1_saveexec_b32 s21, s21
; %bb.863:                              ;   in Loop: Header=BB10_760 Depth=2
	v_and_b32_e32 v3, 0xffff, v2
	v_or_b32_e32 v10, 0x10000, v2
	s_delay_alu instid0(VALU_DEP_2) | instskip(NEXT) | instid1(VALU_DEP_2)
	v_cmp_eq_u32_e32 vcc_lo, 0, v3
	v_cndmask_b32_e32 v46, v10, v2, vcc_lo
; %bb.864:                              ;   in Loop: Header=BB10_760 Depth=2
	s_or_b32 exec_lo, exec_lo, s21
	v_lshlrev_b32_e32 v2, 16, v11
	s_mov_b32 s21, exec_lo
                                        ; implicit-def: $vgpr47
	s_delay_alu instid0(VALU_DEP_1) | instskip(NEXT) | instid1(VALU_DEP_1)
	v_mul_f32_e32 v2, v119, v2
	v_and_b32_e32 v3, 0x7f800000, v2
	s_delay_alu instid0(VALU_DEP_1)
	v_cmpx_ne_u32_e32 0x7f800000, v3
	s_xor_b32 s21, exec_lo, s21
; %bb.865:                              ;   in Loop: Header=BB10_760 Depth=2
	v_bfe_u32 v3, v2, 16, 1
	s_delay_alu instid0(VALU_DEP_1)
	v_add3_u32 v47, v2, v3, 0x7fff
                                        ; implicit-def: $vgpr2
; %bb.866:                              ;   in Loop: Header=BB10_760 Depth=2
	s_and_not1_saveexec_b32 s21, s21
; %bb.867:                              ;   in Loop: Header=BB10_760 Depth=2
	v_and_b32_e32 v3, 0xffff, v2
	v_or_b32_e32 v10, 0x10000, v2
	s_delay_alu instid0(VALU_DEP_2) | instskip(NEXT) | instid1(VALU_DEP_2)
	v_cmp_eq_u32_e32 vcc_lo, 0, v3
	v_cndmask_b32_e32 v47, v10, v2, vcc_lo
; %bb.868:                              ;   in Loop: Header=BB10_760 Depth=2
	s_or_b32 exec_lo, exec_lo, s21
	v_and_b32_e32 v2, 0xffff0000, v11
	s_mov_b32 s21, exec_lo
                                        ; implicit-def: $vgpr44
	s_delay_alu instid0(VALU_DEP_1) | instskip(NEXT) | instid1(VALU_DEP_1)
	v_mul_f32_e32 v2, v119, v2
	v_and_b32_e32 v3, 0x7f800000, v2
	s_delay_alu instid0(VALU_DEP_1)
	v_cmpx_ne_u32_e32 0x7f800000, v3
	s_xor_b32 s21, exec_lo, s21
; %bb.869:                              ;   in Loop: Header=BB10_760 Depth=2
	v_bfe_u32 v3, v2, 16, 1
	s_delay_alu instid0(VALU_DEP_1)
	v_add3_u32 v44, v2, v3, 0x7fff
                                        ; implicit-def: $vgpr2
; %bb.870:                              ;   in Loop: Header=BB10_760 Depth=2
	s_and_not1_saveexec_b32 s21, s21
; %bb.871:                              ;   in Loop: Header=BB10_760 Depth=2
	v_and_b32_e32 v3, 0xffff, v2
	v_or_b32_e32 v10, 0x10000, v2
	s_delay_alu instid0(VALU_DEP_2) | instskip(NEXT) | instid1(VALU_DEP_2)
	v_cmp_eq_u32_e32 vcc_lo, 0, v3
	v_cndmask_b32_e32 v44, v10, v2, vcc_lo
; %bb.872:                              ;   in Loop: Header=BB10_760 Depth=2
	s_or_b32 exec_lo, exec_lo, s21
	v_lshlrev_b32_e32 v2, 16, v12
	s_mov_b32 s21, exec_lo
                                        ; implicit-def: $vgpr45
	s_delay_alu instid0(VALU_DEP_1) | instskip(NEXT) | instid1(VALU_DEP_1)
	v_mul_f32_e32 v2, v119, v2
	v_and_b32_e32 v3, 0x7f800000, v2
	s_delay_alu instid0(VALU_DEP_1)
	v_cmpx_ne_u32_e32 0x7f800000, v3
	s_xor_b32 s21, exec_lo, s21
; %bb.873:                              ;   in Loop: Header=BB10_760 Depth=2
	v_bfe_u32 v3, v2, 16, 1
	s_delay_alu instid0(VALU_DEP_1)
	v_add3_u32 v45, v2, v3, 0x7fff
                                        ; implicit-def: $vgpr2
; %bb.874:                              ;   in Loop: Header=BB10_760 Depth=2
	s_and_not1_saveexec_b32 s21, s21
; %bb.875:                              ;   in Loop: Header=BB10_760 Depth=2
	v_and_b32_e32 v3, 0xffff, v2
	v_or_b32_e32 v10, 0x10000, v2
	s_delay_alu instid0(VALU_DEP_2) | instskip(NEXT) | instid1(VALU_DEP_2)
	v_cmp_eq_u32_e32 vcc_lo, 0, v3
	v_cndmask_b32_e32 v45, v10, v2, vcc_lo
; %bb.876:                              ;   in Loop: Header=BB10_760 Depth=2
	s_or_b32 exec_lo, exec_lo, s21
	v_and_b32_e32 v2, 0xffff0000, v12
	s_mov_b32 s21, exec_lo
                                        ; implicit-def: $vgpr42
	s_delay_alu instid0(VALU_DEP_1) | instskip(NEXT) | instid1(VALU_DEP_1)
	v_mul_f32_e32 v2, v119, v2
	v_and_b32_e32 v3, 0x7f800000, v2
	s_delay_alu instid0(VALU_DEP_1)
	v_cmpx_ne_u32_e32 0x7f800000, v3
	s_xor_b32 s21, exec_lo, s21
; %bb.877:                              ;   in Loop: Header=BB10_760 Depth=2
	v_bfe_u32 v3, v2, 16, 1
	s_delay_alu instid0(VALU_DEP_1)
	v_add3_u32 v42, v2, v3, 0x7fff
                                        ; implicit-def: $vgpr2
; %bb.878:                              ;   in Loop: Header=BB10_760 Depth=2
	s_and_not1_saveexec_b32 s21, s21
; %bb.879:                              ;   in Loop: Header=BB10_760 Depth=2
	v_and_b32_e32 v3, 0xffff, v2
	v_or_b32_e32 v10, 0x10000, v2
	s_delay_alu instid0(VALU_DEP_2) | instskip(NEXT) | instid1(VALU_DEP_2)
	v_cmp_eq_u32_e32 vcc_lo, 0, v3
	v_cndmask_b32_e32 v42, v10, v2, vcc_lo
; %bb.880:                              ;   in Loop: Header=BB10_760 Depth=2
	s_or_b32 exec_lo, exec_lo, s21
	v_lshlrev_b32_e32 v2, 16, v13
	s_mov_b32 s21, exec_lo
                                        ; implicit-def: $vgpr43
	s_delay_alu instid0(VALU_DEP_1) | instskip(NEXT) | instid1(VALU_DEP_1)
	v_mul_f32_e32 v2, v119, v2
	v_and_b32_e32 v3, 0x7f800000, v2
	s_delay_alu instid0(VALU_DEP_1)
	v_cmpx_ne_u32_e32 0x7f800000, v3
	s_xor_b32 s21, exec_lo, s21
; %bb.881:                              ;   in Loop: Header=BB10_760 Depth=2
	v_bfe_u32 v3, v2, 16, 1
	s_delay_alu instid0(VALU_DEP_1)
	v_add3_u32 v43, v2, v3, 0x7fff
                                        ; implicit-def: $vgpr2
; %bb.882:                              ;   in Loop: Header=BB10_760 Depth=2
	s_and_not1_saveexec_b32 s21, s21
; %bb.883:                              ;   in Loop: Header=BB10_760 Depth=2
	v_and_b32_e32 v3, 0xffff, v2
	v_or_b32_e32 v10, 0x10000, v2
	s_delay_alu instid0(VALU_DEP_2) | instskip(NEXT) | instid1(VALU_DEP_2)
	v_cmp_eq_u32_e32 vcc_lo, 0, v3
	v_cndmask_b32_e32 v43, v10, v2, vcc_lo
; %bb.884:                              ;   in Loop: Header=BB10_760 Depth=2
	s_or_b32 exec_lo, exec_lo, s21
	v_and_b32_e32 v2, 0xffff0000, v13
	s_mov_b32 s21, exec_lo
                                        ; implicit-def: $vgpr41
	s_delay_alu instid0(VALU_DEP_1) | instskip(NEXT) | instid1(VALU_DEP_1)
	v_mul_f32_e32 v2, v119, v2
	v_and_b32_e32 v3, 0x7f800000, v2
	s_delay_alu instid0(VALU_DEP_1)
	v_cmpx_ne_u32_e32 0x7f800000, v3
	s_xor_b32 s21, exec_lo, s21
; %bb.885:                              ;   in Loop: Header=BB10_760 Depth=2
	v_bfe_u32 v3, v2, 16, 1
	s_delay_alu instid0(VALU_DEP_1)
	v_add3_u32 v41, v2, v3, 0x7fff
                                        ; implicit-def: $vgpr2
; %bb.886:                              ;   in Loop: Header=BB10_760 Depth=2
	s_and_not1_saveexec_b32 s21, s21
; %bb.887:                              ;   in Loop: Header=BB10_760 Depth=2
	v_and_b32_e32 v3, 0xffff, v2
	v_or_b32_e32 v10, 0x10000, v2
	s_delay_alu instid0(VALU_DEP_2) | instskip(NEXT) | instid1(VALU_DEP_2)
	v_cmp_eq_u32_e32 vcc_lo, 0, v3
	v_cndmask_b32_e32 v41, v10, v2, vcc_lo
; %bb.888:                              ;   in Loop: Header=BB10_760 Depth=2
	s_or_b32 exec_lo, exec_lo, s21
	s_clause 0x3
	global_load_b128 v[22:25], v[100:101], off th:TH_LOAD_NT
	global_load_b128 v[18:21], v[100:101], off offset:512 th:TH_LOAD_NT
	global_load_b128 v[14:17], v[100:101], off offset:1024 th:TH_LOAD_NT
	;; [unrolled: 1-line block ×3, first 2 shown]
	v_and_b32_e32 v2, 0xffff0000, v40
	s_mov_b32 s21, exec_lo
                                        ; implicit-def: $vgpr40
	s_wait_loadcnt 0x3
	v_lshlrev_b32_e32 v3, 16, v22
	s_delay_alu instid0(VALU_DEP_1) | instskip(NEXT) | instid1(VALU_DEP_1)
	v_add_f32_e32 v2, v2, v3
	v_and_b32_e32 v3, 0x7f800000, v2
	s_wait_xcnt 0x0
	s_delay_alu instid0(VALU_DEP_1)
	v_cmpx_ne_u32_e32 0x7f800000, v3
	s_xor_b32 s21, exec_lo, s21
; %bb.889:                              ;   in Loop: Header=BB10_760 Depth=2
	v_bfe_u32 v3, v2, 16, 1
	s_delay_alu instid0(VALU_DEP_1)
	v_add3_u32 v40, v2, v3, 0x7fff
                                        ; implicit-def: $vgpr2
; %bb.890:                              ;   in Loop: Header=BB10_760 Depth=2
	s_and_not1_saveexec_b32 s21, s21
; %bb.891:                              ;   in Loop: Header=BB10_760 Depth=2
	v_and_b32_e32 v3, 0xffff, v2
	v_or_b32_e32 v116, 0x10000, v2
	s_delay_alu instid0(VALU_DEP_2) | instskip(NEXT) | instid1(VALU_DEP_2)
	v_cmp_eq_u32_e32 vcc_lo, 0, v3
	v_cndmask_b32_e32 v40, v116, v2, vcc_lo
; %bb.892:                              ;   in Loop: Header=BB10_760 Depth=2
	s_or_b32 exec_lo, exec_lo, s21
	v_and_b32_e32 v2, 0xffff0000, v22
	v_and_b32_e32 v3, 0xffff0000, v94
	s_mov_b32 s21, exec_lo
                                        ; implicit-def: $vgpr22
	s_delay_alu instid0(VALU_DEP_1) | instskip(NEXT) | instid1(VALU_DEP_1)
	v_add_f32_e32 v2, v3, v2
	v_and_b32_e32 v3, 0x7f800000, v2
	s_delay_alu instid0(VALU_DEP_1)
	v_cmpx_ne_u32_e32 0x7f800000, v3
	s_xor_b32 s21, exec_lo, s21
; %bb.893:                              ;   in Loop: Header=BB10_760 Depth=2
	v_bfe_u32 v3, v2, 16, 1
	s_delay_alu instid0(VALU_DEP_1)
	v_add3_u32 v22, v2, v3, 0x7fff
                                        ; implicit-def: $vgpr2
; %bb.894:                              ;   in Loop: Header=BB10_760 Depth=2
	s_and_not1_saveexec_b32 s21, s21
; %bb.895:                              ;   in Loop: Header=BB10_760 Depth=2
	v_and_b32_e32 v3, 0xffff, v2
	v_or_b32_e32 v22, 0x10000, v2
	s_delay_alu instid0(VALU_DEP_2) | instskip(NEXT) | instid1(VALU_DEP_2)
	v_cmp_eq_u32_e32 vcc_lo, 0, v3
	v_cndmask_b32_e32 v22, v22, v2, vcc_lo
; %bb.896:                              ;   in Loop: Header=BB10_760 Depth=2
	s_or_b32 exec_lo, exec_lo, s21
	v_and_b32_e32 v2, 0xffff0000, v95
	v_lshlrev_b32_e32 v3, 16, v23
	s_mov_b32 s21, exec_lo
                                        ; implicit-def: $vgpr94
	s_delay_alu instid0(VALU_DEP_1) | instskip(NEXT) | instid1(VALU_DEP_1)
	v_add_f32_e32 v2, v2, v3
	v_and_b32_e32 v3, 0x7f800000, v2
	s_delay_alu instid0(VALU_DEP_1)
	v_cmpx_ne_u32_e32 0x7f800000, v3
	s_xor_b32 s21, exec_lo, s21
; %bb.897:                              ;   in Loop: Header=BB10_760 Depth=2
	v_bfe_u32 v3, v2, 16, 1
	s_delay_alu instid0(VALU_DEP_1)
	v_add3_u32 v94, v2, v3, 0x7fff
                                        ; implicit-def: $vgpr2
; %bb.898:                              ;   in Loop: Header=BB10_760 Depth=2
	s_and_not1_saveexec_b32 s21, s21
; %bb.899:                              ;   in Loop: Header=BB10_760 Depth=2
	v_and_b32_e32 v3, 0xffff, v2
	v_or_b32_e32 v116, 0x10000, v2
	s_delay_alu instid0(VALU_DEP_2) | instskip(NEXT) | instid1(VALU_DEP_2)
	v_cmp_eq_u32_e32 vcc_lo, 0, v3
	v_cndmask_b32_e32 v94, v116, v2, vcc_lo
; %bb.900:                              ;   in Loop: Header=BB10_760 Depth=2
	s_or_b32 exec_lo, exec_lo, s21
	v_and_b32_e32 v2, 0xffff0000, v23
	v_and_b32_e32 v3, 0xffff0000, v92
	s_mov_b32 s21, exec_lo
                                        ; implicit-def: $vgpr23
	s_delay_alu instid0(VALU_DEP_1) | instskip(NEXT) | instid1(VALU_DEP_1)
	v_add_f32_e32 v2, v3, v2
	v_and_b32_e32 v3, 0x7f800000, v2
	s_delay_alu instid0(VALU_DEP_1)
	v_cmpx_ne_u32_e32 0x7f800000, v3
	s_xor_b32 s21, exec_lo, s21
; %bb.901:                              ;   in Loop: Header=BB10_760 Depth=2
	v_bfe_u32 v3, v2, 16, 1
	s_delay_alu instid0(VALU_DEP_1)
	v_add3_u32 v23, v2, v3, 0x7fff
                                        ; implicit-def: $vgpr2
; %bb.902:                              ;   in Loop: Header=BB10_760 Depth=2
	s_and_not1_saveexec_b32 s21, s21
; %bb.903:                              ;   in Loop: Header=BB10_760 Depth=2
	v_and_b32_e32 v3, 0xffff, v2
	v_or_b32_e32 v23, 0x10000, v2
	s_delay_alu instid0(VALU_DEP_2) | instskip(NEXT) | instid1(VALU_DEP_2)
	v_cmp_eq_u32_e32 vcc_lo, 0, v3
	v_cndmask_b32_e32 v23, v23, v2, vcc_lo
; %bb.904:                              ;   in Loop: Header=BB10_760 Depth=2
	s_or_b32 exec_lo, exec_lo, s21
	v_and_b32_e32 v2, 0xffff0000, v93
	v_lshlrev_b32_e32 v3, 16, v24
	s_mov_b32 s21, exec_lo
                                        ; implicit-def: $vgpr92
	s_delay_alu instid0(VALU_DEP_1) | instskip(NEXT) | instid1(VALU_DEP_1)
	v_add_f32_e32 v2, v2, v3
	v_and_b32_e32 v3, 0x7f800000, v2
	s_delay_alu instid0(VALU_DEP_1)
	v_cmpx_ne_u32_e32 0x7f800000, v3
	s_xor_b32 s21, exec_lo, s21
; %bb.905:                              ;   in Loop: Header=BB10_760 Depth=2
	v_bfe_u32 v3, v2, 16, 1
	s_delay_alu instid0(VALU_DEP_1)
	v_add3_u32 v92, v2, v3, 0x7fff
                                        ; implicit-def: $vgpr2
; %bb.906:                              ;   in Loop: Header=BB10_760 Depth=2
	s_and_not1_saveexec_b32 s21, s21
; %bb.907:                              ;   in Loop: Header=BB10_760 Depth=2
	v_and_b32_e32 v3, 0xffff, v2
	v_or_b32_e32 v116, 0x10000, v2
	s_delay_alu instid0(VALU_DEP_2) | instskip(NEXT) | instid1(VALU_DEP_2)
	v_cmp_eq_u32_e32 vcc_lo, 0, v3
	v_cndmask_b32_e32 v92, v116, v2, vcc_lo
; %bb.908:                              ;   in Loop: Header=BB10_760 Depth=2
	s_or_b32 exec_lo, exec_lo, s21
	v_and_b32_e32 v2, 0xffff0000, v24
	v_and_b32_e32 v3, 0xffff0000, v90
	s_mov_b32 s21, exec_lo
                                        ; implicit-def: $vgpr24
	s_delay_alu instid0(VALU_DEP_1) | instskip(NEXT) | instid1(VALU_DEP_1)
	v_add_f32_e32 v2, v3, v2
	v_and_b32_e32 v3, 0x7f800000, v2
	s_delay_alu instid0(VALU_DEP_1)
	v_cmpx_ne_u32_e32 0x7f800000, v3
	s_xor_b32 s21, exec_lo, s21
; %bb.909:                              ;   in Loop: Header=BB10_760 Depth=2
	v_bfe_u32 v3, v2, 16, 1
	s_delay_alu instid0(VALU_DEP_1)
	v_add3_u32 v24, v2, v3, 0x7fff
                                        ; implicit-def: $vgpr2
; %bb.910:                              ;   in Loop: Header=BB10_760 Depth=2
	s_and_not1_saveexec_b32 s21, s21
; %bb.911:                              ;   in Loop: Header=BB10_760 Depth=2
	v_and_b32_e32 v3, 0xffff, v2
	v_or_b32_e32 v24, 0x10000, v2
	s_delay_alu instid0(VALU_DEP_2) | instskip(NEXT) | instid1(VALU_DEP_2)
	v_cmp_eq_u32_e32 vcc_lo, 0, v3
	v_cndmask_b32_e32 v24, v24, v2, vcc_lo
; %bb.912:                              ;   in Loop: Header=BB10_760 Depth=2
	s_or_b32 exec_lo, exec_lo, s21
	v_and_b32_e32 v2, 0xffff0000, v91
	v_lshlrev_b32_e32 v3, 16, v25
	s_mov_b32 s21, exec_lo
                                        ; implicit-def: $vgpr90
	s_delay_alu instid0(VALU_DEP_1) | instskip(NEXT) | instid1(VALU_DEP_1)
	v_add_f32_e32 v2, v2, v3
	v_and_b32_e32 v3, 0x7f800000, v2
	s_delay_alu instid0(VALU_DEP_1)
	v_cmpx_ne_u32_e32 0x7f800000, v3
	s_xor_b32 s21, exec_lo, s21
; %bb.913:                              ;   in Loop: Header=BB10_760 Depth=2
	v_bfe_u32 v3, v2, 16, 1
	s_delay_alu instid0(VALU_DEP_1)
	v_add3_u32 v90, v2, v3, 0x7fff
                                        ; implicit-def: $vgpr2
; %bb.914:                              ;   in Loop: Header=BB10_760 Depth=2
	s_and_not1_saveexec_b32 s21, s21
; %bb.915:                              ;   in Loop: Header=BB10_760 Depth=2
	v_and_b32_e32 v3, 0xffff, v2
	v_or_b32_e32 v116, 0x10000, v2
	s_delay_alu instid0(VALU_DEP_2) | instskip(NEXT) | instid1(VALU_DEP_2)
	v_cmp_eq_u32_e32 vcc_lo, 0, v3
	v_cndmask_b32_e32 v90, v116, v2, vcc_lo
; %bb.916:                              ;   in Loop: Header=BB10_760 Depth=2
	s_or_b32 exec_lo, exec_lo, s21
	v_and_b32_e32 v2, 0xffff0000, v25
	v_and_b32_e32 v3, 0xffff0000, v88
	s_mov_b32 s21, exec_lo
                                        ; implicit-def: $vgpr25
	s_delay_alu instid0(VALU_DEP_1) | instskip(NEXT) | instid1(VALU_DEP_1)
	v_add_f32_e32 v2, v3, v2
	v_and_b32_e32 v3, 0x7f800000, v2
	s_delay_alu instid0(VALU_DEP_1)
	v_cmpx_ne_u32_e32 0x7f800000, v3
	s_xor_b32 s21, exec_lo, s21
; %bb.917:                              ;   in Loop: Header=BB10_760 Depth=2
	v_bfe_u32 v3, v2, 16, 1
	s_delay_alu instid0(VALU_DEP_1)
	v_add3_u32 v25, v2, v3, 0x7fff
                                        ; implicit-def: $vgpr2
; %bb.918:                              ;   in Loop: Header=BB10_760 Depth=2
	s_and_not1_saveexec_b32 s21, s21
; %bb.919:                              ;   in Loop: Header=BB10_760 Depth=2
	v_and_b32_e32 v3, 0xffff, v2
	v_or_b32_e32 v25, 0x10000, v2
	s_delay_alu instid0(VALU_DEP_2) | instskip(NEXT) | instid1(VALU_DEP_2)
	v_cmp_eq_u32_e32 vcc_lo, 0, v3
	v_cndmask_b32_e32 v25, v25, v2, vcc_lo
; %bb.920:                              ;   in Loop: Header=BB10_760 Depth=2
	s_or_b32 exec_lo, exec_lo, s21
	v_and_b32_e32 v2, 0xffff0000, v89
	s_wait_loadcnt 0x2
	v_lshlrev_b32_e32 v3, 16, v18
	s_mov_b32 s21, exec_lo
                                        ; implicit-def: $vgpr88
	s_delay_alu instid0(VALU_DEP_1) | instskip(NEXT) | instid1(VALU_DEP_1)
	v_add_f32_e32 v2, v2, v3
	v_and_b32_e32 v3, 0x7f800000, v2
	s_delay_alu instid0(VALU_DEP_1)
	v_cmpx_ne_u32_e32 0x7f800000, v3
	s_xor_b32 s21, exec_lo, s21
; %bb.921:                              ;   in Loop: Header=BB10_760 Depth=2
	v_bfe_u32 v3, v2, 16, 1
	s_delay_alu instid0(VALU_DEP_1)
	v_add3_u32 v88, v2, v3, 0x7fff
                                        ; implicit-def: $vgpr2
; %bb.922:                              ;   in Loop: Header=BB10_760 Depth=2
	s_and_not1_saveexec_b32 s21, s21
; %bb.923:                              ;   in Loop: Header=BB10_760 Depth=2
	v_and_b32_e32 v3, 0xffff, v2
	v_or_b32_e32 v116, 0x10000, v2
	s_delay_alu instid0(VALU_DEP_2) | instskip(NEXT) | instid1(VALU_DEP_2)
	v_cmp_eq_u32_e32 vcc_lo, 0, v3
	v_cndmask_b32_e32 v88, v116, v2, vcc_lo
; %bb.924:                              ;   in Loop: Header=BB10_760 Depth=2
	s_or_b32 exec_lo, exec_lo, s21
	v_and_b32_e32 v2, 0xffff0000, v18
	v_and_b32_e32 v3, 0xffff0000, v78
	s_mov_b32 s21, exec_lo
                                        ; implicit-def: $vgpr18
	s_delay_alu instid0(VALU_DEP_1) | instskip(NEXT) | instid1(VALU_DEP_1)
	v_add_f32_e32 v2, v3, v2
	v_and_b32_e32 v3, 0x7f800000, v2
	s_delay_alu instid0(VALU_DEP_1)
	v_cmpx_ne_u32_e32 0x7f800000, v3
	s_xor_b32 s21, exec_lo, s21
; %bb.925:                              ;   in Loop: Header=BB10_760 Depth=2
	v_bfe_u32 v3, v2, 16, 1
	s_delay_alu instid0(VALU_DEP_1)
	v_add3_u32 v18, v2, v3, 0x7fff
                                        ; implicit-def: $vgpr2
; %bb.926:                              ;   in Loop: Header=BB10_760 Depth=2
	s_and_not1_saveexec_b32 s21, s21
; %bb.927:                              ;   in Loop: Header=BB10_760 Depth=2
	v_and_b32_e32 v3, 0xffff, v2
	v_or_b32_e32 v18, 0x10000, v2
	s_delay_alu instid0(VALU_DEP_2) | instskip(NEXT) | instid1(VALU_DEP_2)
	v_cmp_eq_u32_e32 vcc_lo, 0, v3
	v_cndmask_b32_e32 v18, v18, v2, vcc_lo
; %bb.928:                              ;   in Loop: Header=BB10_760 Depth=2
	s_or_b32 exec_lo, exec_lo, s21
	v_and_b32_e32 v2, 0xffff0000, v79
	v_lshlrev_b32_e32 v3, 16, v19
	s_mov_b32 s21, exec_lo
                                        ; implicit-def: $vgpr78
	s_delay_alu instid0(VALU_DEP_1) | instskip(NEXT) | instid1(VALU_DEP_1)
	v_add_f32_e32 v2, v2, v3
	v_and_b32_e32 v3, 0x7f800000, v2
	s_delay_alu instid0(VALU_DEP_1)
	v_cmpx_ne_u32_e32 0x7f800000, v3
	s_xor_b32 s21, exec_lo, s21
; %bb.929:                              ;   in Loop: Header=BB10_760 Depth=2
	v_bfe_u32 v3, v2, 16, 1
	s_delay_alu instid0(VALU_DEP_1)
	v_add3_u32 v78, v2, v3, 0x7fff
                                        ; implicit-def: $vgpr2
; %bb.930:                              ;   in Loop: Header=BB10_760 Depth=2
	s_and_not1_saveexec_b32 s21, s21
; %bb.931:                              ;   in Loop: Header=BB10_760 Depth=2
	v_and_b32_e32 v3, 0xffff, v2
	v_or_b32_e32 v116, 0x10000, v2
	s_delay_alu instid0(VALU_DEP_2) | instskip(NEXT) | instid1(VALU_DEP_2)
	v_cmp_eq_u32_e32 vcc_lo, 0, v3
	v_cndmask_b32_e32 v78, v116, v2, vcc_lo
; %bb.932:                              ;   in Loop: Header=BB10_760 Depth=2
	s_or_b32 exec_lo, exec_lo, s21
	v_and_b32_e32 v2, 0xffff0000, v19
	v_and_b32_e32 v3, 0xffff0000, v76
	s_mov_b32 s21, exec_lo
                                        ; implicit-def: $vgpr19
	s_delay_alu instid0(VALU_DEP_1) | instskip(NEXT) | instid1(VALU_DEP_1)
	v_add_f32_e32 v2, v3, v2
	v_and_b32_e32 v3, 0x7f800000, v2
	s_delay_alu instid0(VALU_DEP_1)
	v_cmpx_ne_u32_e32 0x7f800000, v3
	s_xor_b32 s21, exec_lo, s21
; %bb.933:                              ;   in Loop: Header=BB10_760 Depth=2
	v_bfe_u32 v3, v2, 16, 1
	s_delay_alu instid0(VALU_DEP_1)
	v_add3_u32 v19, v2, v3, 0x7fff
                                        ; implicit-def: $vgpr2
; %bb.934:                              ;   in Loop: Header=BB10_760 Depth=2
	s_and_not1_saveexec_b32 s21, s21
; %bb.935:                              ;   in Loop: Header=BB10_760 Depth=2
	v_and_b32_e32 v3, 0xffff, v2
	v_or_b32_e32 v19, 0x10000, v2
	s_delay_alu instid0(VALU_DEP_2) | instskip(NEXT) | instid1(VALU_DEP_2)
	v_cmp_eq_u32_e32 vcc_lo, 0, v3
	v_cndmask_b32_e32 v19, v19, v2, vcc_lo
; %bb.936:                              ;   in Loop: Header=BB10_760 Depth=2
	s_or_b32 exec_lo, exec_lo, s21
	v_and_b32_e32 v2, 0xffff0000, v77
	v_lshlrev_b32_e32 v3, 16, v20
	s_mov_b32 s21, exec_lo
                                        ; implicit-def: $vgpr76
	s_delay_alu instid0(VALU_DEP_1) | instskip(NEXT) | instid1(VALU_DEP_1)
	v_add_f32_e32 v2, v2, v3
	v_and_b32_e32 v3, 0x7f800000, v2
	s_delay_alu instid0(VALU_DEP_1)
	v_cmpx_ne_u32_e32 0x7f800000, v3
	s_xor_b32 s21, exec_lo, s21
; %bb.937:                              ;   in Loop: Header=BB10_760 Depth=2
	v_bfe_u32 v3, v2, 16, 1
	s_delay_alu instid0(VALU_DEP_1)
	v_add3_u32 v76, v2, v3, 0x7fff
                                        ; implicit-def: $vgpr2
; %bb.938:                              ;   in Loop: Header=BB10_760 Depth=2
	s_and_not1_saveexec_b32 s21, s21
; %bb.939:                              ;   in Loop: Header=BB10_760 Depth=2
	v_and_b32_e32 v3, 0xffff, v2
	v_or_b32_e32 v116, 0x10000, v2
	s_delay_alu instid0(VALU_DEP_2) | instskip(NEXT) | instid1(VALU_DEP_2)
	v_cmp_eq_u32_e32 vcc_lo, 0, v3
	v_cndmask_b32_e32 v76, v116, v2, vcc_lo
; %bb.940:                              ;   in Loop: Header=BB10_760 Depth=2
	s_or_b32 exec_lo, exec_lo, s21
	v_and_b32_e32 v2, 0xffff0000, v20
	v_and_b32_e32 v3, 0xffff0000, v74
	s_mov_b32 s21, exec_lo
                                        ; implicit-def: $vgpr20
	s_delay_alu instid0(VALU_DEP_1) | instskip(NEXT) | instid1(VALU_DEP_1)
	v_add_f32_e32 v2, v3, v2
	v_and_b32_e32 v3, 0x7f800000, v2
	s_delay_alu instid0(VALU_DEP_1)
	v_cmpx_ne_u32_e32 0x7f800000, v3
	s_xor_b32 s21, exec_lo, s21
; %bb.941:                              ;   in Loop: Header=BB10_760 Depth=2
	v_bfe_u32 v3, v2, 16, 1
	s_delay_alu instid0(VALU_DEP_1)
	v_add3_u32 v20, v2, v3, 0x7fff
                                        ; implicit-def: $vgpr2
; %bb.942:                              ;   in Loop: Header=BB10_760 Depth=2
	s_and_not1_saveexec_b32 s21, s21
; %bb.943:                              ;   in Loop: Header=BB10_760 Depth=2
	v_and_b32_e32 v3, 0xffff, v2
	v_or_b32_e32 v20, 0x10000, v2
	s_delay_alu instid0(VALU_DEP_2) | instskip(NEXT) | instid1(VALU_DEP_2)
	v_cmp_eq_u32_e32 vcc_lo, 0, v3
	v_cndmask_b32_e32 v20, v20, v2, vcc_lo
; %bb.944:                              ;   in Loop: Header=BB10_760 Depth=2
	s_or_b32 exec_lo, exec_lo, s21
	v_and_b32_e32 v2, 0xffff0000, v75
	v_lshlrev_b32_e32 v3, 16, v21
	s_mov_b32 s21, exec_lo
                                        ; implicit-def: $vgpr74
	s_delay_alu instid0(VALU_DEP_1) | instskip(NEXT) | instid1(VALU_DEP_1)
	v_add_f32_e32 v2, v2, v3
	v_and_b32_e32 v3, 0x7f800000, v2
	s_delay_alu instid0(VALU_DEP_1)
	v_cmpx_ne_u32_e32 0x7f800000, v3
	s_xor_b32 s21, exec_lo, s21
; %bb.945:                              ;   in Loop: Header=BB10_760 Depth=2
	v_bfe_u32 v3, v2, 16, 1
	s_delay_alu instid0(VALU_DEP_1)
	v_add3_u32 v74, v2, v3, 0x7fff
                                        ; implicit-def: $vgpr2
; %bb.946:                              ;   in Loop: Header=BB10_760 Depth=2
	s_and_not1_saveexec_b32 s21, s21
; %bb.947:                              ;   in Loop: Header=BB10_760 Depth=2
	v_and_b32_e32 v3, 0xffff, v2
	v_or_b32_e32 v116, 0x10000, v2
	s_delay_alu instid0(VALU_DEP_2) | instskip(NEXT) | instid1(VALU_DEP_2)
	v_cmp_eq_u32_e32 vcc_lo, 0, v3
	v_cndmask_b32_e32 v74, v116, v2, vcc_lo
; %bb.948:                              ;   in Loop: Header=BB10_760 Depth=2
	s_or_b32 exec_lo, exec_lo, s21
	v_and_b32_e32 v2, 0xffff0000, v21
	v_and_b32_e32 v3, 0xffff0000, v72
	s_mov_b32 s21, exec_lo
                                        ; implicit-def: $vgpr21
	s_delay_alu instid0(VALU_DEP_1) | instskip(NEXT) | instid1(VALU_DEP_1)
	v_add_f32_e32 v2, v3, v2
	v_and_b32_e32 v3, 0x7f800000, v2
	s_delay_alu instid0(VALU_DEP_1)
	v_cmpx_ne_u32_e32 0x7f800000, v3
	s_xor_b32 s21, exec_lo, s21
; %bb.949:                              ;   in Loop: Header=BB10_760 Depth=2
	v_bfe_u32 v3, v2, 16, 1
	s_delay_alu instid0(VALU_DEP_1)
	v_add3_u32 v21, v2, v3, 0x7fff
                                        ; implicit-def: $vgpr2
; %bb.950:                              ;   in Loop: Header=BB10_760 Depth=2
	s_and_not1_saveexec_b32 s21, s21
; %bb.951:                              ;   in Loop: Header=BB10_760 Depth=2
	v_and_b32_e32 v3, 0xffff, v2
	v_or_b32_e32 v21, 0x10000, v2
	s_delay_alu instid0(VALU_DEP_2) | instskip(NEXT) | instid1(VALU_DEP_2)
	v_cmp_eq_u32_e32 vcc_lo, 0, v3
	v_cndmask_b32_e32 v21, v21, v2, vcc_lo
; %bb.952:                              ;   in Loop: Header=BB10_760 Depth=2
	s_or_b32 exec_lo, exec_lo, s21
	v_and_b32_e32 v2, 0xffff0000, v73
	s_wait_loadcnt 0x1
	v_lshlrev_b32_e32 v3, 16, v14
	s_mov_b32 s21, exec_lo
                                        ; implicit-def: $vgpr72
	s_delay_alu instid0(VALU_DEP_1) | instskip(NEXT) | instid1(VALU_DEP_1)
	v_add_f32_e32 v2, v2, v3
	v_and_b32_e32 v3, 0x7f800000, v2
	s_delay_alu instid0(VALU_DEP_1)
	v_cmpx_ne_u32_e32 0x7f800000, v3
	s_xor_b32 s21, exec_lo, s21
; %bb.953:                              ;   in Loop: Header=BB10_760 Depth=2
	v_bfe_u32 v3, v2, 16, 1
	s_delay_alu instid0(VALU_DEP_1)
	v_add3_u32 v72, v2, v3, 0x7fff
                                        ; implicit-def: $vgpr2
; %bb.954:                              ;   in Loop: Header=BB10_760 Depth=2
	s_and_not1_saveexec_b32 s21, s21
; %bb.955:                              ;   in Loop: Header=BB10_760 Depth=2
	v_and_b32_e32 v3, 0xffff, v2
	v_or_b32_e32 v116, 0x10000, v2
	s_delay_alu instid0(VALU_DEP_2) | instskip(NEXT) | instid1(VALU_DEP_2)
	v_cmp_eq_u32_e32 vcc_lo, 0, v3
	v_cndmask_b32_e32 v72, v116, v2, vcc_lo
; %bb.956:                              ;   in Loop: Header=BB10_760 Depth=2
	s_or_b32 exec_lo, exec_lo, s21
	v_and_b32_e32 v2, 0xffff0000, v14
	v_and_b32_e32 v3, 0xffff0000, v62
	s_mov_b32 s21, exec_lo
                                        ; implicit-def: $vgpr14
	s_delay_alu instid0(VALU_DEP_1) | instskip(NEXT) | instid1(VALU_DEP_1)
	v_add_f32_e32 v2, v3, v2
	v_and_b32_e32 v3, 0x7f800000, v2
	s_delay_alu instid0(VALU_DEP_1)
	v_cmpx_ne_u32_e32 0x7f800000, v3
	s_xor_b32 s21, exec_lo, s21
; %bb.957:                              ;   in Loop: Header=BB10_760 Depth=2
	v_bfe_u32 v3, v2, 16, 1
	s_delay_alu instid0(VALU_DEP_1)
	v_add3_u32 v14, v2, v3, 0x7fff
                                        ; implicit-def: $vgpr2
; %bb.958:                              ;   in Loop: Header=BB10_760 Depth=2
	s_and_not1_saveexec_b32 s21, s21
; %bb.959:                              ;   in Loop: Header=BB10_760 Depth=2
	v_and_b32_e32 v3, 0xffff, v2
	v_or_b32_e32 v14, 0x10000, v2
	s_delay_alu instid0(VALU_DEP_2) | instskip(NEXT) | instid1(VALU_DEP_2)
	v_cmp_eq_u32_e32 vcc_lo, 0, v3
	v_cndmask_b32_e32 v14, v14, v2, vcc_lo
; %bb.960:                              ;   in Loop: Header=BB10_760 Depth=2
	s_or_b32 exec_lo, exec_lo, s21
	v_and_b32_e32 v2, 0xffff0000, v63
	v_lshlrev_b32_e32 v3, 16, v15
	s_mov_b32 s21, exec_lo
                                        ; implicit-def: $vgpr62
	s_delay_alu instid0(VALU_DEP_1) | instskip(NEXT) | instid1(VALU_DEP_1)
	v_add_f32_e32 v2, v2, v3
	v_and_b32_e32 v3, 0x7f800000, v2
	s_delay_alu instid0(VALU_DEP_1)
	v_cmpx_ne_u32_e32 0x7f800000, v3
	s_xor_b32 s21, exec_lo, s21
; %bb.961:                              ;   in Loop: Header=BB10_760 Depth=2
	v_bfe_u32 v3, v2, 16, 1
	s_delay_alu instid0(VALU_DEP_1)
	v_add3_u32 v62, v2, v3, 0x7fff
                                        ; implicit-def: $vgpr2
; %bb.962:                              ;   in Loop: Header=BB10_760 Depth=2
	s_and_not1_saveexec_b32 s21, s21
; %bb.963:                              ;   in Loop: Header=BB10_760 Depth=2
	v_and_b32_e32 v3, 0xffff, v2
	v_or_b32_e32 v116, 0x10000, v2
	s_delay_alu instid0(VALU_DEP_2) | instskip(NEXT) | instid1(VALU_DEP_2)
	v_cmp_eq_u32_e32 vcc_lo, 0, v3
	v_cndmask_b32_e32 v62, v116, v2, vcc_lo
; %bb.964:                              ;   in Loop: Header=BB10_760 Depth=2
	s_or_b32 exec_lo, exec_lo, s21
	v_and_b32_e32 v2, 0xffff0000, v15
	v_and_b32_e32 v3, 0xffff0000, v60
	s_mov_b32 s21, exec_lo
                                        ; implicit-def: $vgpr15
	s_delay_alu instid0(VALU_DEP_1) | instskip(NEXT) | instid1(VALU_DEP_1)
	v_add_f32_e32 v2, v3, v2
	v_and_b32_e32 v3, 0x7f800000, v2
	s_delay_alu instid0(VALU_DEP_1)
	v_cmpx_ne_u32_e32 0x7f800000, v3
	s_xor_b32 s21, exec_lo, s21
; %bb.965:                              ;   in Loop: Header=BB10_760 Depth=2
	v_bfe_u32 v3, v2, 16, 1
	s_delay_alu instid0(VALU_DEP_1)
	v_add3_u32 v15, v2, v3, 0x7fff
                                        ; implicit-def: $vgpr2
; %bb.966:                              ;   in Loop: Header=BB10_760 Depth=2
	s_and_not1_saveexec_b32 s21, s21
; %bb.967:                              ;   in Loop: Header=BB10_760 Depth=2
	v_and_b32_e32 v3, 0xffff, v2
	v_or_b32_e32 v15, 0x10000, v2
	s_delay_alu instid0(VALU_DEP_2) | instskip(NEXT) | instid1(VALU_DEP_2)
	v_cmp_eq_u32_e32 vcc_lo, 0, v3
	v_cndmask_b32_e32 v15, v15, v2, vcc_lo
; %bb.968:                              ;   in Loop: Header=BB10_760 Depth=2
	s_or_b32 exec_lo, exec_lo, s21
	v_and_b32_e32 v2, 0xffff0000, v61
	v_lshlrev_b32_e32 v3, 16, v16
	s_mov_b32 s21, exec_lo
                                        ; implicit-def: $vgpr60
	s_delay_alu instid0(VALU_DEP_1) | instskip(NEXT) | instid1(VALU_DEP_1)
	v_add_f32_e32 v2, v2, v3
	v_and_b32_e32 v3, 0x7f800000, v2
	s_delay_alu instid0(VALU_DEP_1)
	v_cmpx_ne_u32_e32 0x7f800000, v3
	s_xor_b32 s21, exec_lo, s21
; %bb.969:                              ;   in Loop: Header=BB10_760 Depth=2
	v_bfe_u32 v3, v2, 16, 1
	s_delay_alu instid0(VALU_DEP_1)
	v_add3_u32 v60, v2, v3, 0x7fff
                                        ; implicit-def: $vgpr2
; %bb.970:                              ;   in Loop: Header=BB10_760 Depth=2
	s_and_not1_saveexec_b32 s21, s21
; %bb.971:                              ;   in Loop: Header=BB10_760 Depth=2
	v_and_b32_e32 v3, 0xffff, v2
	v_or_b32_e32 v116, 0x10000, v2
	s_delay_alu instid0(VALU_DEP_2) | instskip(NEXT) | instid1(VALU_DEP_2)
	v_cmp_eq_u32_e32 vcc_lo, 0, v3
	v_cndmask_b32_e32 v60, v116, v2, vcc_lo
; %bb.972:                              ;   in Loop: Header=BB10_760 Depth=2
	s_or_b32 exec_lo, exec_lo, s21
	v_and_b32_e32 v2, 0xffff0000, v16
	v_and_b32_e32 v3, 0xffff0000, v58
	s_mov_b32 s21, exec_lo
                                        ; implicit-def: $vgpr16
	s_delay_alu instid0(VALU_DEP_1) | instskip(NEXT) | instid1(VALU_DEP_1)
	v_add_f32_e32 v2, v3, v2
	v_and_b32_e32 v3, 0x7f800000, v2
	s_delay_alu instid0(VALU_DEP_1)
	v_cmpx_ne_u32_e32 0x7f800000, v3
	s_xor_b32 s21, exec_lo, s21
; %bb.973:                              ;   in Loop: Header=BB10_760 Depth=2
	v_bfe_u32 v3, v2, 16, 1
	s_delay_alu instid0(VALU_DEP_1)
	v_add3_u32 v16, v2, v3, 0x7fff
                                        ; implicit-def: $vgpr2
; %bb.974:                              ;   in Loop: Header=BB10_760 Depth=2
	s_and_not1_saveexec_b32 s21, s21
; %bb.975:                              ;   in Loop: Header=BB10_760 Depth=2
	v_and_b32_e32 v3, 0xffff, v2
	v_or_b32_e32 v16, 0x10000, v2
	s_delay_alu instid0(VALU_DEP_2) | instskip(NEXT) | instid1(VALU_DEP_2)
	v_cmp_eq_u32_e32 vcc_lo, 0, v3
	v_cndmask_b32_e32 v16, v16, v2, vcc_lo
; %bb.976:                              ;   in Loop: Header=BB10_760 Depth=2
	s_or_b32 exec_lo, exec_lo, s21
	v_and_b32_e32 v2, 0xffff0000, v59
	v_lshlrev_b32_e32 v3, 16, v17
	s_mov_b32 s21, exec_lo
                                        ; implicit-def: $vgpr58
	s_delay_alu instid0(VALU_DEP_1) | instskip(NEXT) | instid1(VALU_DEP_1)
	v_add_f32_e32 v2, v2, v3
	v_and_b32_e32 v3, 0x7f800000, v2
	s_delay_alu instid0(VALU_DEP_1)
	v_cmpx_ne_u32_e32 0x7f800000, v3
	s_xor_b32 s21, exec_lo, s21
; %bb.977:                              ;   in Loop: Header=BB10_760 Depth=2
	v_bfe_u32 v3, v2, 16, 1
	s_delay_alu instid0(VALU_DEP_1)
	v_add3_u32 v58, v2, v3, 0x7fff
                                        ; implicit-def: $vgpr2
; %bb.978:                              ;   in Loop: Header=BB10_760 Depth=2
	s_and_not1_saveexec_b32 s21, s21
; %bb.979:                              ;   in Loop: Header=BB10_760 Depth=2
	v_and_b32_e32 v3, 0xffff, v2
	v_or_b32_e32 v116, 0x10000, v2
	s_delay_alu instid0(VALU_DEP_2) | instskip(NEXT) | instid1(VALU_DEP_2)
	v_cmp_eq_u32_e32 vcc_lo, 0, v3
	v_cndmask_b32_e32 v58, v116, v2, vcc_lo
; %bb.980:                              ;   in Loop: Header=BB10_760 Depth=2
	s_or_b32 exec_lo, exec_lo, s21
	v_and_b32_e32 v2, 0xffff0000, v17
	v_and_b32_e32 v3, 0xffff0000, v56
	s_mov_b32 s21, exec_lo
                                        ; implicit-def: $vgpr17
	s_delay_alu instid0(VALU_DEP_1) | instskip(NEXT) | instid1(VALU_DEP_1)
	v_add_f32_e32 v2, v3, v2
	v_and_b32_e32 v3, 0x7f800000, v2
	s_delay_alu instid0(VALU_DEP_1)
	v_cmpx_ne_u32_e32 0x7f800000, v3
	s_xor_b32 s21, exec_lo, s21
; %bb.981:                              ;   in Loop: Header=BB10_760 Depth=2
	v_bfe_u32 v3, v2, 16, 1
	s_delay_alu instid0(VALU_DEP_1)
	v_add3_u32 v17, v2, v3, 0x7fff
                                        ; implicit-def: $vgpr2
; %bb.982:                              ;   in Loop: Header=BB10_760 Depth=2
	s_and_not1_saveexec_b32 s21, s21
; %bb.983:                              ;   in Loop: Header=BB10_760 Depth=2
	v_and_b32_e32 v3, 0xffff, v2
	v_or_b32_e32 v17, 0x10000, v2
	s_delay_alu instid0(VALU_DEP_2) | instskip(NEXT) | instid1(VALU_DEP_2)
	v_cmp_eq_u32_e32 vcc_lo, 0, v3
	v_cndmask_b32_e32 v17, v17, v2, vcc_lo
; %bb.984:                              ;   in Loop: Header=BB10_760 Depth=2
	s_or_b32 exec_lo, exec_lo, s21
	v_and_b32_e32 v2, 0xffff0000, v57
	s_wait_loadcnt 0x0
	v_lshlrev_b32_e32 v3, 16, v10
	s_mov_b32 s21, exec_lo
                                        ; implicit-def: $vgpr56
	s_delay_alu instid0(VALU_DEP_1) | instskip(NEXT) | instid1(VALU_DEP_1)
	v_add_f32_e32 v2, v2, v3
	v_and_b32_e32 v3, 0x7f800000, v2
	s_delay_alu instid0(VALU_DEP_1)
	v_cmpx_ne_u32_e32 0x7f800000, v3
	s_xor_b32 s21, exec_lo, s21
; %bb.985:                              ;   in Loop: Header=BB10_760 Depth=2
	v_bfe_u32 v3, v2, 16, 1
	s_delay_alu instid0(VALU_DEP_1)
	v_add3_u32 v56, v2, v3, 0x7fff
                                        ; implicit-def: $vgpr2
; %bb.986:                              ;   in Loop: Header=BB10_760 Depth=2
	s_and_not1_saveexec_b32 s21, s21
; %bb.987:                              ;   in Loop: Header=BB10_760 Depth=2
	v_and_b32_e32 v3, 0xffff, v2
	v_or_b32_e32 v116, 0x10000, v2
	s_delay_alu instid0(VALU_DEP_2) | instskip(NEXT) | instid1(VALU_DEP_2)
	v_cmp_eq_u32_e32 vcc_lo, 0, v3
	v_cndmask_b32_e32 v56, v116, v2, vcc_lo
; %bb.988:                              ;   in Loop: Header=BB10_760 Depth=2
	s_or_b32 exec_lo, exec_lo, s21
	v_and_b32_e32 v2, 0xffff0000, v10
	v_and_b32_e32 v3, 0xffff0000, v46
	s_mov_b32 s21, exec_lo
                                        ; implicit-def: $vgpr10
	s_delay_alu instid0(VALU_DEP_1) | instskip(NEXT) | instid1(VALU_DEP_1)
	v_add_f32_e32 v2, v3, v2
	v_and_b32_e32 v3, 0x7f800000, v2
	s_delay_alu instid0(VALU_DEP_1)
	v_cmpx_ne_u32_e32 0x7f800000, v3
	s_xor_b32 s21, exec_lo, s21
; %bb.989:                              ;   in Loop: Header=BB10_760 Depth=2
	v_bfe_u32 v3, v2, 16, 1
	s_delay_alu instid0(VALU_DEP_1)
	v_add3_u32 v10, v2, v3, 0x7fff
                                        ; implicit-def: $vgpr2
; %bb.990:                              ;   in Loop: Header=BB10_760 Depth=2
	s_and_not1_saveexec_b32 s21, s21
; %bb.991:                              ;   in Loop: Header=BB10_760 Depth=2
	v_and_b32_e32 v3, 0xffff, v2
	v_or_b32_e32 v10, 0x10000, v2
	s_delay_alu instid0(VALU_DEP_2) | instskip(NEXT) | instid1(VALU_DEP_2)
	v_cmp_eq_u32_e32 vcc_lo, 0, v3
	v_cndmask_b32_e32 v10, v10, v2, vcc_lo
; %bb.992:                              ;   in Loop: Header=BB10_760 Depth=2
	s_or_b32 exec_lo, exec_lo, s21
	v_and_b32_e32 v2, 0xffff0000, v47
	v_lshlrev_b32_e32 v3, 16, v11
	s_delay_alu instid0(VALU_DEP_1) | instskip(NEXT) | instid1(VALU_DEP_1)
	v_add_f32_e32 v3, v2, v3
	v_and_b32_e32 v2, 0x7f800000, v3
	s_delay_alu instid0(VALU_DEP_1) | instskip(SKIP_1) | instid1(SALU_CYCLE_1)
	v_cmp_ne_u32_e32 vcc_lo, 0x7f800000, v2
                                        ; implicit-def: $vgpr2
	s_and_saveexec_b32 s21, vcc_lo
	s_xor_b32 s21, exec_lo, s21
; %bb.993:                              ;   in Loop: Header=BB10_760 Depth=2
	v_bfe_u32 v2, v3, 16, 1
	s_delay_alu instid0(VALU_DEP_1)
	v_add3_u32 v2, v3, v2, 0x7fff
                                        ; implicit-def: $vgpr3
; %bb.994:                              ;   in Loop: Header=BB10_760 Depth=2
	s_and_not1_saveexec_b32 s21, s21
; %bb.995:                              ;   in Loop: Header=BB10_760 Depth=2
	v_and_b32_e32 v2, 0xffff, v3
	v_or_b32_e32 v116, 0x10000, v3
	s_delay_alu instid0(VALU_DEP_2) | instskip(NEXT) | instid1(VALU_DEP_2)
	v_cmp_eq_u32_e32 vcc_lo, 0, v2
	v_cndmask_b32_e32 v2, v116, v3, vcc_lo
; %bb.996:                              ;   in Loop: Header=BB10_760 Depth=2
	s_or_b32 exec_lo, exec_lo, s21
	v_and_b32_e32 v3, 0xffff0000, v11
	v_and_b32_e32 v11, 0xffff0000, v44
	s_delay_alu instid0(VALU_DEP_1) | instskip(NEXT) | instid1(VALU_DEP_1)
	v_add_f32_e32 v11, v11, v3
	v_and_b32_e32 v3, 0x7f800000, v11
	s_delay_alu instid0(VALU_DEP_1) | instskip(SKIP_1) | instid1(SALU_CYCLE_1)
	v_cmp_ne_u32_e32 vcc_lo, 0x7f800000, v3
                                        ; implicit-def: $vgpr3
	s_and_saveexec_b32 s21, vcc_lo
	s_xor_b32 s21, exec_lo, s21
; %bb.997:                              ;   in Loop: Header=BB10_760 Depth=2
	v_bfe_u32 v3, v11, 16, 1
	s_delay_alu instid0(VALU_DEP_1)
	v_add3_u32 v3, v11, v3, 0x7fff
                                        ; implicit-def: $vgpr11
; %bb.998:                              ;   in Loop: Header=BB10_760 Depth=2
	s_and_not1_saveexec_b32 s21, s21
; %bb.999:                              ;   in Loop: Header=BB10_760 Depth=2
	v_and_b32_e32 v3, 0xffff, v11
	v_or_b32_e32 v116, 0x10000, v11
	s_delay_alu instid0(VALU_DEP_2) | instskip(NEXT) | instid1(VALU_DEP_2)
	v_cmp_eq_u32_e32 vcc_lo, 0, v3
	v_cndmask_b32_e32 v3, v116, v11, vcc_lo
; %bb.1000:                             ;   in Loop: Header=BB10_760 Depth=2
	s_or_b32 exec_lo, exec_lo, s21
	v_and_b32_e32 v11, 0xffff0000, v45
	v_lshlrev_b32_e32 v116, 16, v12
	s_delay_alu instid0(VALU_DEP_1) | instskip(NEXT) | instid1(VALU_DEP_1)
	v_add_f32_e32 v116, v11, v116
	v_and_b32_e32 v11, 0x7f800000, v116
	s_delay_alu instid0(VALU_DEP_1) | instskip(SKIP_1) | instid1(SALU_CYCLE_1)
	v_cmp_ne_u32_e32 vcc_lo, 0x7f800000, v11
                                        ; implicit-def: $vgpr11
	s_and_saveexec_b32 s21, vcc_lo
	s_xor_b32 s21, exec_lo, s21
; %bb.1001:                             ;   in Loop: Header=BB10_760 Depth=2
	v_bfe_u32 v11, v116, 16, 1
	s_delay_alu instid0(VALU_DEP_1)
	v_add3_u32 v11, v116, v11, 0x7fff
                                        ; implicit-def: $vgpr116
; %bb.1002:                             ;   in Loop: Header=BB10_760 Depth=2
	s_and_not1_saveexec_b32 s21, s21
; %bb.1003:                             ;   in Loop: Header=BB10_760 Depth=2
	v_and_b32_e32 v11, 0xffff, v116
	v_or_b32_e32 v44, 0x10000, v116
	s_delay_alu instid0(VALU_DEP_2) | instskip(NEXT) | instid1(VALU_DEP_2)
	v_cmp_eq_u32_e32 vcc_lo, 0, v11
	v_cndmask_b32_e32 v11, v44, v116, vcc_lo
; %bb.1004:                             ;   in Loop: Header=BB10_760 Depth=2
	s_or_b32 exec_lo, exec_lo, s21
	v_and_b32_e32 v12, 0xffff0000, v12
	v_and_b32_e32 v116, 0xffff0000, v42
	s_delay_alu instid0(VALU_DEP_1) | instskip(NEXT) | instid1(VALU_DEP_1)
	v_add_f32_e32 v116, v116, v12
	v_and_b32_e32 v12, 0x7f800000, v116
	s_delay_alu instid0(VALU_DEP_1) | instskip(SKIP_1) | instid1(SALU_CYCLE_1)
	v_cmp_ne_u32_e32 vcc_lo, 0x7f800000, v12
                                        ; implicit-def: $vgpr12
	s_and_saveexec_b32 s21, vcc_lo
	s_xor_b32 s21, exec_lo, s21
; %bb.1005:                             ;   in Loop: Header=BB10_760 Depth=2
	v_bfe_u32 v12, v116, 16, 1
	s_delay_alu instid0(VALU_DEP_1)
	v_add3_u32 v12, v116, v12, 0x7fff
                                        ; implicit-def: $vgpr116
; %bb.1006:                             ;   in Loop: Header=BB10_760 Depth=2
	s_and_not1_saveexec_b32 s21, s21
; %bb.1007:                             ;   in Loop: Header=BB10_760 Depth=2
	v_and_b32_e32 v12, 0xffff, v116
	v_or_b32_e32 v42, 0x10000, v116
	s_delay_alu instid0(VALU_DEP_2) | instskip(NEXT) | instid1(VALU_DEP_2)
	v_cmp_eq_u32_e32 vcc_lo, 0, v12
	v_cndmask_b32_e32 v12, v42, v116, vcc_lo
; %bb.1008:                             ;   in Loop: Header=BB10_760 Depth=2
	s_or_b32 exec_lo, exec_lo, s21
	v_and_b32_e32 v116, 0xffff0000, v43
	v_lshlrev_b32_e32 v42, 16, v13
	s_delay_alu instid0(VALU_DEP_1) | instskip(NEXT) | instid1(VALU_DEP_1)
	v_add_f32_e32 v42, v116, v42
	v_and_b32_e32 v116, 0x7f800000, v42
	s_delay_alu instid0(VALU_DEP_1) | instskip(SKIP_1) | instid1(SALU_CYCLE_1)
	v_cmp_ne_u32_e32 vcc_lo, 0x7f800000, v116
                                        ; implicit-def: $vgpr116
	s_and_saveexec_b32 s21, vcc_lo
	s_xor_b32 s21, exec_lo, s21
; %bb.1009:                             ;   in Loop: Header=BB10_760 Depth=2
	v_bfe_u32 v116, v42, 16, 1
	s_delay_alu instid0(VALU_DEP_1)
	v_add3_u32 v116, v42, v116, 0x7fff
                                        ; implicit-def: $vgpr42
; %bb.1010:                             ;   in Loop: Header=BB10_760 Depth=2
	s_and_not1_saveexec_b32 s21, s21
; %bb.1011:                             ;   in Loop: Header=BB10_760 Depth=2
	v_and_b32_e32 v116, 0xffff, v42
	v_or_b32_e32 v43, 0x10000, v42
	s_delay_alu instid0(VALU_DEP_2) | instskip(NEXT) | instid1(VALU_DEP_2)
	v_cmp_eq_u32_e32 vcc_lo, 0, v116
	v_cndmask_b32_e32 v116, v43, v42, vcc_lo
; %bb.1012:                             ;   in Loop: Header=BB10_760 Depth=2
	s_or_b32 exec_lo, exec_lo, s21
	v_and_b32_e32 v13, 0xffff0000, v13
	v_and_b32_e32 v41, 0xffff0000, v41
	s_delay_alu instid0(VALU_DEP_1) | instskip(NEXT) | instid1(VALU_DEP_1)
	v_add_f32_e32 v41, v41, v13
	v_and_b32_e32 v13, 0x7f800000, v41
	s_delay_alu instid0(VALU_DEP_1) | instskip(SKIP_1) | instid1(SALU_CYCLE_1)
	v_cmp_ne_u32_e32 vcc_lo, 0x7f800000, v13
                                        ; implicit-def: $vgpr13
	s_and_saveexec_b32 s21, vcc_lo
	s_xor_b32 s21, exec_lo, s21
; %bb.1013:                             ;   in Loop: Header=BB10_760 Depth=2
	v_bfe_u32 v13, v41, 16, 1
	s_delay_alu instid0(VALU_DEP_1)
	v_add3_u32 v13, v41, v13, 0x7fff
                                        ; implicit-def: $vgpr41
; %bb.1014:                             ;   in Loop: Header=BB10_760 Depth=2
	s_and_not1_saveexec_b32 s21, s21
	s_cbranch_execz .LBB10_759
; %bb.1015:                             ;   in Loop: Header=BB10_760 Depth=2
	v_and_b32_e32 v13, 0xffff, v41
	v_or_b32_e32 v42, 0x10000, v41
	s_delay_alu instid0(VALU_DEP_2) | instskip(NEXT) | instid1(VALU_DEP_2)
	v_cmp_eq_u32_e32 vcc_lo, 0, v13
	v_cndmask_b32_e32 v13, v42, v41, vcc_lo
	s_branch .LBB10_759
.LBB10_1016:                            ;   in Loop: Header=BB10_685 Depth=1
	s_or_b32 exec_lo, exec_lo, s20
.LBB10_1017:                            ;   in Loop: Header=BB10_685 Depth=1
	s_delay_alu instid0(SALU_CYCLE_1) | instskip(SKIP_3) | instid1(VALU_DEP_1)
	s_or_b32 exec_lo, exec_lo, s7
	v_dual_lshlrev_b32 v20, 11, v118 :: v_dual_mov_b32 v16, 0
	s_mov_b32 s21, 0
	s_mov_b32 s20, exec_lo
                                        ; implicit-def: $vgpr17
	v_cmpx_ne_u32_e64 v115, v20
	s_cbranch_execz .LBB10_1087
; %bb.1018:                             ;   in Loop: Header=BB10_685 Depth=1
	v_dual_lshlrev_b32 v2, 5, v117 :: v_dual_sub_nc_u32 v10, v115, v20
	s_mov_b32 s21, exec_lo
	s_delay_alu instid0(VALU_DEP_1) | instskip(NEXT) | instid1(VALU_DEP_2)
	v_sub_nc_u32_e32 v2, v113, v2
	v_ashrrev_i32_e32 v11, 31, v10
	s_delay_alu instid0(VALU_DEP_1) | instskip(NEXT) | instid1(VALU_DEP_1)
	v_dual_ashrrev_i32 v3, 31, v2 :: v_dual_lshrrev_b32 v11, 23, v11
	v_lshrrev_b32_e32 v3, 27, v3
	s_delay_alu instid0(VALU_DEP_1) | instskip(NEXT) | instid1(VALU_DEP_1)
	v_add_nc_u32_e32 v3, v2, v3
	v_and_b32_e32 v12, 0xffffffe0, v3
	s_delay_alu instid0(VALU_DEP_1) | instskip(NEXT) | instid1(VALU_DEP_1)
	v_dual_ashrrev_i32 v3, 5, v3 :: v_dual_sub_nc_u32 v21, v2, v12
	v_dual_add_nc_u32 v11, v10, v11 :: v_dual_lshlrev_b32 v2, 4, v21
	s_delay_alu instid0(VALU_DEP_1) | instskip(SKIP_1) | instid1(VALU_DEP_3)
	v_and_b32_e32 v22, 0xfffffe00, v11
	v_ashrrev_i32_e32 v11, 9, v11
	v_lshl_add_u32 v2, v3, 9, v2
	s_delay_alu instid0(VALU_DEP_3) | instskip(NEXT) | instid1(VALU_DEP_1)
	v_sub_nc_u32_e32 v23, v10, v22
	v_cmp_lt_i32_e32 vcc_lo, 15, v23
	s_delay_alu instid0(VALU_DEP_4) | instskip(NEXT) | instid1(VALU_DEP_1)
	v_add_co_ci_u32_e64 v11, null, 0, v11, vcc_lo
	v_dual_sub_nc_u32 v25, v10, v2 :: v_dual_sub_nc_u32 v24, v11, v3
	s_delay_alu instid0(VALU_DEP_1)
	v_cmpx_lt_i32_e32 15, v25
	s_cbranch_execz .LBB10_1086
; %bb.1019:                             ;   in Loop: Header=BB10_685 Depth=1
	s_trap 2
	ds_load_b64 v[10:11], v0
	ds_load_b32 v12, v0
	v_add_nc_u32_e32 v2, v2, v20
	s_mov_b32 s22, 0
	s_wait_dscnt 0x0
	s_delay_alu instid0(VALU_DEP_1) | instskip(NEXT) | instid1(VALU_DEP_1)
	v_dual_ashrrev_i32 v3, 31, v2 :: v_dual_lshlrev_b32 v98, 16, v12
	v_add_nc_u64_e32 v[14:15], v[2:3], v[86:87]
	v_add_nc_u64_e32 v[16:17], v[10:11], v[2:3]
	;; [unrolled: 1-line block ×3, first 2 shown]
	s_branch .LBB10_1021
.LBB10_1020:                            ;   in Loop: Header=BB10_1021 Depth=2
	s_or_b32 exec_lo, exec_lo, s23
	v_dual_lshrrev_b32 v3, 16, v3 :: v_dual_lshrrev_b32 v99, 16, v100
	v_dual_lshrrev_b32 v100, 16, v11 :: v_dual_lshrrev_b32 v101, 16, v101
	v_dual_sub_nc_u32 v25, v25, v68 :: v_dual_sub_nc_u32 v24, v24, v54
	s_delay_alu instid0(VALU_DEP_3) | instskip(NEXT) | instid1(VALU_DEP_4)
	v_and_or_b32 v11, 0xffff0000, v10, v3
	v_and_or_b32 v10, 0xffff0000, v2, v99
	s_delay_alu instid0(VALU_DEP_4)
	v_and_or_b32 v12, 0xffff0000, v12, v100
	v_and_or_b32 v13, 0xffff0000, v13, v101
	v_add_nc_u64_e32 v[14:15], v[14:15], v[68:69]
	v_add_nc_u64_e32 v[16:17], v[16:17], v[68:69]
	v_cmp_gt_i32_e64 s7, 16, v25
	global_store_b128 v[18:19], v[10:13], off th:TH_STORE_NT
	s_wait_xcnt 0x0
	v_add_nc_u64_e32 v[18:19], v[18:19], v[68:69]
	s_or_b32 s22, s7, s22
	s_delay_alu instid0(SALU_CYCLE_1)
	s_and_not1_b32 exec_lo, exec_lo, s22
	s_cbranch_execz .LBB10_1085
.LBB10_1021:                            ;   Parent Loop BB10_685 Depth=1
                                        ; =>  This Inner Loop Header: Depth=2
	global_load_b128 v[10:13], v[14:15], off th:TH_LOAD_NT
                                        ; implicit-def: $vgpr100
	s_wait_loadcnt 0x0
	v_lshlrev_b32_e32 v2, 16, v10
	s_delay_alu instid0(VALU_DEP_1) | instskip(NEXT) | instid1(VALU_DEP_1)
	v_mul_f32_e32 v2, v98, v2
	v_and_b32_e32 v3, 0x7f800000, v2
	s_delay_alu instid0(VALU_DEP_1) | instskip(SKIP_2) | instid1(SALU_CYCLE_1)
	v_cmp_ne_u32_e64 s7, 0x7f800000, v3
	s_wait_xcnt 0x0
	s_and_saveexec_b32 s23, s7
	s_xor_b32 s7, exec_lo, s23
; %bb.1022:                             ;   in Loop: Header=BB10_1021 Depth=2
	v_bfe_u32 v3, v2, 16, 1
	s_delay_alu instid0(VALU_DEP_1)
	v_add3_u32 v100, v2, v3, 0x7fff
                                        ; implicit-def: $vgpr2
; %bb.1023:                             ;   in Loop: Header=BB10_1021 Depth=2
	s_and_not1_saveexec_b32 s23, s7
; %bb.1024:                             ;   in Loop: Header=BB10_1021 Depth=2
	v_and_b32_e32 v3, 0xffff, v2
	v_or_b32_e32 v99, 0x10000, v2
	s_delay_alu instid0(VALU_DEP_2) | instskip(NEXT) | instid1(VALU_DEP_1)
	v_cmp_eq_u32_e64 s7, 0, v3
	v_cndmask_b32_e64 v100, v99, v2, s7
; %bb.1025:                             ;   in Loop: Header=BB10_1021 Depth=2
	s_or_b32 exec_lo, exec_lo, s23
	v_and_b32_e32 v2, 0xffff0000, v10
                                        ; implicit-def: $vgpr119
	s_delay_alu instid0(VALU_DEP_1) | instskip(NEXT) | instid1(VALU_DEP_1)
	v_mul_f32_e32 v2, v98, v2
	v_and_b32_e32 v3, 0x7f800000, v2
	s_delay_alu instid0(VALU_DEP_1) | instskip(SKIP_1) | instid1(SALU_CYCLE_1)
	v_cmp_ne_u32_e64 s7, 0x7f800000, v3
	s_and_saveexec_b32 s23, s7
	s_xor_b32 s7, exec_lo, s23
; %bb.1026:                             ;   in Loop: Header=BB10_1021 Depth=2
	v_bfe_u32 v3, v2, 16, 1
	s_delay_alu instid0(VALU_DEP_1)
	v_add3_u32 v119, v2, v3, 0x7fff
                                        ; implicit-def: $vgpr2
; %bb.1027:                             ;   in Loop: Header=BB10_1021 Depth=2
	s_and_not1_saveexec_b32 s23, s7
; %bb.1028:                             ;   in Loop: Header=BB10_1021 Depth=2
	v_and_b32_e32 v3, 0xffff, v2
	v_or_b32_e32 v10, 0x10000, v2
	s_delay_alu instid0(VALU_DEP_2) | instskip(NEXT) | instid1(VALU_DEP_1)
	v_cmp_eq_u32_e64 s7, 0, v3
	v_cndmask_b32_e64 v119, v10, v2, s7
; %bb.1029:                             ;   in Loop: Header=BB10_1021 Depth=2
	s_or_b32 exec_lo, exec_lo, s23
	v_lshlrev_b32_e32 v2, 16, v11
                                        ; implicit-def: $vgpr118
	s_delay_alu instid0(VALU_DEP_1) | instskip(NEXT) | instid1(VALU_DEP_1)
	v_mul_f32_e32 v2, v98, v2
	v_and_b32_e32 v3, 0x7f800000, v2
	s_delay_alu instid0(VALU_DEP_1) | instskip(SKIP_1) | instid1(SALU_CYCLE_1)
	v_cmp_ne_u32_e64 s7, 0x7f800000, v3
	s_and_saveexec_b32 s23, s7
	s_xor_b32 s7, exec_lo, s23
; %bb.1030:                             ;   in Loop: Header=BB10_1021 Depth=2
	v_bfe_u32 v3, v2, 16, 1
	s_delay_alu instid0(VALU_DEP_1)
	v_add3_u32 v118, v2, v3, 0x7fff
                                        ; implicit-def: $vgpr2
; %bb.1031:                             ;   in Loop: Header=BB10_1021 Depth=2
	s_and_not1_saveexec_b32 s23, s7
; %bb.1032:                             ;   in Loop: Header=BB10_1021 Depth=2
	v_and_b32_e32 v3, 0xffff, v2
	v_or_b32_e32 v10, 0x10000, v2
	s_delay_alu instid0(VALU_DEP_2) | instskip(NEXT) | instid1(VALU_DEP_1)
	v_cmp_eq_u32_e64 s7, 0, v3
	v_cndmask_b32_e64 v118, v10, v2, s7
; %bb.1033:                             ;   in Loop: Header=BB10_1021 Depth=2
	s_or_b32 exec_lo, exec_lo, s23
	v_and_b32_e32 v2, 0xffff0000, v11
                                        ; implicit-def: $vgpr117
	s_delay_alu instid0(VALU_DEP_1) | instskip(NEXT) | instid1(VALU_DEP_1)
	v_mul_f32_e32 v2, v98, v2
	v_and_b32_e32 v3, 0x7f800000, v2
	s_delay_alu instid0(VALU_DEP_1) | instskip(SKIP_1) | instid1(SALU_CYCLE_1)
	v_cmp_ne_u32_e64 s7, 0x7f800000, v3
	s_and_saveexec_b32 s23, s7
	s_xor_b32 s7, exec_lo, s23
; %bb.1034:                             ;   in Loop: Header=BB10_1021 Depth=2
	v_bfe_u32 v3, v2, 16, 1
	s_delay_alu instid0(VALU_DEP_1)
	v_add3_u32 v117, v2, v3, 0x7fff
                                        ; implicit-def: $vgpr2
; %bb.1035:                             ;   in Loop: Header=BB10_1021 Depth=2
	s_and_not1_saveexec_b32 s23, s7
; %bb.1036:                             ;   in Loop: Header=BB10_1021 Depth=2
	v_and_b32_e32 v3, 0xffff, v2
	v_or_b32_e32 v10, 0x10000, v2
	s_delay_alu instid0(VALU_DEP_2) | instskip(NEXT) | instid1(VALU_DEP_1)
	v_cmp_eq_u32_e64 s7, 0, v3
	v_cndmask_b32_e64 v117, v10, v2, s7
; %bb.1037:                             ;   in Loop: Header=BB10_1021 Depth=2
	s_or_b32 exec_lo, exec_lo, s23
	v_lshlrev_b32_e32 v2, 16, v12
                                        ; implicit-def: $vgpr103
	s_delay_alu instid0(VALU_DEP_1) | instskip(NEXT) | instid1(VALU_DEP_1)
	v_mul_f32_e32 v2, v98, v2
	v_and_b32_e32 v3, 0x7f800000, v2
	s_delay_alu instid0(VALU_DEP_1) | instskip(SKIP_1) | instid1(SALU_CYCLE_1)
	v_cmp_ne_u32_e64 s7, 0x7f800000, v3
	s_and_saveexec_b32 s23, s7
	s_xor_b32 s7, exec_lo, s23
; %bb.1038:                             ;   in Loop: Header=BB10_1021 Depth=2
	v_bfe_u32 v3, v2, 16, 1
	s_delay_alu instid0(VALU_DEP_1)
	v_add3_u32 v103, v2, v3, 0x7fff
                                        ; implicit-def: $vgpr2
; %bb.1039:                             ;   in Loop: Header=BB10_1021 Depth=2
	s_and_not1_saveexec_b32 s23, s7
; %bb.1040:                             ;   in Loop: Header=BB10_1021 Depth=2
	v_and_b32_e32 v3, 0xffff, v2
	v_or_b32_e32 v10, 0x10000, v2
	s_delay_alu instid0(VALU_DEP_2) | instskip(NEXT) | instid1(VALU_DEP_1)
	v_cmp_eq_u32_e64 s7, 0, v3
	v_cndmask_b32_e64 v103, v10, v2, s7
; %bb.1041:                             ;   in Loop: Header=BB10_1021 Depth=2
	s_or_b32 exec_lo, exec_lo, s23
	v_and_b32_e32 v2, 0xffff0000, v12
                                        ; implicit-def: $vgpr102
	s_delay_alu instid0(VALU_DEP_1) | instskip(NEXT) | instid1(VALU_DEP_1)
	v_mul_f32_e32 v2, v98, v2
	v_and_b32_e32 v3, 0x7f800000, v2
	s_delay_alu instid0(VALU_DEP_1) | instskip(SKIP_1) | instid1(SALU_CYCLE_1)
	v_cmp_ne_u32_e64 s7, 0x7f800000, v3
	s_and_saveexec_b32 s23, s7
	s_xor_b32 s7, exec_lo, s23
; %bb.1042:                             ;   in Loop: Header=BB10_1021 Depth=2
	v_bfe_u32 v3, v2, 16, 1
	s_delay_alu instid0(VALU_DEP_1)
	v_add3_u32 v102, v2, v3, 0x7fff
                                        ; implicit-def: $vgpr2
; %bb.1043:                             ;   in Loop: Header=BB10_1021 Depth=2
	s_and_not1_saveexec_b32 s23, s7
; %bb.1044:                             ;   in Loop: Header=BB10_1021 Depth=2
	v_and_b32_e32 v3, 0xffff, v2
	v_or_b32_e32 v10, 0x10000, v2
	s_delay_alu instid0(VALU_DEP_2) | instskip(NEXT) | instid1(VALU_DEP_1)
	v_cmp_eq_u32_e64 s7, 0, v3
	v_cndmask_b32_e64 v102, v10, v2, s7
; %bb.1045:                             ;   in Loop: Header=BB10_1021 Depth=2
	s_or_b32 exec_lo, exec_lo, s23
	v_lshlrev_b32_e32 v2, 16, v13
                                        ; implicit-def: $vgpr101
	s_delay_alu instid0(VALU_DEP_1) | instskip(NEXT) | instid1(VALU_DEP_1)
	v_mul_f32_e32 v2, v98, v2
	v_and_b32_e32 v3, 0x7f800000, v2
	s_delay_alu instid0(VALU_DEP_1) | instskip(SKIP_1) | instid1(SALU_CYCLE_1)
	v_cmp_ne_u32_e64 s7, 0x7f800000, v3
	s_and_saveexec_b32 s23, s7
	s_xor_b32 s7, exec_lo, s23
; %bb.1046:                             ;   in Loop: Header=BB10_1021 Depth=2
	v_bfe_u32 v3, v2, 16, 1
	s_delay_alu instid0(VALU_DEP_1)
	v_add3_u32 v101, v2, v3, 0x7fff
                                        ; implicit-def: $vgpr2
; %bb.1047:                             ;   in Loop: Header=BB10_1021 Depth=2
	s_and_not1_saveexec_b32 s23, s7
; %bb.1048:                             ;   in Loop: Header=BB10_1021 Depth=2
	v_and_b32_e32 v3, 0xffff, v2
	v_or_b32_e32 v10, 0x10000, v2
	s_delay_alu instid0(VALU_DEP_2) | instskip(NEXT) | instid1(VALU_DEP_1)
	v_cmp_eq_u32_e64 s7, 0, v3
	v_cndmask_b32_e64 v101, v10, v2, s7
; %bb.1049:                             ;   in Loop: Header=BB10_1021 Depth=2
	s_or_b32 exec_lo, exec_lo, s23
	v_and_b32_e32 v2, 0xffff0000, v13
                                        ; implicit-def: $vgpr99
	s_delay_alu instid0(VALU_DEP_1) | instskip(NEXT) | instid1(VALU_DEP_1)
	v_mul_f32_e32 v2, v98, v2
	v_and_b32_e32 v3, 0x7f800000, v2
	s_delay_alu instid0(VALU_DEP_1) | instskip(SKIP_1) | instid1(SALU_CYCLE_1)
	v_cmp_ne_u32_e64 s7, 0x7f800000, v3
	s_and_saveexec_b32 s23, s7
	s_xor_b32 s7, exec_lo, s23
; %bb.1050:                             ;   in Loop: Header=BB10_1021 Depth=2
	v_bfe_u32 v3, v2, 16, 1
	s_delay_alu instid0(VALU_DEP_1)
	v_add3_u32 v99, v2, v3, 0x7fff
                                        ; implicit-def: $vgpr2
; %bb.1051:                             ;   in Loop: Header=BB10_1021 Depth=2
	s_and_not1_saveexec_b32 s23, s7
; %bb.1052:                             ;   in Loop: Header=BB10_1021 Depth=2
	v_and_b32_e32 v3, 0xffff, v2
	v_or_b32_e32 v10, 0x10000, v2
	s_delay_alu instid0(VALU_DEP_2) | instskip(NEXT) | instid1(VALU_DEP_1)
	v_cmp_eq_u32_e64 s7, 0, v3
	v_cndmask_b32_e64 v99, v10, v2, s7
; %bb.1053:                             ;   in Loop: Header=BB10_1021 Depth=2
	s_or_b32 exec_lo, exec_lo, s23
	global_load_b128 v[10:13], v[16:17], off th:TH_LOAD_NT
	v_and_b32_e32 v2, 0xffff0000, v100
                                        ; implicit-def: $vgpr100
	s_wait_loadcnt 0x0
	v_lshlrev_b32_e32 v3, 16, v10
	s_delay_alu instid0(VALU_DEP_1) | instskip(NEXT) | instid1(VALU_DEP_1)
	v_add_f32_e32 v2, v2, v3
	v_and_b32_e32 v3, 0x7f800000, v2
	s_delay_alu instid0(VALU_DEP_1) | instskip(SKIP_2) | instid1(SALU_CYCLE_1)
	v_cmp_ne_u32_e64 s7, 0x7f800000, v3
	s_wait_xcnt 0x0
	s_and_saveexec_b32 s23, s7
	s_xor_b32 s7, exec_lo, s23
; %bb.1054:                             ;   in Loop: Header=BB10_1021 Depth=2
	v_bfe_u32 v3, v2, 16, 1
	s_delay_alu instid0(VALU_DEP_1)
	v_add3_u32 v100, v2, v3, 0x7fff
                                        ; implicit-def: $vgpr2
; %bb.1055:                             ;   in Loop: Header=BB10_1021 Depth=2
	s_and_not1_saveexec_b32 s23, s7
; %bb.1056:                             ;   in Loop: Header=BB10_1021 Depth=2
	v_and_b32_e32 v3, 0xffff, v2
	v_or_b32_e32 v100, 0x10000, v2
	s_delay_alu instid0(VALU_DEP_2) | instskip(NEXT) | instid1(VALU_DEP_1)
	v_cmp_eq_u32_e64 s7, 0, v3
	v_cndmask_b32_e64 v100, v100, v2, s7
; %bb.1057:                             ;   in Loop: Header=BB10_1021 Depth=2
	s_or_b32 exec_lo, exec_lo, s23
	v_and_b32_e32 v2, 0xffff0000, v119
	v_and_b32_e32 v3, 0xffff0000, v10
	s_delay_alu instid0(VALU_DEP_1) | instskip(NEXT) | instid1(VALU_DEP_1)
	v_add_f32_e32 v3, v2, v3
	v_and_b32_e32 v2, 0x7f800000, v3
	s_delay_alu instid0(VALU_DEP_1) | instskip(SKIP_1) | instid1(SALU_CYCLE_1)
	v_cmp_ne_u32_e64 s7, 0x7f800000, v2
                                        ; implicit-def: $vgpr2
	s_and_saveexec_b32 s23, s7
	s_xor_b32 s7, exec_lo, s23
; %bb.1058:                             ;   in Loop: Header=BB10_1021 Depth=2
	v_bfe_u32 v2, v3, 16, 1
	s_delay_alu instid0(VALU_DEP_1)
	v_add3_u32 v2, v3, v2, 0x7fff
                                        ; implicit-def: $vgpr3
; %bb.1059:                             ;   in Loop: Header=BB10_1021 Depth=2
	s_and_not1_saveexec_b32 s23, s7
; %bb.1060:                             ;   in Loop: Header=BB10_1021 Depth=2
	v_and_b32_e32 v2, 0xffff, v3
	v_or_b32_e32 v10, 0x10000, v3
	s_delay_alu instid0(VALU_DEP_2) | instskip(NEXT) | instid1(VALU_DEP_1)
	v_cmp_eq_u32_e64 s7, 0, v2
	v_cndmask_b32_e64 v2, v10, v3, s7
; %bb.1061:                             ;   in Loop: Header=BB10_1021 Depth=2
	s_or_b32 exec_lo, exec_lo, s23
	v_and_b32_e32 v3, 0xffff0000, v118
	v_lshlrev_b32_e32 v10, 16, v11
	s_delay_alu instid0(VALU_DEP_1) | instskip(NEXT) | instid1(VALU_DEP_1)
	v_add_f32_e32 v10, v3, v10
	v_and_b32_e32 v3, 0x7f800000, v10
	s_delay_alu instid0(VALU_DEP_1) | instskip(SKIP_1) | instid1(SALU_CYCLE_1)
	v_cmp_ne_u32_e64 s7, 0x7f800000, v3
                                        ; implicit-def: $vgpr3
	s_and_saveexec_b32 s23, s7
	s_xor_b32 s7, exec_lo, s23
; %bb.1062:                             ;   in Loop: Header=BB10_1021 Depth=2
	v_bfe_u32 v3, v10, 16, 1
	s_delay_alu instid0(VALU_DEP_1)
	v_add3_u32 v3, v10, v3, 0x7fff
                                        ; implicit-def: $vgpr10
; %bb.1063:                             ;   in Loop: Header=BB10_1021 Depth=2
	s_and_not1_saveexec_b32 s23, s7
; %bb.1064:                             ;   in Loop: Header=BB10_1021 Depth=2
	v_and_b32_e32 v3, 0xffff, v10
	v_or_b32_e32 v116, 0x10000, v10
	s_delay_alu instid0(VALU_DEP_2) | instskip(NEXT) | instid1(VALU_DEP_1)
	v_cmp_eq_u32_e64 s7, 0, v3
	v_cndmask_b32_e64 v3, v116, v10, s7
; %bb.1065:                             ;   in Loop: Header=BB10_1021 Depth=2
	s_or_b32 exec_lo, exec_lo, s23
	v_and_b32_e32 v10, 0xffff0000, v117
	v_and_b32_e32 v11, 0xffff0000, v11
	s_delay_alu instid0(VALU_DEP_1) | instskip(NEXT) | instid1(VALU_DEP_1)
	v_add_f32_e32 v11, v10, v11
	v_and_b32_e32 v10, 0x7f800000, v11
	s_delay_alu instid0(VALU_DEP_1) | instskip(SKIP_1) | instid1(SALU_CYCLE_1)
	v_cmp_ne_u32_e64 s7, 0x7f800000, v10
                                        ; implicit-def: $vgpr10
	s_and_saveexec_b32 s23, s7
	s_xor_b32 s7, exec_lo, s23
; %bb.1066:                             ;   in Loop: Header=BB10_1021 Depth=2
	v_bfe_u32 v10, v11, 16, 1
	s_delay_alu instid0(VALU_DEP_1)
	v_add3_u32 v10, v11, v10, 0x7fff
                                        ; implicit-def: $vgpr11
; %bb.1067:                             ;   in Loop: Header=BB10_1021 Depth=2
	s_and_not1_saveexec_b32 s23, s7
; %bb.1068:                             ;   in Loop: Header=BB10_1021 Depth=2
	v_and_b32_e32 v10, 0xffff, v11
	v_or_b32_e32 v116, 0x10000, v11
	s_delay_alu instid0(VALU_DEP_2) | instskip(NEXT) | instid1(VALU_DEP_1)
	v_cmp_eq_u32_e64 s7, 0, v10
	v_cndmask_b32_e64 v10, v116, v11, s7
; %bb.1069:                             ;   in Loop: Header=BB10_1021 Depth=2
	s_or_b32 exec_lo, exec_lo, s23
	v_and_b32_e32 v11, 0xffff0000, v103
	v_lshlrev_b32_e32 v103, 16, v12
	s_delay_alu instid0(VALU_DEP_1) | instskip(NEXT) | instid1(VALU_DEP_1)
	v_add_f32_e32 v103, v11, v103
	v_and_b32_e32 v11, 0x7f800000, v103
	s_delay_alu instid0(VALU_DEP_1) | instskip(SKIP_1) | instid1(SALU_CYCLE_1)
	v_cmp_ne_u32_e64 s7, 0x7f800000, v11
                                        ; implicit-def: $vgpr11
	s_and_saveexec_b32 s23, s7
	s_xor_b32 s7, exec_lo, s23
; %bb.1070:                             ;   in Loop: Header=BB10_1021 Depth=2
	v_bfe_u32 v11, v103, 16, 1
	s_delay_alu instid0(VALU_DEP_1)
	v_add3_u32 v11, v103, v11, 0x7fff
                                        ; implicit-def: $vgpr103
; %bb.1071:                             ;   in Loop: Header=BB10_1021 Depth=2
	s_and_not1_saveexec_b32 s23, s7
; %bb.1072:                             ;   in Loop: Header=BB10_1021 Depth=2
	v_and_b32_e32 v11, 0xffff, v103
	v_or_b32_e32 v116, 0x10000, v103
	s_delay_alu instid0(VALU_DEP_2) | instskip(NEXT) | instid1(VALU_DEP_1)
	v_cmp_eq_u32_e64 s7, 0, v11
	v_cndmask_b32_e64 v11, v116, v103, s7
; %bb.1073:                             ;   in Loop: Header=BB10_1021 Depth=2
	s_or_b32 exec_lo, exec_lo, s23
	v_and_b32_e32 v102, 0xffff0000, v102
	v_and_b32_e32 v12, 0xffff0000, v12
	s_delay_alu instid0(VALU_DEP_1) | instskip(NEXT) | instid1(VALU_DEP_1)
	v_add_f32_e32 v102, v102, v12
	v_and_b32_e32 v12, 0x7f800000, v102
	s_delay_alu instid0(VALU_DEP_1) | instskip(SKIP_1) | instid1(SALU_CYCLE_1)
	v_cmp_ne_u32_e64 s7, 0x7f800000, v12
                                        ; implicit-def: $vgpr12
	s_and_saveexec_b32 s23, s7
	s_xor_b32 s7, exec_lo, s23
; %bb.1074:                             ;   in Loop: Header=BB10_1021 Depth=2
	v_bfe_u32 v12, v102, 16, 1
	s_delay_alu instid0(VALU_DEP_1)
	v_add3_u32 v12, v102, v12, 0x7fff
                                        ; implicit-def: $vgpr102
; %bb.1075:                             ;   in Loop: Header=BB10_1021 Depth=2
	s_and_not1_saveexec_b32 s23, s7
; %bb.1076:                             ;   in Loop: Header=BB10_1021 Depth=2
	v_and_b32_e32 v12, 0xffff, v102
	v_or_b32_e32 v103, 0x10000, v102
	s_delay_alu instid0(VALU_DEP_2) | instskip(NEXT) | instid1(VALU_DEP_1)
	v_cmp_eq_u32_e64 s7, 0, v12
	v_cndmask_b32_e64 v12, v103, v102, s7
; %bb.1077:                             ;   in Loop: Header=BB10_1021 Depth=2
	s_or_b32 exec_lo, exec_lo, s23
	v_and_b32_e32 v101, 0xffff0000, v101
	v_lshlrev_b32_e32 v102, 16, v13
	s_delay_alu instid0(VALU_DEP_1) | instskip(NEXT) | instid1(VALU_DEP_1)
	v_add_f32_e32 v102, v101, v102
	v_and_b32_e32 v101, 0x7f800000, v102
	s_delay_alu instid0(VALU_DEP_1) | instskip(SKIP_1) | instid1(SALU_CYCLE_1)
	v_cmp_ne_u32_e64 s7, 0x7f800000, v101
                                        ; implicit-def: $vgpr101
	s_and_saveexec_b32 s23, s7
	s_xor_b32 s7, exec_lo, s23
; %bb.1078:                             ;   in Loop: Header=BB10_1021 Depth=2
	v_bfe_u32 v101, v102, 16, 1
	s_delay_alu instid0(VALU_DEP_1)
	v_add3_u32 v101, v102, v101, 0x7fff
                                        ; implicit-def: $vgpr102
; %bb.1079:                             ;   in Loop: Header=BB10_1021 Depth=2
	s_and_not1_saveexec_b32 s23, s7
; %bb.1080:                             ;   in Loop: Header=BB10_1021 Depth=2
	v_and_b32_e32 v101, 0xffff, v102
	v_or_b32_e32 v103, 0x10000, v102
	s_delay_alu instid0(VALU_DEP_2) | instskip(NEXT) | instid1(VALU_DEP_1)
	v_cmp_eq_u32_e64 s7, 0, v101
	v_cndmask_b32_e64 v101, v103, v102, s7
; %bb.1081:                             ;   in Loop: Header=BB10_1021 Depth=2
	s_or_b32 exec_lo, exec_lo, s23
	v_and_b32_e32 v99, 0xffff0000, v99
	v_and_b32_e32 v13, 0xffff0000, v13
	s_delay_alu instid0(VALU_DEP_1) | instskip(NEXT) | instid1(VALU_DEP_1)
	v_add_f32_e32 v99, v99, v13
	v_and_b32_e32 v13, 0x7f800000, v99
	s_delay_alu instid0(VALU_DEP_1) | instskip(SKIP_1) | instid1(SALU_CYCLE_1)
	v_cmp_ne_u32_e64 s7, 0x7f800000, v13
                                        ; implicit-def: $vgpr13
	s_and_saveexec_b32 s23, s7
	s_xor_b32 s7, exec_lo, s23
; %bb.1082:                             ;   in Loop: Header=BB10_1021 Depth=2
	v_bfe_u32 v13, v99, 16, 1
	s_delay_alu instid0(VALU_DEP_1)
	v_add3_u32 v13, v99, v13, 0x7fff
                                        ; implicit-def: $vgpr99
; %bb.1083:                             ;   in Loop: Header=BB10_1021 Depth=2
	s_and_not1_saveexec_b32 s23, s7
	s_cbranch_execz .LBB10_1020
; %bb.1084:                             ;   in Loop: Header=BB10_1021 Depth=2
	v_and_b32_e32 v13, 0xffff, v99
	v_or_b32_e32 v102, 0x10000, v99
	s_delay_alu instid0(VALU_DEP_2) | instskip(NEXT) | instid1(VALU_DEP_1)
	v_cmp_eq_u32_e64 s7, 0, v13
	v_cndmask_b32_e64 v13, v102, v99, s7
	s_branch .LBB10_1020
.LBB10_1085:                            ;   in Loop: Header=BB10_685 Depth=1
	s_or_b32 exec_lo, exec_lo, s22
.LBB10_1086:                            ;   in Loop: Header=BB10_685 Depth=1
	s_delay_alu instid0(SALU_CYCLE_1) | instskip(NEXT) | instid1(VALU_DEP_2)
	s_or_b32 exec_lo, exec_lo, s21
	v_cmp_lt_i32_e64 s7, 0, v24
	s_delay_alu instid0(VALU_DEP_1) | instskip(NEXT) | instid1(VALU_DEP_1)
	v_dual_cndmask_b32 v10, 0, v54, s7 :: v_dual_bitop2_b32 v2, 14, v115 bitop3:0x40
	v_dual_sub_nc_u32 v3, v23, v2 :: v_dual_cndmask_b32 v115, v23, v2, vcc_lo
	s_delay_alu instid0(VALU_DEP_1) | instskip(NEXT) | instid1(VALU_DEP_2)
	v_dual_cndmask_b32 v2, 0, v3 :: v_dual_sub_nc_u32 v3, v10, v24
	v_cmp_ne_u32_e32 vcc_lo, 0, v115
	s_delay_alu instid0(VALU_DEP_2) | instskip(NEXT) | instid1(VALU_DEP_3)
	v_add3_u32 v16, v22, v20, v2
	v_lshl_add_u32 v17, v3, 5, v21
	s_and_b32 s21, vcc_lo, exec_lo
.LBB10_1087:                            ;   in Loop: Header=BB10_685 Depth=1
	s_or_b32 exec_lo, exec_lo, s20
	s_and_saveexec_b32 s7, s21
	s_cbranch_execz .LBB10_1232
.LBB10_1088:                            ;   in Loop: Header=BB10_685 Depth=1
	s_delay_alu instid0(VALU_DEP_1) | instskip(SKIP_1) | instid1(VALU_DEP_1)
	v_dual_ashrrev_i32 v2, 31, v17 :: v_dual_ashrrev_i32 v3, 31, v115
	s_mov_b32 s20, exec_lo
	v_dual_lshrrev_b32 v2, 27, v2 :: v_dual_lshrrev_b32 v3, 22, v3
	s_delay_alu instid0(VALU_DEP_1) | instskip(NEXT) | instid1(VALU_DEP_1)
	v_dual_add_nc_u32 v2, v17, v2 :: v_dual_add_nc_u32 v3, v115, v3
	v_dual_ashrrev_i32 v18, 5, v2 :: v_dual_ashrrev_i32 v20, 10, v3
	s_delay_alu instid0(VALU_DEP_1) | instskip(NEXT) | instid1(VALU_DEP_1)
	v_sub_nc_u32_e32 v19, v20, v18
	v_cmpx_lt_i32_e32 0, v19
	s_cbranch_execz .LBB10_1220
; %bb.1089:                             ;   in Loop: Header=BB10_685 Depth=1
	v_and_b32_e32 v2, 0x7fffffe0, v2
	s_trap 2
	v_lshlrev_b32_e32 v11, 10, v18
	v_add_nc_u64_e32 v[22:23], 0x3c0, v[96:97]
	s_mov_b32 s21, 0
	v_sub_nc_u32_e32 v10, v17, v2
	ds_load_b64 v[2:3], v0
	ds_load_b32 v21, v0
	s_wait_dscnt 0x0
	v_dual_lshlrev_b32 v21, 16, v21 :: v_dual_lshlrev_b32 v10, 1, v10
	s_delay_alu instid0(VALU_DEP_1) | instskip(NEXT) | instid1(VALU_DEP_1)
	v_add3_u32 v14, v10, v16, v11
	v_ashrrev_i32_e32 v15, 31, v14
	s_delay_alu instid0(VALU_DEP_1)
	v_add_nc_u64_e32 v[10:11], v[14:15], v[86:87]
	v_add_nc_u64_e32 v[12:13], v[2:3], v[14:15]
	;; [unrolled: 1-line block ×3, first 2 shown]
	s_branch .LBB10_1091
.LBB10_1090:                            ;   in Loop: Header=BB10_1091 Depth=2
	s_or_b32 exec_lo, exec_lo, s22
	v_sub_nc_u32_e32 v19, v19, v54
	s_clause 0xf
	flat_store_d16_hi_b16 v[14:15], v22 offset:-960 th:TH_STORE_NT
	flat_store_d16_hi_b16 v[14:15], v23 offset:-896 th:TH_STORE_NT
	;; [unrolled: 1-line block ×15, first 2 shown]
	flat_store_d16_hi_b16 v[14:15], v119 th:TH_STORE_NT
	v_add_nc_u64_e32 v[10:11], v[10:11], v[70:71]
	v_add_nc_u64_e32 v[12:13], v[12:13], v[70:71]
	v_cmp_gt_i32_e32 vcc_lo, 1, v19
	s_wait_xcnt 0x0
	v_add_nc_u64_e32 v[14:15], v[14:15], v[70:71]
	s_or_b32 s21, vcc_lo, s21
	s_delay_alu instid0(SALU_CYCLE_1)
	s_and_not1_b32 exec_lo, exec_lo, s21
	s_cbranch_execz .LBB10_1219
.LBB10_1091:                            ;   Parent Loop BB10_685 Depth=1
                                        ; =>  This Inner Loop Header: Depth=2
	flat_load_u16 v2, v[10:11] th:TH_LOAD_NT
	s_mov_b32 s22, exec_lo
                                        ; implicit-def: $vgpr22
	s_wait_loadcnt_dscnt 0x0
	v_lshlrev_b32_e32 v2, 16, v2
	s_delay_alu instid0(VALU_DEP_1) | instskip(NEXT) | instid1(VALU_DEP_1)
	v_mul_f32_e32 v2, v21, v2
	v_and_b32_e32 v3, 0x7f800000, v2
	s_wait_xcnt 0x0
	s_delay_alu instid0(VALU_DEP_1)
	v_cmpx_ne_u32_e32 0x7f800000, v3
	s_xor_b32 s22, exec_lo, s22
; %bb.1092:                             ;   in Loop: Header=BB10_1091 Depth=2
	v_bfe_u32 v3, v2, 16, 1
	s_delay_alu instid0(VALU_DEP_1)
	v_add3_u32 v22, v2, v3, 0x7fff
                                        ; implicit-def: $vgpr2
; %bb.1093:                             ;   in Loop: Header=BB10_1091 Depth=2
	s_and_not1_saveexec_b32 s22, s22
; %bb.1094:                             ;   in Loop: Header=BB10_1091 Depth=2
	v_and_b32_e32 v3, 0xffff, v2
	v_or_b32_e32 v22, 0x10000, v2
	s_delay_alu instid0(VALU_DEP_2) | instskip(NEXT) | instid1(VALU_DEP_2)
	v_cmp_eq_u32_e32 vcc_lo, 0, v3
	v_cndmask_b32_e32 v22, v22, v2, vcc_lo
; %bb.1095:                             ;   in Loop: Header=BB10_1091 Depth=2
	s_or_b32 exec_lo, exec_lo, s22
	flat_load_u16 v2, v[10:11] offset:64 th:TH_LOAD_NT
	s_mov_b32 s22, exec_lo
                                        ; implicit-def: $vgpr23
	s_wait_loadcnt_dscnt 0x0
	v_lshlrev_b32_e32 v2, 16, v2
	s_delay_alu instid0(VALU_DEP_1) | instskip(NEXT) | instid1(VALU_DEP_1)
	v_mul_f32_e32 v2, v21, v2
	v_and_b32_e32 v3, 0x7f800000, v2
	s_wait_xcnt 0x0
	s_delay_alu instid0(VALU_DEP_1)
	v_cmpx_ne_u32_e32 0x7f800000, v3
	s_xor_b32 s22, exec_lo, s22
; %bb.1096:                             ;   in Loop: Header=BB10_1091 Depth=2
	v_bfe_u32 v3, v2, 16, 1
	s_delay_alu instid0(VALU_DEP_1)
	v_add3_u32 v23, v2, v3, 0x7fff
                                        ; implicit-def: $vgpr2
; %bb.1097:                             ;   in Loop: Header=BB10_1091 Depth=2
	s_and_not1_saveexec_b32 s22, s22
; %bb.1098:                             ;   in Loop: Header=BB10_1091 Depth=2
	v_and_b32_e32 v3, 0xffff, v2
	v_or_b32_e32 v23, 0x10000, v2
	s_delay_alu instid0(VALU_DEP_2) | instskip(NEXT) | instid1(VALU_DEP_2)
	v_cmp_eq_u32_e32 vcc_lo, 0, v3
	v_cndmask_b32_e32 v23, v23, v2, vcc_lo
; %bb.1099:                             ;   in Loop: Header=BB10_1091 Depth=2
	s_or_b32 exec_lo, exec_lo, s22
	flat_load_u16 v2, v[10:11] offset:128 th:TH_LOAD_NT
	s_mov_b32 s22, exec_lo
                                        ; implicit-def: $vgpr24
	s_wait_loadcnt_dscnt 0x0
	v_lshlrev_b32_e32 v2, 16, v2
	s_delay_alu instid0(VALU_DEP_1) | instskip(NEXT) | instid1(VALU_DEP_1)
	v_mul_f32_e32 v2, v21, v2
	v_and_b32_e32 v3, 0x7f800000, v2
	s_wait_xcnt 0x0
	s_delay_alu instid0(VALU_DEP_1)
	v_cmpx_ne_u32_e32 0x7f800000, v3
	s_xor_b32 s22, exec_lo, s22
; %bb.1100:                             ;   in Loop: Header=BB10_1091 Depth=2
	v_bfe_u32 v3, v2, 16, 1
	s_delay_alu instid0(VALU_DEP_1)
	v_add3_u32 v24, v2, v3, 0x7fff
                                        ; implicit-def: $vgpr2
; %bb.1101:                             ;   in Loop: Header=BB10_1091 Depth=2
	s_and_not1_saveexec_b32 s22, s22
; %bb.1102:                             ;   in Loop: Header=BB10_1091 Depth=2
	v_and_b32_e32 v3, 0xffff, v2
	v_or_b32_e32 v24, 0x10000, v2
	s_delay_alu instid0(VALU_DEP_2) | instskip(NEXT) | instid1(VALU_DEP_2)
	v_cmp_eq_u32_e32 vcc_lo, 0, v3
	v_cndmask_b32_e32 v24, v24, v2, vcc_lo
; %bb.1103:                             ;   in Loop: Header=BB10_1091 Depth=2
	s_or_b32 exec_lo, exec_lo, s22
	flat_load_u16 v2, v[10:11] offset:192 th:TH_LOAD_NT
	s_mov_b32 s22, exec_lo
                                        ; implicit-def: $vgpr25
	s_wait_loadcnt_dscnt 0x0
	v_lshlrev_b32_e32 v2, 16, v2
	s_delay_alu instid0(VALU_DEP_1) | instskip(NEXT) | instid1(VALU_DEP_1)
	v_mul_f32_e32 v2, v21, v2
	v_and_b32_e32 v3, 0x7f800000, v2
	s_wait_xcnt 0x0
	s_delay_alu instid0(VALU_DEP_1)
	v_cmpx_ne_u32_e32 0x7f800000, v3
	s_xor_b32 s22, exec_lo, s22
; %bb.1104:                             ;   in Loop: Header=BB10_1091 Depth=2
	v_bfe_u32 v3, v2, 16, 1
	s_delay_alu instid0(VALU_DEP_1)
	v_add3_u32 v25, v2, v3, 0x7fff
                                        ; implicit-def: $vgpr2
; %bb.1105:                             ;   in Loop: Header=BB10_1091 Depth=2
	s_and_not1_saveexec_b32 s22, s22
; %bb.1106:                             ;   in Loop: Header=BB10_1091 Depth=2
	v_and_b32_e32 v3, 0xffff, v2
	v_or_b32_e32 v25, 0x10000, v2
	s_delay_alu instid0(VALU_DEP_2) | instskip(NEXT) | instid1(VALU_DEP_2)
	v_cmp_eq_u32_e32 vcc_lo, 0, v3
	v_cndmask_b32_e32 v25, v25, v2, vcc_lo
; %bb.1107:                             ;   in Loop: Header=BB10_1091 Depth=2
	s_or_b32 exec_lo, exec_lo, s22
	flat_load_u16 v2, v[10:11] offset:256 th:TH_LOAD_NT
	s_mov_b32 s22, exec_lo
                                        ; implicit-def: $vgpr98
	s_wait_loadcnt_dscnt 0x0
	v_lshlrev_b32_e32 v2, 16, v2
	s_delay_alu instid0(VALU_DEP_1) | instskip(NEXT) | instid1(VALU_DEP_1)
	v_mul_f32_e32 v2, v21, v2
	v_and_b32_e32 v3, 0x7f800000, v2
	s_wait_xcnt 0x0
	s_delay_alu instid0(VALU_DEP_1)
	v_cmpx_ne_u32_e32 0x7f800000, v3
	s_xor_b32 s22, exec_lo, s22
; %bb.1108:                             ;   in Loop: Header=BB10_1091 Depth=2
	v_bfe_u32 v3, v2, 16, 1
	s_delay_alu instid0(VALU_DEP_1)
	v_add3_u32 v98, v2, v3, 0x7fff
                                        ; implicit-def: $vgpr2
; %bb.1109:                             ;   in Loop: Header=BB10_1091 Depth=2
	s_and_not1_saveexec_b32 s22, s22
; %bb.1110:                             ;   in Loop: Header=BB10_1091 Depth=2
	v_and_b32_e32 v3, 0xffff, v2
	v_or_b32_e32 v98, 0x10000, v2
	s_delay_alu instid0(VALU_DEP_2) | instskip(NEXT) | instid1(VALU_DEP_2)
	v_cmp_eq_u32_e32 vcc_lo, 0, v3
	v_cndmask_b32_e32 v98, v98, v2, vcc_lo
; %bb.1111:                             ;   in Loop: Header=BB10_1091 Depth=2
	s_or_b32 exec_lo, exec_lo, s22
	flat_load_u16 v2, v[10:11] offset:320 th:TH_LOAD_NT
	s_mov_b32 s22, exec_lo
                                        ; implicit-def: $vgpr99
	s_wait_loadcnt_dscnt 0x0
	v_lshlrev_b32_e32 v2, 16, v2
	s_delay_alu instid0(VALU_DEP_1) | instskip(NEXT) | instid1(VALU_DEP_1)
	v_mul_f32_e32 v2, v21, v2
	v_and_b32_e32 v3, 0x7f800000, v2
	s_wait_xcnt 0x0
	s_delay_alu instid0(VALU_DEP_1)
	v_cmpx_ne_u32_e32 0x7f800000, v3
	s_xor_b32 s22, exec_lo, s22
; %bb.1112:                             ;   in Loop: Header=BB10_1091 Depth=2
	v_bfe_u32 v3, v2, 16, 1
	s_delay_alu instid0(VALU_DEP_1)
	v_add3_u32 v99, v2, v3, 0x7fff
                                        ; implicit-def: $vgpr2
; %bb.1113:                             ;   in Loop: Header=BB10_1091 Depth=2
	s_and_not1_saveexec_b32 s22, s22
; %bb.1114:                             ;   in Loop: Header=BB10_1091 Depth=2
	v_and_b32_e32 v3, 0xffff, v2
	v_or_b32_e32 v99, 0x10000, v2
	s_delay_alu instid0(VALU_DEP_2) | instskip(NEXT) | instid1(VALU_DEP_2)
	v_cmp_eq_u32_e32 vcc_lo, 0, v3
	v_cndmask_b32_e32 v99, v99, v2, vcc_lo
; %bb.1115:                             ;   in Loop: Header=BB10_1091 Depth=2
	s_or_b32 exec_lo, exec_lo, s22
	flat_load_u16 v2, v[10:11] offset:384 th:TH_LOAD_NT
	s_mov_b32 s22, exec_lo
                                        ; implicit-def: $vgpr100
	s_wait_loadcnt_dscnt 0x0
	v_lshlrev_b32_e32 v2, 16, v2
	s_delay_alu instid0(VALU_DEP_1) | instskip(NEXT) | instid1(VALU_DEP_1)
	v_mul_f32_e32 v2, v21, v2
	v_and_b32_e32 v3, 0x7f800000, v2
	s_wait_xcnt 0x0
	s_delay_alu instid0(VALU_DEP_1)
	v_cmpx_ne_u32_e32 0x7f800000, v3
	s_xor_b32 s22, exec_lo, s22
; %bb.1116:                             ;   in Loop: Header=BB10_1091 Depth=2
	v_bfe_u32 v3, v2, 16, 1
	s_delay_alu instid0(VALU_DEP_1)
	v_add3_u32 v100, v2, v3, 0x7fff
                                        ; implicit-def: $vgpr2
; %bb.1117:                             ;   in Loop: Header=BB10_1091 Depth=2
	s_and_not1_saveexec_b32 s22, s22
; %bb.1118:                             ;   in Loop: Header=BB10_1091 Depth=2
	v_and_b32_e32 v3, 0xffff, v2
	v_or_b32_e32 v100, 0x10000, v2
	s_delay_alu instid0(VALU_DEP_2) | instskip(NEXT) | instid1(VALU_DEP_2)
	v_cmp_eq_u32_e32 vcc_lo, 0, v3
	v_cndmask_b32_e32 v100, v100, v2, vcc_lo
; %bb.1119:                             ;   in Loop: Header=BB10_1091 Depth=2
	s_or_b32 exec_lo, exec_lo, s22
	flat_load_u16 v2, v[10:11] offset:448 th:TH_LOAD_NT
	s_mov_b32 s22, exec_lo
                                        ; implicit-def: $vgpr101
	s_wait_loadcnt_dscnt 0x0
	v_lshlrev_b32_e32 v2, 16, v2
	s_delay_alu instid0(VALU_DEP_1) | instskip(NEXT) | instid1(VALU_DEP_1)
	v_mul_f32_e32 v2, v21, v2
	v_and_b32_e32 v3, 0x7f800000, v2
	s_wait_xcnt 0x0
	s_delay_alu instid0(VALU_DEP_1)
	v_cmpx_ne_u32_e32 0x7f800000, v3
	s_xor_b32 s22, exec_lo, s22
; %bb.1120:                             ;   in Loop: Header=BB10_1091 Depth=2
	v_bfe_u32 v3, v2, 16, 1
	s_delay_alu instid0(VALU_DEP_1)
	v_add3_u32 v101, v2, v3, 0x7fff
                                        ; implicit-def: $vgpr2
; %bb.1121:                             ;   in Loop: Header=BB10_1091 Depth=2
	s_and_not1_saveexec_b32 s22, s22
; %bb.1122:                             ;   in Loop: Header=BB10_1091 Depth=2
	v_and_b32_e32 v3, 0xffff, v2
	v_or_b32_e32 v101, 0x10000, v2
	s_delay_alu instid0(VALU_DEP_2) | instskip(NEXT) | instid1(VALU_DEP_2)
	v_cmp_eq_u32_e32 vcc_lo, 0, v3
	v_cndmask_b32_e32 v101, v101, v2, vcc_lo
; %bb.1123:                             ;   in Loop: Header=BB10_1091 Depth=2
	s_or_b32 exec_lo, exec_lo, s22
	flat_load_u16 v2, v[10:11] offset:512 th:TH_LOAD_NT
	s_mov_b32 s22, exec_lo
                                        ; implicit-def: $vgpr102
	s_wait_loadcnt_dscnt 0x0
	v_lshlrev_b32_e32 v2, 16, v2
	s_delay_alu instid0(VALU_DEP_1) | instskip(NEXT) | instid1(VALU_DEP_1)
	v_mul_f32_e32 v2, v21, v2
	v_and_b32_e32 v3, 0x7f800000, v2
	s_wait_xcnt 0x0
	s_delay_alu instid0(VALU_DEP_1)
	v_cmpx_ne_u32_e32 0x7f800000, v3
	s_xor_b32 s22, exec_lo, s22
; %bb.1124:                             ;   in Loop: Header=BB10_1091 Depth=2
	v_bfe_u32 v3, v2, 16, 1
	s_delay_alu instid0(VALU_DEP_1)
	v_add3_u32 v102, v2, v3, 0x7fff
                                        ; implicit-def: $vgpr2
; %bb.1125:                             ;   in Loop: Header=BB10_1091 Depth=2
	s_and_not1_saveexec_b32 s22, s22
; %bb.1126:                             ;   in Loop: Header=BB10_1091 Depth=2
	v_and_b32_e32 v3, 0xffff, v2
	v_or_b32_e32 v102, 0x10000, v2
	s_delay_alu instid0(VALU_DEP_2) | instskip(NEXT) | instid1(VALU_DEP_2)
	v_cmp_eq_u32_e32 vcc_lo, 0, v3
	v_cndmask_b32_e32 v102, v102, v2, vcc_lo
; %bb.1127:                             ;   in Loop: Header=BB10_1091 Depth=2
	s_or_b32 exec_lo, exec_lo, s22
	flat_load_u16 v2, v[10:11] offset:576 th:TH_LOAD_NT
	s_mov_b32 s22, exec_lo
                                        ; implicit-def: $vgpr103
	s_wait_loadcnt_dscnt 0x0
	v_lshlrev_b32_e32 v2, 16, v2
	s_delay_alu instid0(VALU_DEP_1) | instskip(NEXT) | instid1(VALU_DEP_1)
	v_mul_f32_e32 v2, v21, v2
	v_and_b32_e32 v3, 0x7f800000, v2
	s_wait_xcnt 0x0
	s_delay_alu instid0(VALU_DEP_1)
	v_cmpx_ne_u32_e32 0x7f800000, v3
	s_xor_b32 s22, exec_lo, s22
; %bb.1128:                             ;   in Loop: Header=BB10_1091 Depth=2
	v_bfe_u32 v3, v2, 16, 1
	s_delay_alu instid0(VALU_DEP_1)
	v_add3_u32 v103, v2, v3, 0x7fff
                                        ; implicit-def: $vgpr2
; %bb.1129:                             ;   in Loop: Header=BB10_1091 Depth=2
	s_and_not1_saveexec_b32 s22, s22
; %bb.1130:                             ;   in Loop: Header=BB10_1091 Depth=2
	v_and_b32_e32 v3, 0xffff, v2
	v_or_b32_e32 v103, 0x10000, v2
	s_delay_alu instid0(VALU_DEP_2) | instskip(NEXT) | instid1(VALU_DEP_2)
	v_cmp_eq_u32_e32 vcc_lo, 0, v3
	v_cndmask_b32_e32 v103, v103, v2, vcc_lo
; %bb.1131:                             ;   in Loop: Header=BB10_1091 Depth=2
	s_or_b32 exec_lo, exec_lo, s22
	flat_load_u16 v2, v[10:11] offset:640 th:TH_LOAD_NT
	s_mov_b32 s22, exec_lo
                                        ; implicit-def: $vgpr117
	s_wait_loadcnt_dscnt 0x0
	v_lshlrev_b32_e32 v2, 16, v2
	s_delay_alu instid0(VALU_DEP_1) | instskip(NEXT) | instid1(VALU_DEP_1)
	v_mul_f32_e32 v2, v21, v2
	v_and_b32_e32 v3, 0x7f800000, v2
	s_wait_xcnt 0x0
	s_delay_alu instid0(VALU_DEP_1)
	v_cmpx_ne_u32_e32 0x7f800000, v3
	s_xor_b32 s22, exec_lo, s22
; %bb.1132:                             ;   in Loop: Header=BB10_1091 Depth=2
	v_bfe_u32 v3, v2, 16, 1
	s_delay_alu instid0(VALU_DEP_1)
	v_add3_u32 v117, v2, v3, 0x7fff
                                        ; implicit-def: $vgpr2
; %bb.1133:                             ;   in Loop: Header=BB10_1091 Depth=2
	s_and_not1_saveexec_b32 s22, s22
; %bb.1134:                             ;   in Loop: Header=BB10_1091 Depth=2
	v_and_b32_e32 v3, 0xffff, v2
	v_or_b32_e32 v116, 0x10000, v2
	s_delay_alu instid0(VALU_DEP_2) | instskip(NEXT) | instid1(VALU_DEP_2)
	v_cmp_eq_u32_e32 vcc_lo, 0, v3
	v_cndmask_b32_e32 v117, v116, v2, vcc_lo
; %bb.1135:                             ;   in Loop: Header=BB10_1091 Depth=2
	s_or_b32 exec_lo, exec_lo, s22
	flat_load_u16 v2, v[10:11] offset:704 th:TH_LOAD_NT
	s_mov_b32 s22, exec_lo
                                        ; implicit-def: $vgpr118
	s_wait_loadcnt_dscnt 0x0
	v_lshlrev_b32_e32 v2, 16, v2
	s_delay_alu instid0(VALU_DEP_1) | instskip(NEXT) | instid1(VALU_DEP_1)
	v_mul_f32_e32 v2, v21, v2
	v_and_b32_e32 v3, 0x7f800000, v2
	s_wait_xcnt 0x0
	s_delay_alu instid0(VALU_DEP_1)
	v_cmpx_ne_u32_e32 0x7f800000, v3
	s_xor_b32 s22, exec_lo, s22
; %bb.1136:                             ;   in Loop: Header=BB10_1091 Depth=2
	v_bfe_u32 v3, v2, 16, 1
	s_delay_alu instid0(VALU_DEP_1)
	v_add3_u32 v118, v2, v3, 0x7fff
                                        ; implicit-def: $vgpr2
; %bb.1137:                             ;   in Loop: Header=BB10_1091 Depth=2
	s_and_not1_saveexec_b32 s22, s22
; %bb.1138:                             ;   in Loop: Header=BB10_1091 Depth=2
	v_and_b32_e32 v3, 0xffff, v2
	v_or_b32_e32 v116, 0x10000, v2
	s_delay_alu instid0(VALU_DEP_2) | instskip(NEXT) | instid1(VALU_DEP_2)
	v_cmp_eq_u32_e32 vcc_lo, 0, v3
	v_cndmask_b32_e32 v118, v116, v2, vcc_lo
; %bb.1139:                             ;   in Loop: Header=BB10_1091 Depth=2
	s_or_b32 exec_lo, exec_lo, s22
	flat_load_u16 v2, v[10:11] offset:768 th:TH_LOAD_NT
	s_mov_b32 s22, exec_lo
                                        ; implicit-def: $vgpr119
	s_wait_loadcnt_dscnt 0x0
	v_lshlrev_b32_e32 v2, 16, v2
	s_delay_alu instid0(VALU_DEP_1) | instskip(NEXT) | instid1(VALU_DEP_1)
	v_mul_f32_e32 v2, v21, v2
	v_and_b32_e32 v3, 0x7f800000, v2
	s_wait_xcnt 0x0
	s_delay_alu instid0(VALU_DEP_1)
	v_cmpx_ne_u32_e32 0x7f800000, v3
	s_xor_b32 s22, exec_lo, s22
; %bb.1140:                             ;   in Loop: Header=BB10_1091 Depth=2
	v_bfe_u32 v3, v2, 16, 1
	s_delay_alu instid0(VALU_DEP_1)
	v_add3_u32 v119, v2, v3, 0x7fff
                                        ; implicit-def: $vgpr2
; %bb.1141:                             ;   in Loop: Header=BB10_1091 Depth=2
	s_and_not1_saveexec_b32 s22, s22
; %bb.1142:                             ;   in Loop: Header=BB10_1091 Depth=2
	v_and_b32_e32 v3, 0xffff, v2
	v_or_b32_e32 v116, 0x10000, v2
	s_delay_alu instid0(VALU_DEP_2) | instskip(NEXT) | instid1(VALU_DEP_2)
	v_cmp_eq_u32_e32 vcc_lo, 0, v3
	v_cndmask_b32_e32 v119, v116, v2, vcc_lo
; %bb.1143:                             ;   in Loop: Header=BB10_1091 Depth=2
	s_or_b32 exec_lo, exec_lo, s22
	flat_load_u16 v2, v[10:11] offset:832 th:TH_LOAD_NT
	s_mov_b32 s22, exec_lo
                                        ; implicit-def: $vgpr40
	s_wait_loadcnt_dscnt 0x0
	v_lshlrev_b32_e32 v2, 16, v2
	s_delay_alu instid0(VALU_DEP_1) | instskip(NEXT) | instid1(VALU_DEP_1)
	v_mul_f32_e32 v2, v21, v2
	v_and_b32_e32 v3, 0x7f800000, v2
	s_wait_xcnt 0x0
	s_delay_alu instid0(VALU_DEP_1)
	v_cmpx_ne_u32_e32 0x7f800000, v3
	s_xor_b32 s22, exec_lo, s22
; %bb.1144:                             ;   in Loop: Header=BB10_1091 Depth=2
	v_bfe_u32 v3, v2, 16, 1
	s_delay_alu instid0(VALU_DEP_1)
	v_add3_u32 v40, v2, v3, 0x7fff
                                        ; implicit-def: $vgpr2
; %bb.1145:                             ;   in Loop: Header=BB10_1091 Depth=2
	s_and_not1_saveexec_b32 s22, s22
; %bb.1146:                             ;   in Loop: Header=BB10_1091 Depth=2
	v_and_b32_e32 v3, 0xffff, v2
	v_or_b32_e32 v116, 0x10000, v2
	s_delay_alu instid0(VALU_DEP_2) | instskip(NEXT) | instid1(VALU_DEP_2)
	v_cmp_eq_u32_e32 vcc_lo, 0, v3
	v_cndmask_b32_e32 v40, v116, v2, vcc_lo
; %bb.1147:                             ;   in Loop: Header=BB10_1091 Depth=2
	s_or_b32 exec_lo, exec_lo, s22
	flat_load_u16 v2, v[10:11] offset:896 th:TH_LOAD_NT
	s_mov_b32 s22, exec_lo
                                        ; implicit-def: $vgpr41
	s_wait_loadcnt_dscnt 0x0
	v_lshlrev_b32_e32 v2, 16, v2
	s_delay_alu instid0(VALU_DEP_1) | instskip(NEXT) | instid1(VALU_DEP_1)
	v_mul_f32_e32 v2, v21, v2
	v_and_b32_e32 v3, 0x7f800000, v2
	s_wait_xcnt 0x0
	s_delay_alu instid0(VALU_DEP_1)
	v_cmpx_ne_u32_e32 0x7f800000, v3
	s_xor_b32 s22, exec_lo, s22
; %bb.1148:                             ;   in Loop: Header=BB10_1091 Depth=2
	v_bfe_u32 v3, v2, 16, 1
	s_delay_alu instid0(VALU_DEP_1)
	v_add3_u32 v41, v2, v3, 0x7fff
                                        ; implicit-def: $vgpr2
; %bb.1149:                             ;   in Loop: Header=BB10_1091 Depth=2
	s_and_not1_saveexec_b32 s22, s22
; %bb.1150:                             ;   in Loop: Header=BB10_1091 Depth=2
	v_and_b32_e32 v3, 0xffff, v2
	v_or_b32_e32 v116, 0x10000, v2
	s_delay_alu instid0(VALU_DEP_2) | instskip(NEXT) | instid1(VALU_DEP_2)
	v_cmp_eq_u32_e32 vcc_lo, 0, v3
	v_cndmask_b32_e32 v41, v116, v2, vcc_lo
; %bb.1151:                             ;   in Loop: Header=BB10_1091 Depth=2
	s_or_b32 exec_lo, exec_lo, s22
	flat_load_u16 v2, v[10:11] offset:960 th:TH_LOAD_NT
	s_mov_b32 s22, exec_lo
                                        ; implicit-def: $vgpr42
	s_wait_loadcnt_dscnt 0x0
	v_lshlrev_b32_e32 v2, 16, v2
	s_delay_alu instid0(VALU_DEP_1) | instskip(NEXT) | instid1(VALU_DEP_1)
	v_mul_f32_e32 v2, v21, v2
	v_and_b32_e32 v3, 0x7f800000, v2
	s_wait_xcnt 0x0
	s_delay_alu instid0(VALU_DEP_1)
	v_cmpx_ne_u32_e32 0x7f800000, v3
	s_xor_b32 s22, exec_lo, s22
; %bb.1152:                             ;   in Loop: Header=BB10_1091 Depth=2
	v_bfe_u32 v3, v2, 16, 1
	s_delay_alu instid0(VALU_DEP_1)
	v_add3_u32 v42, v2, v3, 0x7fff
                                        ; implicit-def: $vgpr2
; %bb.1153:                             ;   in Loop: Header=BB10_1091 Depth=2
	s_and_not1_saveexec_b32 s22, s22
; %bb.1154:                             ;   in Loop: Header=BB10_1091 Depth=2
	v_and_b32_e32 v3, 0xffff, v2
	v_or_b32_e32 v116, 0x10000, v2
	s_delay_alu instid0(VALU_DEP_2) | instskip(NEXT) | instid1(VALU_DEP_2)
	v_cmp_eq_u32_e32 vcc_lo, 0, v3
	v_cndmask_b32_e32 v42, v116, v2, vcc_lo
; %bb.1155:                             ;   in Loop: Header=BB10_1091 Depth=2
	s_or_b32 exec_lo, exec_lo, s22
	s_clause 0xf
	flat_load_u16 v61, v[12:13] offset:128 th:TH_LOAD_NT
	flat_load_u16 v60, v[12:13] offset:192 th:TH_LOAD_NT
	;; [unrolled: 1-line block ×6, first 2 shown]
	flat_load_u16 v63, v[12:13] th:TH_LOAD_NT
	flat_load_u16 v62, v[12:13] offset:64 th:TH_LOAD_NT
	flat_load_u16 v58, v[12:13] offset:512 th:TH_LOAD_NT
	;; [unrolled: 1-line block ×9, first 2 shown]
	v_and_b32_e32 v22, 0xffff0000, v22
	s_wait_loadcnt_dscnt 0x909
	v_lshlrev_b32_e32 v63, 16, v63
	s_delay_alu instid0(VALU_DEP_1) | instskip(NEXT) | instid1(VALU_DEP_1)
	v_add_f32_e32 v63, v22, v63
	v_and_b32_e32 v22, 0x7f800000, v63
	s_delay_alu instid0(VALU_DEP_1) | instskip(SKIP_2) | instid1(SALU_CYCLE_1)
	v_cmp_ne_u32_e32 vcc_lo, 0x7f800000, v22
                                        ; implicit-def: $vgpr22
	s_wait_xcnt 0x0
	s_and_saveexec_b32 s22, vcc_lo
	s_xor_b32 s22, exec_lo, s22
; %bb.1156:                             ;   in Loop: Header=BB10_1091 Depth=2
	v_bfe_u32 v22, v63, 16, 1
	s_delay_alu instid0(VALU_DEP_1)
	v_add3_u32 v22, v63, v22, 0x7fff
                                        ; implicit-def: $vgpr63
; %bb.1157:                             ;   in Loop: Header=BB10_1091 Depth=2
	s_and_not1_saveexec_b32 s22, s22
; %bb.1158:                             ;   in Loop: Header=BB10_1091 Depth=2
	v_and_b32_e32 v22, 0xffff, v63
	v_or_b32_e32 v72, 0x10000, v63
	s_delay_alu instid0(VALU_DEP_2) | instskip(NEXT) | instid1(VALU_DEP_2)
	v_cmp_eq_u32_e32 vcc_lo, 0, v22
	v_cndmask_b32_e32 v22, v72, v63, vcc_lo
; %bb.1159:                             ;   in Loop: Header=BB10_1091 Depth=2
	s_or_b32 exec_lo, exec_lo, s22
	v_and_b32_e32 v23, 0xffff0000, v23
	s_wait_loadcnt_dscnt 0x808
	v_lshlrev_b32_e32 v62, 16, v62
	s_delay_alu instid0(VALU_DEP_1) | instskip(NEXT) | instid1(VALU_DEP_1)
	v_add_f32_e32 v62, v23, v62
	v_and_b32_e32 v23, 0x7f800000, v62
	s_delay_alu instid0(VALU_DEP_1) | instskip(SKIP_1) | instid1(SALU_CYCLE_1)
	v_cmp_ne_u32_e32 vcc_lo, 0x7f800000, v23
                                        ; implicit-def: $vgpr23
	s_and_saveexec_b32 s22, vcc_lo
	s_xor_b32 s22, exec_lo, s22
; %bb.1160:                             ;   in Loop: Header=BB10_1091 Depth=2
	v_bfe_u32 v23, v62, 16, 1
	s_delay_alu instid0(VALU_DEP_1)
	v_add3_u32 v23, v62, v23, 0x7fff
                                        ; implicit-def: $vgpr62
; %bb.1161:                             ;   in Loop: Header=BB10_1091 Depth=2
	s_and_not1_saveexec_b32 s22, s22
; %bb.1162:                             ;   in Loop: Header=BB10_1091 Depth=2
	v_and_b32_e32 v23, 0xffff, v62
	v_or_b32_e32 v63, 0x10000, v62
	s_delay_alu instid0(VALU_DEP_2) | instskip(NEXT) | instid1(VALU_DEP_2)
	v_cmp_eq_u32_e32 vcc_lo, 0, v23
	v_cndmask_b32_e32 v23, v63, v62, vcc_lo
; %bb.1163:                             ;   in Loop: Header=BB10_1091 Depth=2
	s_or_b32 exec_lo, exec_lo, s22
	v_and_b32_e32 v24, 0xffff0000, v24
	v_lshlrev_b32_e32 v61, 16, v61
	s_delay_alu instid0(VALU_DEP_1) | instskip(NEXT) | instid1(VALU_DEP_1)
	v_add_f32_e32 v61, v24, v61
	v_and_b32_e32 v24, 0x7f800000, v61
	s_delay_alu instid0(VALU_DEP_1) | instskip(SKIP_1) | instid1(SALU_CYCLE_1)
	v_cmp_ne_u32_e32 vcc_lo, 0x7f800000, v24
                                        ; implicit-def: $vgpr24
	s_and_saveexec_b32 s22, vcc_lo
	s_xor_b32 s22, exec_lo, s22
; %bb.1164:                             ;   in Loop: Header=BB10_1091 Depth=2
	v_bfe_u32 v24, v61, 16, 1
	s_delay_alu instid0(VALU_DEP_1)
	v_add3_u32 v24, v61, v24, 0x7fff
                                        ; implicit-def: $vgpr61
; %bb.1165:                             ;   in Loop: Header=BB10_1091 Depth=2
	s_and_not1_saveexec_b32 s22, s22
; %bb.1166:                             ;   in Loop: Header=BB10_1091 Depth=2
	v_and_b32_e32 v24, 0xffff, v61
	v_or_b32_e32 v62, 0x10000, v61
	s_delay_alu instid0(VALU_DEP_2) | instskip(NEXT) | instid1(VALU_DEP_2)
	v_cmp_eq_u32_e32 vcc_lo, 0, v24
	v_cndmask_b32_e32 v24, v62, v61, vcc_lo
; %bb.1167:                             ;   in Loop: Header=BB10_1091 Depth=2
	s_or_b32 exec_lo, exec_lo, s22
	v_and_b32_e32 v25, 0xffff0000, v25
	v_lshlrev_b32_e32 v60, 16, v60
	s_delay_alu instid0(VALU_DEP_1) | instskip(NEXT) | instid1(VALU_DEP_1)
	v_add_f32_e32 v60, v25, v60
	v_and_b32_e32 v25, 0x7f800000, v60
	s_delay_alu instid0(VALU_DEP_1) | instskip(SKIP_1) | instid1(SALU_CYCLE_1)
	v_cmp_ne_u32_e32 vcc_lo, 0x7f800000, v25
                                        ; implicit-def: $vgpr25
	s_and_saveexec_b32 s22, vcc_lo
	s_xor_b32 s22, exec_lo, s22
; %bb.1168:                             ;   in Loop: Header=BB10_1091 Depth=2
	v_bfe_u32 v25, v60, 16, 1
	s_delay_alu instid0(VALU_DEP_1)
	v_add3_u32 v25, v60, v25, 0x7fff
                                        ; implicit-def: $vgpr60
; %bb.1169:                             ;   in Loop: Header=BB10_1091 Depth=2
	s_and_not1_saveexec_b32 s22, s22
; %bb.1170:                             ;   in Loop: Header=BB10_1091 Depth=2
	v_and_b32_e32 v25, 0xffff, v60
	v_or_b32_e32 v61, 0x10000, v60
	s_delay_alu instid0(VALU_DEP_2) | instskip(NEXT) | instid1(VALU_DEP_2)
	v_cmp_eq_u32_e32 vcc_lo, 0, v25
	v_cndmask_b32_e32 v25, v61, v60, vcc_lo
; %bb.1171:                             ;   in Loop: Header=BB10_1091 Depth=2
	s_or_b32 exec_lo, exec_lo, s22
	v_and_b32_e32 v98, 0xffff0000, v98
	v_lshlrev_b32_e32 v116, 16, v116
	s_delay_alu instid0(VALU_DEP_1) | instskip(NEXT) | instid1(VALU_DEP_1)
	v_add_f32_e32 v116, v98, v116
	v_and_b32_e32 v98, 0x7f800000, v116
	s_delay_alu instid0(VALU_DEP_1) | instskip(SKIP_1) | instid1(SALU_CYCLE_1)
	v_cmp_ne_u32_e32 vcc_lo, 0x7f800000, v98
                                        ; implicit-def: $vgpr98
	s_and_saveexec_b32 s22, vcc_lo
	s_xor_b32 s22, exec_lo, s22
; %bb.1172:                             ;   in Loop: Header=BB10_1091 Depth=2
	v_bfe_u32 v98, v116, 16, 1
	s_delay_alu instid0(VALU_DEP_1)
	v_add3_u32 v98, v116, v98, 0x7fff
                                        ; implicit-def: $vgpr116
; %bb.1173:                             ;   in Loop: Header=BB10_1091 Depth=2
	s_and_not1_saveexec_b32 s22, s22
; %bb.1174:                             ;   in Loop: Header=BB10_1091 Depth=2
	v_and_b32_e32 v98, 0xffff, v116
	v_or_b32_e32 v60, 0x10000, v116
	s_delay_alu instid0(VALU_DEP_2) | instskip(NEXT) | instid1(VALU_DEP_2)
	v_cmp_eq_u32_e32 vcc_lo, 0, v98
	v_cndmask_b32_e32 v98, v60, v116, vcc_lo
; %bb.1175:                             ;   in Loop: Header=BB10_1091 Depth=2
	s_or_b32 exec_lo, exec_lo, s22
	v_and_b32_e32 v99, 0xffff0000, v99
	v_lshlrev_b32_e32 v3, 16, v3
	s_delay_alu instid0(VALU_DEP_1) | instskip(NEXT) | instid1(VALU_DEP_1)
	v_add_f32_e32 v3, v99, v3
	v_and_b32_e32 v99, 0x7f800000, v3
	s_delay_alu instid0(VALU_DEP_1) | instskip(SKIP_1) | instid1(SALU_CYCLE_1)
	v_cmp_ne_u32_e32 vcc_lo, 0x7f800000, v99
                                        ; implicit-def: $vgpr99
	s_and_saveexec_b32 s22, vcc_lo
	s_xor_b32 s22, exec_lo, s22
; %bb.1176:                             ;   in Loop: Header=BB10_1091 Depth=2
	v_bfe_u32 v99, v3, 16, 1
	s_delay_alu instid0(VALU_DEP_1)
	v_add3_u32 v99, v3, v99, 0x7fff
                                        ; implicit-def: $vgpr3
; %bb.1177:                             ;   in Loop: Header=BB10_1091 Depth=2
	s_and_not1_saveexec_b32 s22, s22
; %bb.1178:                             ;   in Loop: Header=BB10_1091 Depth=2
	v_and_b32_e32 v99, 0xffff, v3
	v_or_b32_e32 v116, 0x10000, v3
	s_delay_alu instid0(VALU_DEP_2) | instskip(NEXT) | instid1(VALU_DEP_2)
	v_cmp_eq_u32_e32 vcc_lo, 0, v99
	v_cndmask_b32_e32 v99, v116, v3, vcc_lo
; %bb.1179:                             ;   in Loop: Header=BB10_1091 Depth=2
	s_or_b32 exec_lo, exec_lo, s22
	v_and_b32_e32 v3, 0xffff0000, v100
	v_lshlrev_b32_e32 v2, 16, v2
	s_mov_b32 s22, exec_lo
                                        ; implicit-def: $vgpr100
	s_delay_alu instid0(VALU_DEP_1) | instskip(NEXT) | instid1(VALU_DEP_1)
	v_add_f32_e32 v2, v3, v2
	v_and_b32_e32 v3, 0x7f800000, v2
	s_delay_alu instid0(VALU_DEP_1)
	v_cmpx_ne_u32_e32 0x7f800000, v3
	s_xor_b32 s22, exec_lo, s22
; %bb.1180:                             ;   in Loop: Header=BB10_1091 Depth=2
	v_bfe_u32 v3, v2, 16, 1
	s_delay_alu instid0(VALU_DEP_1)
	v_add3_u32 v100, v2, v3, 0x7fff
                                        ; implicit-def: $vgpr2
; %bb.1181:                             ;   in Loop: Header=BB10_1091 Depth=2
	s_and_not1_saveexec_b32 s22, s22
; %bb.1182:                             ;   in Loop: Header=BB10_1091 Depth=2
	v_and_b32_e32 v3, 0xffff, v2
	v_or_b32_e32 v100, 0x10000, v2
	s_delay_alu instid0(VALU_DEP_2) | instskip(NEXT) | instid1(VALU_DEP_2)
	v_cmp_eq_u32_e32 vcc_lo, 0, v3
	v_cndmask_b32_e32 v100, v100, v2, vcc_lo
; %bb.1183:                             ;   in Loop: Header=BB10_1091 Depth=2
	s_or_b32 exec_lo, exec_lo, s22
	v_and_b32_e32 v2, 0xffff0000, v101
	v_lshlrev_b32_e32 v3, 16, v59
	s_mov_b32 s22, exec_lo
                                        ; implicit-def: $vgpr101
	s_delay_alu instid0(VALU_DEP_1) | instskip(NEXT) | instid1(VALU_DEP_1)
	v_add_f32_e32 v2, v2, v3
	v_and_b32_e32 v3, 0x7f800000, v2
	s_delay_alu instid0(VALU_DEP_1)
	v_cmpx_ne_u32_e32 0x7f800000, v3
	s_xor_b32 s22, exec_lo, s22
; %bb.1184:                             ;   in Loop: Header=BB10_1091 Depth=2
	v_bfe_u32 v3, v2, 16, 1
	s_delay_alu instid0(VALU_DEP_1)
	v_add3_u32 v101, v2, v3, 0x7fff
                                        ; implicit-def: $vgpr2
; %bb.1185:                             ;   in Loop: Header=BB10_1091 Depth=2
	s_and_not1_saveexec_b32 s22, s22
; %bb.1186:                             ;   in Loop: Header=BB10_1091 Depth=2
	v_and_b32_e32 v3, 0xffff, v2
	v_or_b32_e32 v101, 0x10000, v2
	s_delay_alu instid0(VALU_DEP_2) | instskip(NEXT) | instid1(VALU_DEP_2)
	v_cmp_eq_u32_e32 vcc_lo, 0, v3
	v_cndmask_b32_e32 v101, v101, v2, vcc_lo
; %bb.1187:                             ;   in Loop: Header=BB10_1091 Depth=2
	s_or_b32 exec_lo, exec_lo, s22
	v_and_b32_e32 v2, 0xffff0000, v102
	s_wait_loadcnt_dscnt 0x707
	v_lshlrev_b32_e32 v3, 16, v58
	s_mov_b32 s22, exec_lo
                                        ; implicit-def: $vgpr102
	s_delay_alu instid0(VALU_DEP_1) | instskip(NEXT) | instid1(VALU_DEP_1)
	v_add_f32_e32 v2, v2, v3
	v_and_b32_e32 v3, 0x7f800000, v2
	s_delay_alu instid0(VALU_DEP_1)
	v_cmpx_ne_u32_e32 0x7f800000, v3
	s_xor_b32 s22, exec_lo, s22
; %bb.1188:                             ;   in Loop: Header=BB10_1091 Depth=2
	v_bfe_u32 v3, v2, 16, 1
	s_delay_alu instid0(VALU_DEP_1)
	v_add3_u32 v102, v2, v3, 0x7fff
                                        ; implicit-def: $vgpr2
; %bb.1189:                             ;   in Loop: Header=BB10_1091 Depth=2
	s_and_not1_saveexec_b32 s22, s22
; %bb.1190:                             ;   in Loop: Header=BB10_1091 Depth=2
	v_and_b32_e32 v3, 0xffff, v2
	v_or_b32_e32 v102, 0x10000, v2
	s_delay_alu instid0(VALU_DEP_2) | instskip(NEXT) | instid1(VALU_DEP_2)
	v_cmp_eq_u32_e32 vcc_lo, 0, v3
	v_cndmask_b32_e32 v102, v102, v2, vcc_lo
; %bb.1191:                             ;   in Loop: Header=BB10_1091 Depth=2
	s_or_b32 exec_lo, exec_lo, s22
	v_and_b32_e32 v2, 0xffff0000, v103
	s_wait_loadcnt_dscnt 0x606
	v_lshlrev_b32_e32 v3, 16, v57
	s_mov_b32 s22, exec_lo
                                        ; implicit-def: $vgpr103
	s_delay_alu instid0(VALU_DEP_1) | instskip(NEXT) | instid1(VALU_DEP_1)
	v_add_f32_e32 v2, v2, v3
	v_and_b32_e32 v3, 0x7f800000, v2
	s_delay_alu instid0(VALU_DEP_1)
	v_cmpx_ne_u32_e32 0x7f800000, v3
	s_xor_b32 s22, exec_lo, s22
; %bb.1192:                             ;   in Loop: Header=BB10_1091 Depth=2
	v_bfe_u32 v3, v2, 16, 1
	s_delay_alu instid0(VALU_DEP_1)
	v_add3_u32 v103, v2, v3, 0x7fff
                                        ; implicit-def: $vgpr2
; %bb.1193:                             ;   in Loop: Header=BB10_1091 Depth=2
	s_and_not1_saveexec_b32 s22, s22
; %bb.1194:                             ;   in Loop: Header=BB10_1091 Depth=2
	v_and_b32_e32 v3, 0xffff, v2
	v_or_b32_e32 v103, 0x10000, v2
	s_delay_alu instid0(VALU_DEP_2) | instskip(NEXT) | instid1(VALU_DEP_2)
	v_cmp_eq_u32_e32 vcc_lo, 0, v3
	v_cndmask_b32_e32 v103, v103, v2, vcc_lo
; %bb.1195:                             ;   in Loop: Header=BB10_1091 Depth=2
	s_or_b32 exec_lo, exec_lo, s22
	v_and_b32_e32 v2, 0xffff0000, v117
	s_wait_loadcnt_dscnt 0x505
	v_lshlrev_b32_e32 v3, 16, v56
	s_delay_alu instid0(VALU_DEP_1) | instskip(NEXT) | instid1(VALU_DEP_1)
	v_add_f32_e32 v3, v2, v3
	v_and_b32_e32 v2, 0x7f800000, v3
	s_delay_alu instid0(VALU_DEP_1) | instskip(SKIP_1) | instid1(SALU_CYCLE_1)
	v_cmp_ne_u32_e32 vcc_lo, 0x7f800000, v2
                                        ; implicit-def: $vgpr2
	s_and_saveexec_b32 s22, vcc_lo
	s_xor_b32 s22, exec_lo, s22
; %bb.1196:                             ;   in Loop: Header=BB10_1091 Depth=2
	v_bfe_u32 v2, v3, 16, 1
	s_delay_alu instid0(VALU_DEP_1)
	v_add3_u32 v2, v3, v2, 0x7fff
                                        ; implicit-def: $vgpr3
; %bb.1197:                             ;   in Loop: Header=BB10_1091 Depth=2
	s_and_not1_saveexec_b32 s22, s22
; %bb.1198:                             ;   in Loop: Header=BB10_1091 Depth=2
	v_and_b32_e32 v2, 0xffff, v3
	v_or_b32_e32 v116, 0x10000, v3
	s_delay_alu instid0(VALU_DEP_2) | instskip(NEXT) | instid1(VALU_DEP_2)
	v_cmp_eq_u32_e32 vcc_lo, 0, v2
	v_cndmask_b32_e32 v2, v116, v3, vcc_lo
; %bb.1199:                             ;   in Loop: Header=BB10_1091 Depth=2
	s_or_b32 exec_lo, exec_lo, s22
	v_and_b32_e32 v3, 0xffff0000, v118
	s_wait_loadcnt_dscnt 0x404
	v_lshlrev_b32_e32 v116, 16, v47
	s_delay_alu instid0(VALU_DEP_1) | instskip(NEXT) | instid1(VALU_DEP_1)
	v_add_f32_e32 v116, v3, v116
	v_and_b32_e32 v3, 0x7f800000, v116
	s_delay_alu instid0(VALU_DEP_1) | instskip(SKIP_1) | instid1(SALU_CYCLE_1)
	v_cmp_ne_u32_e32 vcc_lo, 0x7f800000, v3
                                        ; implicit-def: $vgpr3
	s_and_saveexec_b32 s22, vcc_lo
	s_xor_b32 s22, exec_lo, s22
; %bb.1200:                             ;   in Loop: Header=BB10_1091 Depth=2
	v_bfe_u32 v3, v116, 16, 1
	s_delay_alu instid0(VALU_DEP_1)
	v_add3_u32 v3, v116, v3, 0x7fff
                                        ; implicit-def: $vgpr116
; %bb.1201:                             ;   in Loop: Header=BB10_1091 Depth=2
	s_and_not1_saveexec_b32 s22, s22
; %bb.1202:                             ;   in Loop: Header=BB10_1091 Depth=2
	v_and_b32_e32 v3, 0xffff, v116
	v_or_b32_e32 v117, 0x10000, v116
	s_delay_alu instid0(VALU_DEP_2) | instskip(NEXT) | instid1(VALU_DEP_2)
	v_cmp_eq_u32_e32 vcc_lo, 0, v3
	v_cndmask_b32_e32 v3, v117, v116, vcc_lo
; %bb.1203:                             ;   in Loop: Header=BB10_1091 Depth=2
	s_or_b32 exec_lo, exec_lo, s22
	v_and_b32_e32 v116, 0xffff0000, v119
	s_wait_loadcnt_dscnt 0x303
	v_lshlrev_b32_e32 v117, 16, v46
	s_delay_alu instid0(VALU_DEP_1) | instskip(NEXT) | instid1(VALU_DEP_1)
	v_add_f32_e32 v117, v116, v117
	v_and_b32_e32 v116, 0x7f800000, v117
	s_delay_alu instid0(VALU_DEP_1) | instskip(SKIP_1) | instid1(SALU_CYCLE_1)
	v_cmp_ne_u32_e32 vcc_lo, 0x7f800000, v116
                                        ; implicit-def: $vgpr116
	s_and_saveexec_b32 s22, vcc_lo
	s_xor_b32 s22, exec_lo, s22
; %bb.1204:                             ;   in Loop: Header=BB10_1091 Depth=2
	v_bfe_u32 v116, v117, 16, 1
	s_delay_alu instid0(VALU_DEP_1)
	v_add3_u32 v116, v117, v116, 0x7fff
                                        ; implicit-def: $vgpr117
; %bb.1205:                             ;   in Loop: Header=BB10_1091 Depth=2
	s_and_not1_saveexec_b32 s22, s22
; %bb.1206:                             ;   in Loop: Header=BB10_1091 Depth=2
	v_and_b32_e32 v116, 0xffff, v117
	v_or_b32_e32 v118, 0x10000, v117
	s_delay_alu instid0(VALU_DEP_2) | instskip(NEXT) | instid1(VALU_DEP_2)
	v_cmp_eq_u32_e32 vcc_lo, 0, v116
	v_cndmask_b32_e32 v116, v118, v117, vcc_lo
; %bb.1207:                             ;   in Loop: Header=BB10_1091 Depth=2
	s_or_b32 exec_lo, exec_lo, s22
	v_and_b32_e32 v117, 0xffff0000, v40
	s_wait_loadcnt_dscnt 0x202
	v_lshlrev_b32_e32 v118, 16, v45
	s_delay_alu instid0(VALU_DEP_1) | instskip(NEXT) | instid1(VALU_DEP_1)
	v_add_f32_e32 v118, v117, v118
	v_and_b32_e32 v117, 0x7f800000, v118
	s_delay_alu instid0(VALU_DEP_1) | instskip(SKIP_1) | instid1(SALU_CYCLE_1)
	v_cmp_ne_u32_e32 vcc_lo, 0x7f800000, v117
                                        ; implicit-def: $vgpr117
	s_and_saveexec_b32 s22, vcc_lo
	s_xor_b32 s22, exec_lo, s22
; %bb.1208:                             ;   in Loop: Header=BB10_1091 Depth=2
	v_bfe_u32 v117, v118, 16, 1
	s_delay_alu instid0(VALU_DEP_1)
	v_add3_u32 v117, v118, v117, 0x7fff
                                        ; implicit-def: $vgpr118
; %bb.1209:                             ;   in Loop: Header=BB10_1091 Depth=2
	s_and_not1_saveexec_b32 s22, s22
; %bb.1210:                             ;   in Loop: Header=BB10_1091 Depth=2
	v_and_b32_e32 v117, 0xffff, v118
	v_or_b32_e32 v119, 0x10000, v118
	s_delay_alu instid0(VALU_DEP_2) | instskip(NEXT) | instid1(VALU_DEP_2)
	v_cmp_eq_u32_e32 vcc_lo, 0, v117
	v_cndmask_b32_e32 v117, v119, v118, vcc_lo
; %bb.1211:                             ;   in Loop: Header=BB10_1091 Depth=2
	s_or_b32 exec_lo, exec_lo, s22
	v_and_b32_e32 v118, 0xffff0000, v41
	s_wait_loadcnt_dscnt 0x101
	v_lshlrev_b32_e32 v119, 16, v44
	s_delay_alu instid0(VALU_DEP_1) | instskip(NEXT) | instid1(VALU_DEP_1)
	v_add_f32_e32 v119, v118, v119
	v_and_b32_e32 v118, 0x7f800000, v119
	s_delay_alu instid0(VALU_DEP_1) | instskip(SKIP_1) | instid1(SALU_CYCLE_1)
	v_cmp_ne_u32_e32 vcc_lo, 0x7f800000, v118
                                        ; implicit-def: $vgpr118
	s_and_saveexec_b32 s22, vcc_lo
	s_xor_b32 s22, exec_lo, s22
; %bb.1212:                             ;   in Loop: Header=BB10_1091 Depth=2
	v_bfe_u32 v118, v119, 16, 1
	s_delay_alu instid0(VALU_DEP_1)
	v_add3_u32 v118, v119, v118, 0x7fff
                                        ; implicit-def: $vgpr119
; %bb.1213:                             ;   in Loop: Header=BB10_1091 Depth=2
	s_and_not1_saveexec_b32 s22, s22
; %bb.1214:                             ;   in Loop: Header=BB10_1091 Depth=2
	v_and_b32_e32 v118, 0xffff, v119
	v_or_b32_e32 v40, 0x10000, v119
	s_delay_alu instid0(VALU_DEP_2) | instskip(NEXT) | instid1(VALU_DEP_2)
	v_cmp_eq_u32_e32 vcc_lo, 0, v118
	v_cndmask_b32_e32 v118, v40, v119, vcc_lo
; %bb.1215:                             ;   in Loop: Header=BB10_1091 Depth=2
	s_or_b32 exec_lo, exec_lo, s22
	v_and_b32_e32 v119, 0xffff0000, v42
	s_wait_loadcnt_dscnt 0x0
	v_lshlrev_b32_e32 v40, 16, v43
	s_delay_alu instid0(VALU_DEP_1) | instskip(NEXT) | instid1(VALU_DEP_1)
	v_add_f32_e32 v40, v119, v40
	v_and_b32_e32 v119, 0x7f800000, v40
	s_delay_alu instid0(VALU_DEP_1) | instskip(SKIP_1) | instid1(SALU_CYCLE_1)
	v_cmp_ne_u32_e32 vcc_lo, 0x7f800000, v119
                                        ; implicit-def: $vgpr119
	s_and_saveexec_b32 s22, vcc_lo
	s_xor_b32 s22, exec_lo, s22
; %bb.1216:                             ;   in Loop: Header=BB10_1091 Depth=2
	v_bfe_u32 v119, v40, 16, 1
	s_delay_alu instid0(VALU_DEP_1)
	v_add3_u32 v119, v40, v119, 0x7fff
                                        ; implicit-def: $vgpr40
; %bb.1217:                             ;   in Loop: Header=BB10_1091 Depth=2
	s_and_not1_saveexec_b32 s22, s22
	s_cbranch_execz .LBB10_1090
; %bb.1218:                             ;   in Loop: Header=BB10_1091 Depth=2
	v_and_b32_e32 v119, 0xffff, v40
	v_or_b32_e32 v41, 0x10000, v40
	s_delay_alu instid0(VALU_DEP_2) | instskip(NEXT) | instid1(VALU_DEP_2)
	v_cmp_eq_u32_e32 vcc_lo, 0, v119
	v_cndmask_b32_e32 v119, v41, v40, vcc_lo
	s_branch .LBB10_1090
.LBB10_1219:                            ;   in Loop: Header=BB10_685 Depth=1
	s_or_b32 exec_lo, exec_lo, s21
.LBB10_1220:                            ;   in Loop: Header=BB10_685 Depth=1
	s_delay_alu instid0(SALU_CYCLE_1) | instskip(SKIP_1) | instid1(VALU_DEP_1)
	s_or_b32 exec_lo, exec_lo, s20
	v_lshlrev_b32_e32 v2, 10, v20
	v_cmp_ne_u32_e32 vcc_lo, v115, v2
	s_and_b32 exec_lo, exec_lo, vcc_lo
	s_cbranch_execz .LBB10_1232
; %bb.1221:                             ;   in Loop: Header=BB10_685 Depth=1
	v_dual_lshlrev_b32 v3, 5, v18 :: v_dual_lshlrev_b32 v10, 5, v19
	s_delay_alu instid0(VALU_DEP_1) | instskip(NEXT) | instid1(VALU_DEP_1)
	v_sub_nc_u32_e32 v3, v17, v3
	v_sub_nc_u32_e32 v3, v3, v10
	s_delay_alu instid0(VALU_DEP_1) | instskip(NEXT) | instid1(VALU_DEP_1)
	v_ashrrev_i32_e32 v10, 31, v3
	v_lshrrev_b32_e32 v10, 27, v10
	s_delay_alu instid0(VALU_DEP_1) | instskip(NEXT) | instid1(VALU_DEP_1)
	v_add_nc_u32_e32 v10, v3, v10
	v_and_b32_e32 v11, 0x7fffffe0, v10
	s_delay_alu instid0(VALU_DEP_1) | instskip(NEXT) | instid1(VALU_DEP_1)
	v_dual_lshlrev_b32 v10, 1, v10 :: v_dual_sub_nc_u32 v3, v3, v11
	v_and_b32_e32 v10, 0xffffffc0, v10
	s_delay_alu instid0(VALU_DEP_2) | instskip(NEXT) | instid1(VALU_DEP_1)
	v_lshlrev_b32_e32 v3, 1, v3
	v_add3_u32 v3, v10, v3, v2
	s_delay_alu instid0(VALU_DEP_1) | instskip(NEXT) | instid1(VALU_DEP_1)
	v_sub_nc_u32_e32 v2, v115, v3
	v_cmp_lt_i32_e32 vcc_lo, 1, v2
	s_and_b32 exec_lo, exec_lo, vcc_lo
	s_cbranch_execz .LBB10_1232
; %bb.1222:                             ;   in Loop: Header=BB10_685 Depth=1
	s_trap 2
	ds_load_b64 v[12:13], v0
	ds_load_b32 v17, v0
	v_add_nc_u32_e32 v14, v3, v16
	s_mov_b32 s20, 0
	s_wait_dscnt 0x0
	s_delay_alu instid0(VALU_DEP_1) | instskip(NEXT) | instid1(VALU_DEP_1)
	v_dual_lshlrev_b32 v3, 16, v17 :: v_dual_ashrrev_i32 v15, 31, v14
	v_add_nc_u64_e32 v[10:11], v[14:15], v[86:87]
	v_add_nc_u64_e32 v[12:13], v[12:13], v[14:15]
	v_add_nc_u64_e32 v[14:15], v[14:15], v[96:97]
	s_branch .LBB10_1224
.LBB10_1223:                            ;   in Loop: Header=BB10_1224 Depth=2
	s_or_b32 exec_lo, exec_lo, s21
	v_sub_nc_u32_e32 v2, v2, v80
	flat_store_d16_hi_b16 v[14:15], v16 th:TH_STORE_NT
	v_add_nc_u64_e32 v[10:11], v[10:11], v[80:81]
	v_add_nc_u64_e32 v[12:13], v[12:13], v[80:81]
	s_wait_xcnt 0x0
	v_add_nc_u64_e32 v[14:15], v[14:15], v[80:81]
	v_cmp_gt_i32_e32 vcc_lo, 2, v2
	s_or_b32 s20, vcc_lo, s20
	s_delay_alu instid0(SALU_CYCLE_1)
	s_and_not1_b32 exec_lo, exec_lo, s20
	s_cbranch_execz .LBB10_1232
.LBB10_1224:                            ;   Parent Loop BB10_685 Depth=1
                                        ; =>  This Inner Loop Header: Depth=2
	flat_load_u16 v16, v[10:11] th:TH_LOAD_NT
	s_wait_loadcnt_dscnt 0x0
	v_lshlrev_b32_e32 v16, 16, v16
	s_delay_alu instid0(VALU_DEP_1) | instskip(NEXT) | instid1(VALU_DEP_1)
	v_mul_f32_e32 v16, v3, v16
	v_and_b32_e32 v17, 0x7f800000, v16
	s_delay_alu instid0(VALU_DEP_1) | instskip(SKIP_2) | instid1(SALU_CYCLE_1)
	v_cmp_ne_u32_e32 vcc_lo, 0x7f800000, v17
                                        ; implicit-def: $vgpr17
	s_wait_xcnt 0x0
	s_and_saveexec_b32 s21, vcc_lo
	s_xor_b32 s21, exec_lo, s21
; %bb.1225:                             ;   in Loop: Header=BB10_1224 Depth=2
	v_bfe_u32 v17, v16, 16, 1
	s_delay_alu instid0(VALU_DEP_1)
	v_add3_u32 v17, v16, v17, 0x7fff
                                        ; implicit-def: $vgpr16
; %bb.1226:                             ;   in Loop: Header=BB10_1224 Depth=2
	s_and_not1_saveexec_b32 s21, s21
; %bb.1227:                             ;   in Loop: Header=BB10_1224 Depth=2
	v_and_b32_e32 v17, 0xffff, v16
	v_or_b32_e32 v18, 0x10000, v16
	s_delay_alu instid0(VALU_DEP_2) | instskip(NEXT) | instid1(VALU_DEP_2)
	v_cmp_eq_u32_e32 vcc_lo, 0, v17
	v_cndmask_b32_e32 v17, v18, v16, vcc_lo
; %bb.1228:                             ;   in Loop: Header=BB10_1224 Depth=2
	s_or_b32 exec_lo, exec_lo, s21
	flat_load_u16 v16, v[12:13] th:TH_LOAD_NT
	v_and_b32_e32 v17, 0xffff0000, v17
	s_wait_loadcnt_dscnt 0x0
	v_lshlrev_b32_e32 v16, 16, v16
	s_delay_alu instid0(VALU_DEP_1) | instskip(NEXT) | instid1(VALU_DEP_1)
	v_add_f32_e32 v17, v17, v16
	v_and_b32_e32 v16, 0x7f800000, v17
	s_delay_alu instid0(VALU_DEP_1) | instskip(SKIP_2) | instid1(SALU_CYCLE_1)
	v_cmp_ne_u32_e32 vcc_lo, 0x7f800000, v16
                                        ; implicit-def: $vgpr16
	s_wait_xcnt 0x0
	s_and_saveexec_b32 s21, vcc_lo
	s_xor_b32 s21, exec_lo, s21
; %bb.1229:                             ;   in Loop: Header=BB10_1224 Depth=2
	v_bfe_u32 v16, v17, 16, 1
	s_delay_alu instid0(VALU_DEP_1)
	v_add3_u32 v16, v17, v16, 0x7fff
                                        ; implicit-def: $vgpr17
; %bb.1230:                             ;   in Loop: Header=BB10_1224 Depth=2
	s_and_not1_saveexec_b32 s21, s21
	s_cbranch_execz .LBB10_1223
; %bb.1231:                             ;   in Loop: Header=BB10_1224 Depth=2
	v_and_b32_e32 v16, 0xffff, v17
	v_or_b32_e32 v18, 0x10000, v17
	s_delay_alu instid0(VALU_DEP_2) | instskip(NEXT) | instid1(VALU_DEP_2)
	v_cmp_eq_u32_e32 vcc_lo, 0, v16
	v_cndmask_b32_e32 v16, v18, v17, vcc_lo
	s_branch .LBB10_1223
.LBB10_1232:                            ;   in Loop: Header=BB10_685 Depth=1
	s_or_b32 exec_lo, exec_lo, s7
	v_cmp_ne_u32_e64 s7, 0, v52
	s_and_saveexec_b32 s20, s2
	s_cbranch_execz .LBB10_1251
.LBB10_1233:                            ;   in Loop: Header=BB10_685 Depth=1
	s_and_saveexec_b32 s21, s3
	s_delay_alu instid0(SALU_CYCLE_1)
	s_xor_b32 s21, exec_lo, s21
	s_cbranch_execz .LBB10_1248
; %bb.1234:                             ;   in Loop: Header=BB10_685 Depth=1
	s_and_saveexec_b32 s22, s4
	s_cbranch_execz .LBB10_1247
; %bb.1235:                             ;   in Loop: Header=BB10_685 Depth=1
	s_mov_b32 s24, exec_lo
	s_mov_b32 s23, exec_lo
	v_mbcnt_lo_u32_b32 v2, s24, 0
	global_wb scope:SCOPE_DEV
	s_wait_storecnt 0x0
	s_wait_loadcnt_dscnt 0x0
	global_inv scope:SCOPE_DEV
	v_cmpx_eq_u32_e32 0, v2
	s_cbranch_execz .LBB10_1237
; %bb.1236:                             ;   in Loop: Header=BB10_685 Depth=1
	s_bcnt1_i32_b32 s24, s24
	s_delay_alu instid0(SALU_CYCLE_1)
	v_mov_b32_e32 v52, s24
	s_wait_loadcnt 0x0
	ds_add_u64 v0, v[52:53]
	s_trap 2
.LBB10_1237:                            ;   in Loop: Header=BB10_685 Depth=1
	s_or_b32 exec_lo, exec_lo, s23
	s_trap 2
	ds_load_b64 v[2:3], v0
	s_wait_dscnt 0x0
	v_add_nc_u64_e32 v[38:39], v[38:39], v[54:55]
	s_mov_b32 s23, exec_lo
	s_delay_alu instid0(VALU_DEP_1)
	v_cmpx_lt_u64_e64 v[2:3], v[38:39]
	s_cbranch_execz .LBB10_1246
; %bb.1238:                             ;   in Loop: Header=BB10_685 Depth=1
	s_mov_b32 s24, 0
	s_mov_b32 s27, 0
                                        ; implicit-def: $sgpr25
                                        ; implicit-def: $sgpr26
	s_branch .LBB10_1240
.LBB10_1239:                            ;   in Loop: Header=BB10_1240 Depth=2
	s_or_b32 exec_lo, exec_lo, s29
	s_delay_alu instid0(SALU_CYCLE_1) | instskip(NEXT) | instid1(SALU_CYCLE_1)
	s_and_b32 s28, exec_lo, s40
	s_or_b32 s24, s28, s24
	s_and_not1_b32 s25, s25, exec_lo
	s_and_b32 s28, s26, exec_lo
	s_delay_alu instid0(SALU_CYCLE_1)
	s_or_b32 s25, s25, s28
	s_and_not1_b32 exec_lo, exec_lo, s24
	s_cbranch_execz .LBB10_1244
.LBB10_1240:                            ;   Parent Loop BB10_685 Depth=1
                                        ; =>  This Inner Loop Header: Depth=2
	s_add_co_i32 s27, s27, 1
	s_delay_alu instid0(SALU_CYCLE_1) | instskip(SKIP_1) | instid1(SALU_CYCLE_1)
	s_cmp_lg_u32 s27, 0x2710
	s_cselect_b32 s28, -1, 0
	s_and_b32 vcc_lo, exec_lo, s28
	s_cbranch_vccz .LBB10_1242
; %bb.1241:                             ;   in Loop: Header=BB10_1240 Depth=2
	s_mov_b32 s40, -1
	s_or_b32 s26, s26, exec_lo
	s_and_saveexec_b32 s29, s28
	s_cbranch_execz .LBB10_1239
	s_branch .LBB10_1243
.LBB10_1242:                            ;   in Loop: Header=BB10_1240 Depth=2
	s_trap 2
	ds_load_b64 v[2:3], v0
	s_and_not1_b32 s28, s28, exec_lo
	s_mov_b32 s27, 0
	s_wait_loadcnt_dscnt 0x0
	flat_load_b32 v2, v[2:3] scope:SCOPE_SYS
	s_wait_loadcnt_dscnt 0x0
	global_inv scope:SCOPE_SYS
	v_cmp_eq_u32_e32 vcc_lo, 0, v2
	s_and_b32 s29, vcc_lo, exec_lo
	s_delay_alu instid0(SALU_CYCLE_1)
	s_or_b32 s28, s28, s29
	s_mov_b32 s40, -1
	s_or_b32 s26, s26, exec_lo
	s_and_saveexec_b32 s29, s28
	s_cbranch_execz .LBB10_1239
.LBB10_1243:                            ;   in Loop: Header=BB10_1240 Depth=2
	s_sleep 1
	s_trap 2
	ds_load_b64 v[2:3], v0
	s_wait_dscnt 0x0
	s_and_not1_b32 s26, s26, exec_lo
	v_cmp_ge_u64_e32 vcc_lo, v[2:3], v[38:39]
	s_or_not1_b32 s40, vcc_lo, exec_lo
	s_branch .LBB10_1239
.LBB10_1244:                            ;   in Loop: Header=BB10_685 Depth=1
	s_or_b32 exec_lo, exec_lo, s24
	s_and_saveexec_b32 s24, s25
	s_delay_alu instid0(SALU_CYCLE_1)
	s_xor_b32 s24, exec_lo, s24
	s_cbranch_execz .LBB10_1246
; %bb.1245:                             ;   in Loop: Header=BB10_685 Depth=1
	ds_store_b32 v0, v114
	s_trap 2
.LBB10_1246:                            ;   in Loop: Header=BB10_685 Depth=1
	s_or_b32 exec_lo, exec_lo, s23
	;;#ASMSTART
	s_wakeup
	;;#ASMEND
.LBB10_1247:                            ;   in Loop: Header=BB10_685 Depth=1
	s_or_b32 exec_lo, exec_lo, s22
.LBB10_1248:                            ;   in Loop: Header=BB10_685 Depth=1
	s_and_not1_saveexec_b32 s21, s21
	s_cbranch_execz .LBB10_1250
; %bb.1249:                             ;   in Loop: Header=BB10_685 Depth=1
	global_wb scope:SCOPE_DEV
	s_wait_storecnt 0x0
	s_wait_loadcnt_dscnt 0x0
	global_inv scope:SCOPE_DEV
	s_barrier_signal -1
	s_barrier_wait -1
.LBB10_1250:                            ;   in Loop: Header=BB10_685 Depth=1
	s_or_b32 exec_lo, exec_lo, s21
.LBB10_1251:                            ;   in Loop: Header=BB10_685 Depth=1
	s_delay_alu instid0(SALU_CYCLE_1) | instskip(SKIP_1) | instid1(VALU_DEP_1)
	s_or_b32 exec_lo, exec_lo, s20
	v_and_b32_e32 v2, 16, v30
	v_cmp_ne_u32_e32 vcc_lo, 0, v2
	s_and_b32 s20, vcc_lo, s7
	s_delay_alu instid0(SALU_CYCLE_1)
	s_and_saveexec_b32 s7, s20
	s_cbranch_execz .LBB10_1253
; %bb.1252:                             ;   in Loop: Header=BB10_685 Depth=1
	global_wb scope:SCOPE_SYS
	s_wait_storecnt 0x0
	s_wait_loadcnt_dscnt 0x0
	global_inv scope:SCOPE_SYS
.LBB10_1253:                            ;   in Loop: Header=BB10_685 Depth=1
	s_or_b32 exec_lo, exec_lo, s7
	v_and_b32_e32 v2, 32, v30
	s_mov_b32 s7, exec_lo
	s_delay_alu instid0(VALU_DEP_1)
	v_cmpx_ne_u32_e32 0, v2
	s_cbranch_execz .LBB10_1255
; %bb.1254:                             ;   in Loop: Header=BB10_685 Depth=1
	v_add_nc_u64_e32 v[8:9], 1, v[8:9]
	global_wb scope:SCOPE_SYS
	s_wait_storecnt 0x0
	s_wait_loadcnt_dscnt 0x0
	flat_store_b64 v[32:33], v[8:9] scope:SCOPE_SYS
.LBB10_1255:                            ;   in Loop: Header=BB10_685 Depth=1
	s_wait_xcnt 0x0
	s_or_b32 exec_lo, exec_lo, s7
	v_mov_b32_e32 v14, v85
.LBB10_1256:                            ;   in Loop: Header=BB10_685 Depth=1
	s_or_b32 exec_lo, exec_lo, s19
	s_and_saveexec_b32 s19, s18
	s_cbranch_execz .LBB10_684
; %bb.1257:                             ;   in Loop: Header=BB10_685 Depth=1
	v_and_b32_e32 v2, 4, v30
	s_mov_b32 s18, exec_lo
	s_delay_alu instid0(VALU_DEP_1)
	v_cmpx_ne_u32_e32 0, v2
	s_cbranch_execz .LBB10_1279
; %bb.1258:                             ;   in Loop: Header=BB10_685 Depth=1
	v_add_nc_u64_e32 v[10:11], 1, v[8:9]
	s_mov_b32 s20, exec_lo
	s_wait_loadcnt 0x0
	s_delay_alu instid0(VALU_DEP_1)
	v_cmpx_lt_u64_e64 v[48:49], v[10:11]
	s_cbranch_execz .LBB10_1270
; %bb.1259:                             ;   in Loop: Header=BB10_685 Depth=1
	v_and_b32_e32 v2, 64, v30
	s_mov_b32 s21, 0
	s_mov_b32 s25, 0
                                        ; implicit-def: $sgpr22
                                        ; implicit-def: $sgpr23
                                        ; implicit-def: $sgpr24
	s_delay_alu instid0(VALU_DEP_1)
	v_cmp_eq_u32_e32 vcc_lo, 0, v2
	s_branch .LBB10_1263
.LBB10_1260:                            ;   in Loop: Header=BB10_1263 Depth=2
	s_wait_loadcnt_dscnt 0x0
	v_cmp_ge_u64_e64 s7, v[48:49], v[10:11]
	s_or_b32 s28, s28, exec_lo
	s_or_not1_b32 s27, s7, exec_lo
.LBB10_1261:                            ;   in Loop: Header=BB10_1263 Depth=2
	s_or_b32 exec_lo, exec_lo, s40
	s_delay_alu instid0(SALU_CYCLE_1)
	s_and_not1_b32 s7, s24, exec_lo
	s_and_b32 s24, s28, exec_lo
	s_and_not1_b32 s23, s23, exec_lo
	s_and_b32 s27, s27, exec_lo
	s_or_b32 s24, s7, s24
	s_or_b32 s23, s23, s27
.LBB10_1262:                            ;   in Loop: Header=BB10_1263 Depth=2
	s_or_b32 exec_lo, exec_lo, s26
	s_delay_alu instid0(SALU_CYCLE_1) | instskip(NEXT) | instid1(SALU_CYCLE_1)
	s_and_b32 s7, exec_lo, s23
	s_or_b32 s21, s7, s21
	s_and_not1_b32 s7, s22, exec_lo
	s_and_b32 s22, s24, exec_lo
	s_delay_alu instid0(SALU_CYCLE_1)
	s_or_b32 s22, s7, s22
	s_and_not1_b32 exec_lo, exec_lo, s21
	s_cbranch_execz .LBB10_1267
.LBB10_1263:                            ;   Parent Loop BB10_685 Depth=1
                                        ; =>  This Inner Loop Header: Depth=2
	s_sleep 1
	s_wait_loadcnt_dscnt 0x0
	flat_load_b64 v[48:49], v[32:33] scope:SCOPE_SYS
	s_or_b32 s24, s24, exec_lo
	s_or_b32 s23, s23, exec_lo
                                        ; implicit-def: $vgpr2
	s_wait_xcnt 0x0
	s_and_saveexec_b32 s26, vcc_lo
	s_cbranch_execz .LBB10_1262
; %bb.1264:                             ;   in Loop: Header=BB10_1263 Depth=2
	s_cmp_lt_i32 s25, 0x270f
	s_mov_b32 s27, -1
	s_cselect_b32 s29, -1, 0
	s_cmp_gt_i32 s25, 0x270e
	s_cbranch_scc0 .LBB10_1266
; %bb.1265:                             ;   in Loop: Header=BB10_1263 Depth=2
	s_trap 2
	ds_load_b64 v[2:3], v0
	s_and_not1_b32 s25, s29, exec_lo
	s_mov_b32 s28, 0
	s_wait_storecnt 0x0
	s_wait_loadcnt_dscnt 0x0
	flat_load_b32 v2, v[2:3] scope:SCOPE_SYS
	s_wait_loadcnt_dscnt 0x0
	global_inv scope:SCOPE_SYS
	v_cmp_eq_u32_e64 s7, 0, v2
	s_and_b32 s7, s7, exec_lo
	s_delay_alu instid0(SALU_CYCLE_1)
	s_or_b32 s29, s25, s7
	s_mov_b32 s25, 0
	s_and_saveexec_b32 s40, s29
	s_cbranch_execz .LBB10_1261
	s_branch .LBB10_1260
.LBB10_1266:                            ;   in Loop: Header=BB10_1263 Depth=2
	s_add_co_i32 s25, s25, 1
	s_mov_b32 s28, -1
                                        ; implicit-def: $vgpr2
	s_and_saveexec_b32 s40, s29
	s_cbranch_execz .LBB10_1261
	s_branch .LBB10_1260
.LBB10_1267:                            ;   in Loop: Header=BB10_685 Depth=1
	s_or_b32 exec_lo, exec_lo, s21
	s_xor_b32 s7, s22, -1
	s_delay_alu instid0(SALU_CYCLE_1) | instskip(NEXT) | instid1(SALU_CYCLE_1)
	s_and_saveexec_b32 s21, s7
	s_xor_b32 s7, exec_lo, s21
	s_cbranch_execz .LBB10_1269
; %bb.1268:                             ;   in Loop: Header=BB10_685 Depth=1
	v_or_b32_e32 v30, 64, v30
	s_wait_storecnt 0x0
	s_wait_loadcnt_dscnt 0x0
	ds_store_b32 v0, v2
	s_trap 2
.LBB10_1269:                            ;   in Loop: Header=BB10_685 Depth=1
	s_or_b32 exec_lo, exec_lo, s7
.LBB10_1270:                            ;   in Loop: Header=BB10_685 Depth=1
	s_delay_alu instid0(SALU_CYCLE_1)
	s_or_b32 exec_lo, exec_lo, s20
	v_and_b32_e32 v2, 0x100, v30
	v_and_b32_e32 v52, 7, v8
	s_mov_b32 s7, -1
	s_mov_b32 s20, exec_lo
	;;#ASMSTART
	s_wakeup
	;;#ASMEND
                                        ; implicit-def: $vgpr8_vgpr9
	v_cmpx_ne_u32_e32 0, v2
	s_cbranch_execz .LBB10_1274
; %bb.1271:                             ;   in Loop: Header=BB10_685 Depth=1
	v_mad_nc_u64_u32 v[12:13], v52, 24, v[6:7]
	s_mov_b32 s21, exec_lo
                                        ; implicit-def: $vgpr8_vgpr9
	flat_load_b32 v2, v[12:13]
	s_wait_loadcnt_dscnt 0x0
	v_cmp_ne_u32_e32 vcc_lo, 1, v2
	s_wait_xcnt 0x0
	v_cmpx_eq_u32_e32 1, v2
	s_cbranch_execz .LBB10_1273
; %bb.1272:                             ;   in Loop: Header=BB10_685 Depth=1
	flat_load_b32 v2, v[12:13] offset:4 scope:SCOPE_SYS
	s_wait_loadcnt_dscnt 0x0
	v_ashrrev_i32_e32 v3, 31, v2
	s_delay_alu instid0(VALU_DEP_1)
	v_lshrrev_b64 v[8:9], 1, v[2:3]
.LBB10_1273:                            ;   in Loop: Header=BB10_685 Depth=1
	s_wait_xcnt 0x0
	s_or_b32 exec_lo, exec_lo, s21
	s_delay_alu instid0(SALU_CYCLE_1)
	s_or_not1_b32 s7, vcc_lo, exec_lo
.LBB10_1274:                            ;   in Loop: Header=BB10_685 Depth=1
	s_or_b32 exec_lo, exec_lo, s20
	s_and_saveexec_b32 s20, s7
; %bb.1275:                             ;   in Loop: Header=BB10_685 Depth=1
	v_mul_u64_e32 v[8:9], v[52:53], v[34:35]
; %bb.1276:                             ;   in Loop: Header=BB10_685 Depth=1
	s_or_b32 exec_lo, exec_lo, s20
	v_and_b32_e32 v12, 0x2000, v30
	s_delay_alu instid0(VALU_DEP_2)
	v_lshl_add_u64 v[2:3], v[8:9], 1, v[36:37]
	s_mov_b32 s7, exec_lo
	ds_store_b64 v0, v[2:3] offset:728
	v_cmpx_ne_u32_e32 0, v12
	s_cbranch_execz .LBB10_1278
; %bb.1277:                             ;   in Loop: Header=BB10_685 Depth=1
	ds_load_b64 v[2:3], v0 offset:872
	s_wait_dscnt 0x0
	v_add_nc_u64_e32 v[2:3], 1, v[2:3]
	ds_store_b64 v0, v[2:3] offset:872
.LBB10_1278:                            ;   in Loop: Header=BB10_685 Depth=1
	s_or_b32 exec_lo, exec_lo, s7
	v_mov_b64_e32 v[8:9], v[10:11]
.LBB10_1279:                            ;   in Loop: Header=BB10_685 Depth=1
	s_or_b32 exec_lo, exec_lo, s18
	s_and_saveexec_b32 s7, s2
	s_cbranch_execz .LBB10_1298
; %bb.1280:                             ;   in Loop: Header=BB10_685 Depth=1
	s_and_saveexec_b32 s18, s3
	s_delay_alu instid0(SALU_CYCLE_1)
	s_xor_b32 s18, exec_lo, s18
	s_cbranch_execz .LBB10_1295
; %bb.1281:                             ;   in Loop: Header=BB10_685 Depth=1
	s_and_saveexec_b32 s20, s4
	s_cbranch_execz .LBB10_1294
; %bb.1282:                             ;   in Loop: Header=BB10_685 Depth=1
	s_mov_b32 s22, exec_lo
	s_mov_b32 s21, exec_lo
	v_mbcnt_lo_u32_b32 v2, s22, 0
	global_wb scope:SCOPE_DEV
	s_wait_storecnt 0x0
	s_wait_loadcnt_dscnt 0x0
	global_inv scope:SCOPE_DEV
	v_cmpx_eq_u32_e32 0, v2
	s_cbranch_execz .LBB10_1284
; %bb.1283:                             ;   in Loop: Header=BB10_685 Depth=1
	s_bcnt1_i32_b32 s22, s22
	s_delay_alu instid0(SALU_CYCLE_1)
	v_mov_b32_e32 v52, s22
	s_wait_loadcnt 0x0
	ds_add_u64 v0, v[52:53]
	s_trap 2
.LBB10_1284:                            ;   in Loop: Header=BB10_685 Depth=1
	s_or_b32 exec_lo, exec_lo, s21
	s_trap 2
	ds_load_b64 v[2:3], v0
	s_wait_dscnt 0x0
	v_add_nc_u64_e32 v[38:39], v[38:39], v[54:55]
	s_mov_b32 s21, exec_lo
	s_delay_alu instid0(VALU_DEP_1)
	v_cmpx_lt_u64_e64 v[2:3], v[38:39]
	s_cbranch_execz .LBB10_1293
; %bb.1285:                             ;   in Loop: Header=BB10_685 Depth=1
	s_mov_b32 s22, 0
	s_mov_b32 s25, 0
                                        ; implicit-def: $sgpr23
                                        ; implicit-def: $sgpr24
	s_branch .LBB10_1287
.LBB10_1286:                            ;   in Loop: Header=BB10_1287 Depth=2
	s_or_b32 exec_lo, exec_lo, s27
	s_delay_alu instid0(SALU_CYCLE_1) | instskip(NEXT) | instid1(SALU_CYCLE_1)
	s_and_b32 s26, exec_lo, s28
	s_or_b32 s22, s26, s22
	s_and_not1_b32 s23, s23, exec_lo
	s_and_b32 s26, s24, exec_lo
	s_delay_alu instid0(SALU_CYCLE_1)
	s_or_b32 s23, s23, s26
	s_and_not1_b32 exec_lo, exec_lo, s22
	s_cbranch_execz .LBB10_1291
.LBB10_1287:                            ;   Parent Loop BB10_685 Depth=1
                                        ; =>  This Inner Loop Header: Depth=2
	s_add_co_i32 s25, s25, 1
	s_delay_alu instid0(SALU_CYCLE_1) | instskip(SKIP_1) | instid1(SALU_CYCLE_1)
	s_cmp_lg_u32 s25, 0x2710
	s_cselect_b32 s26, -1, 0
	s_and_b32 vcc_lo, exec_lo, s26
	s_cbranch_vccz .LBB10_1289
; %bb.1288:                             ;   in Loop: Header=BB10_1287 Depth=2
	s_mov_b32 s28, -1
	s_or_b32 s24, s24, exec_lo
	s_and_saveexec_b32 s27, s26
	s_cbranch_execz .LBB10_1286
	s_branch .LBB10_1290
.LBB10_1289:                            ;   in Loop: Header=BB10_1287 Depth=2
	s_trap 2
	ds_load_b64 v[2:3], v0
	s_and_not1_b32 s26, s26, exec_lo
	s_mov_b32 s25, 0
	s_wait_loadcnt_dscnt 0x0
	flat_load_b32 v2, v[2:3] scope:SCOPE_SYS
	s_wait_loadcnt_dscnt 0x0
	global_inv scope:SCOPE_SYS
	v_cmp_eq_u32_e32 vcc_lo, 0, v2
	s_and_b32 s27, vcc_lo, exec_lo
	s_delay_alu instid0(SALU_CYCLE_1)
	s_or_b32 s26, s26, s27
	s_mov_b32 s28, -1
	s_or_b32 s24, s24, exec_lo
	s_and_saveexec_b32 s27, s26
	s_cbranch_execz .LBB10_1286
.LBB10_1290:                            ;   in Loop: Header=BB10_1287 Depth=2
	s_sleep 1
	s_trap 2
	ds_load_b64 v[2:3], v0
	s_wait_dscnt 0x0
	s_and_not1_b32 s24, s24, exec_lo
	v_cmp_ge_u64_e32 vcc_lo, v[2:3], v[38:39]
	s_or_not1_b32 s28, vcc_lo, exec_lo
	s_branch .LBB10_1286
.LBB10_1291:                            ;   in Loop: Header=BB10_685 Depth=1
	s_or_b32 exec_lo, exec_lo, s22
	s_and_saveexec_b32 s22, s23
	s_delay_alu instid0(SALU_CYCLE_1)
	s_xor_b32 s22, exec_lo, s22
	s_cbranch_execz .LBB10_1293
; %bb.1292:                             ;   in Loop: Header=BB10_685 Depth=1
	ds_store_b32 v0, v114
	s_trap 2
.LBB10_1293:                            ;   in Loop: Header=BB10_685 Depth=1
	s_or_b32 exec_lo, exec_lo, s21
	;;#ASMSTART
	s_wakeup
	;;#ASMEND
.LBB10_1294:                            ;   in Loop: Header=BB10_685 Depth=1
	s_or_b32 exec_lo, exec_lo, s20
.LBB10_1295:                            ;   in Loop: Header=BB10_685 Depth=1
	s_and_not1_saveexec_b32 s18, s18
	s_cbranch_execz .LBB10_1297
; %bb.1296:                             ;   in Loop: Header=BB10_685 Depth=1
	global_wb scope:SCOPE_DEV
	s_wait_storecnt 0x0
	s_wait_loadcnt_dscnt 0x0
	global_inv scope:SCOPE_DEV
	s_barrier_signal -1
	s_barrier_wait -1
.LBB10_1297:                            ;   in Loop: Header=BB10_685 Depth=1
	s_or_b32 exec_lo, exec_lo, s18
.LBB10_1298:                            ;   in Loop: Header=BB10_685 Depth=1
	s_delay_alu instid0(SALU_CYCLE_1) | instskip(SKIP_3) | instid1(VALU_DEP_1)
	s_or_b32 exec_lo, exec_lo, s7
	s_trap 2
	ds_load_b32 v2, v0
	v_sub_nc_u32_e32 v3, v84, v14
	v_min_i32_e32 v3, v85, v3
	s_delay_alu instid0(VALU_DEP_1) | instskip(SKIP_4) | instid1(VALU_DEP_1)
	v_cmp_lt_i32_e32 vcc_lo, 0, v3
	s_wait_dscnt 0x0
	v_readfirstlane_b32 s7, v2
	v_and_b32_e32 v2, 16, v30
	s_cmp_eq_u32 s7, 0
	v_cmp_ne_u32_e64 s7, 0, v2
	s_cselect_b32 s18, -1, 0
	s_delay_alu instid0(SALU_CYCLE_1) | instskip(NEXT) | instid1(SALU_CYCLE_1)
	s_and_b32 s18, vcc_lo, s18
	s_and_b32 s18, s7, s18
	s_delay_alu instid0(SALU_CYCLE_1)
	s_and_saveexec_b32 s7, s18
	s_cbranch_execz .LBB10_1300
; %bb.1299:                             ;   in Loop: Header=BB10_685 Depth=1
	global_wb scope:SCOPE_SYS
	s_wait_loadcnt 0x0
	s_wait_storecnt 0x0
	global_inv scope:SCOPE_SYS
.LBB10_1300:                            ;   in Loop: Header=BB10_685 Depth=1
	s_or_b32 exec_lo, exec_lo, s7
	v_and_b32_e32 v2, 32, v30
	s_mov_b32 s7, exec_lo
	s_delay_alu instid0(VALU_DEP_1)
	v_cmpx_ne_u32_e32 0, v2
	s_cbranch_execz .LBB10_683
; %bb.1301:                             ;   in Loop: Header=BB10_685 Depth=1
	v_add_nc_u64_e32 v[8:9], 1, v[8:9]
	global_wb scope:SCOPE_SYS
	s_wait_loadcnt 0x0
	s_wait_storecnt 0x0
	flat_store_b64 v[32:33], v[8:9] scope:SCOPE_SYS
	s_branch .LBB10_683
.LBB10_1302:
	s_or_b32 exec_lo, exec_lo, s15
	v_mov_b32_e32 v10, v104
.LBB10_1303:
	s_or_b32 exec_lo, exec_lo, s14
.LBB10_1304:
	s_delay_alu instid0(SALU_CYCLE_1)
	s_or_b32 exec_lo, exec_lo, s13
                                        ; implicit-def: $vgpr26_vgpr27
                                        ; implicit-def: $vgpr4_vgpr5
                                        ; implicit-def: $vgpr52_vgpr53
                                        ; implicit-def: $vgpr34
                                        ; implicit-def: $vgpr48_vgpr49
                                        ; implicit-def: $vgpr36_vgpr37
                                        ; implicit-def: $vgpr32_vgpr33
                                        ; implicit-def: $vgpr0
                                        ; implicit-def: $vgpr19
                                        ; implicit-def: $vgpr50_vgpr51
.LBB10_1305:
	s_and_not1_saveexec_b32 s12, s12
	s_cbranch_execz .LBB10_1835
; %bb.1306:
	v_mov_b64_e32 v[38:39], 0
	s_mov_b32 s13, exec_lo
	v_cmpx_ne_u64_e32 0, v[4:5]
	s_cbranch_execz .LBB10_1834
; %bb.1307:
	v_dual_ashrrev_i32 v35, 31, v34 :: v_dual_bitop2_b32 v2, 31, v31 bitop3:0x40
	v_dual_mov_b32 v15, 0 :: v_dual_bitop2_b32 v3, 31, v0 bitop3:0x40
	scratch_store_b32 off, v10, s33 offset:196 ; 4-byte Folded Spill
	v_cmp_ne_u32_e64 s3, v1, v10
	v_cmp_eq_u32_e64 s4, 0, v2
	v_dual_mov_b32 v17, v15 :: v_dual_lshrrev_b32 v16, 5, v1
	v_cmp_eq_u32_e64 s5, 0, v3
	v_cmp_lt_u32_e64 s6, v3, v19
	s_wait_xcnt 0x0
	v_dual_lshrrev_b32 v10, 5, v0 :: v_dual_lshlrev_b32 v2, 4, v3
	v_dual_lshlrev_b32 v3, 1, v1 :: v_dual_lshlrev_b32 v20, 9, v16
	s_lshr_b32 s2, s10, 27
	v_cmp_eq_u32_e32 vcc_lo, 32, v1
	v_cmp_ne_u64_e64 s7, 0, v[52:53]
	v_mov_b64_e32 v[64:65], 0
	v_mov_b64_e32 v[38:39], 0
	v_cmp_ge_u32_e64 s1, v0, v1
	s_add_co_i32 s10, s10, s2
	v_cmp_ne_u32_e64 s2, 32, v1
	v_dual_mov_b32 v19, v15 :: v_dual_lshlrev_b32 v18, 12, v16
	v_dual_mov_b32 v21, v15 :: v_dual_lshlrev_b32 v22, 10, v16
	v_dual_mov_b32 v23, v15 :: v_dual_mov_b32 v25, v15
	v_and_b32_e32 v24, 0x3fc0, v3
	v_lshl_or_b32 v54, v10, 12, v2
	v_dual_mov_b32 v55, v15 :: v_dual_mov_b32 v96, 1
	s_ashr_i32 s15, s10, 5
	s_mov_b32 s14, 0
	s_xor_b32 s16, vcc_lo, -1
	s_trap 2
	s_branch .LBB10_1311
.LBB10_1308:                            ;   in Loop: Header=BB10_1311 Depth=1
	s_wait_xcnt 0x0
	s_or_b32 exec_lo, exec_lo, s17
	v_add_nc_u64_e32 v[8:9], 1, v[8:9]
	global_wb scope:SCOPE_SYS
	s_wait_storecnt 0x0
	s_wait_loadcnt_dscnt 0x0
	flat_store_b64 v[32:33], v[8:9] scope:SCOPE_SYS
.LBB10_1309:                            ;   in Loop: Header=BB10_1311 Depth=1
	s_wait_xcnt 0x0
	s_or_b32 exec_lo, exec_lo, s10
.LBB10_1310:                            ;   in Loop: Header=BB10_1311 Depth=1
	s_delay_alu instid0(SALU_CYCLE_1) | instskip(SKIP_1) | instid1(VALU_DEP_1)
	s_or_b32 exec_lo, exec_lo, s18
	v_add_nc_u64_e32 v[64:65], v[64:65], v[50:51]
	v_cmp_ge_u64_e32 vcc_lo, v[64:65], v[4:5]
	s_or_b32 s14, vcc_lo, s14
	s_delay_alu instid0(SALU_CYCLE_1)
	s_and_not1_b32 exec_lo, exec_lo, s14
	s_cbranch_execz .LBB10_1833
.LBB10_1311:                            ; =>This Loop Header: Depth=1
                                        ;     Child Loop BB10_1320 Depth 2
                                        ;     Child Loop BB10_1344 Depth 2
                                        ;     Child Loop BB10_1363 Depth 2
                                        ;     Child Loop BB10_1386 Depth 2
                                        ;     Child Loop BB10_1647 Depth 2
                                        ;     Child Loop BB10_1685 Depth 2
                                        ;     Child Loop BB10_1754 Depth 2
                                        ;     Child Loop BB10_1766 Depth 2
                                        ;     Child Loop BB10_1791 Depth 2
                                        ;     Child Loop BB10_1815 Depth 2
	v_sub_nc_u64_e32 v[2:3], v[4:5], v[64:65]
	s_delay_alu instid0(VALU_DEP_1) | instskip(NEXT) | instid1(VALU_DEP_1)
	v_min_u64 v[66:67], v[50:51], v[2:3]
	v_add_nc_u32_e32 v2, 15, v66
	s_delay_alu instid0(VALU_DEP_2) | instskip(NEXT) | instid1(VALU_DEP_2)
	v_cmp_eq_u64_e32 vcc_lo, 0, v[66:67]
	v_and_b32_e32 v2, 0x3ffffff0, v2
	s_or_b32 s17, s1, vcc_lo
	s_delay_alu instid0(SALU_CYCLE_1) | instskip(NEXT) | instid1(VALU_DEP_1)
	s_xor_b32 s10, s17, -1
	v_dual_mov_b32 v2, 0 :: v_dual_max_i32 v67, s15, v2
	s_and_saveexec_b32 s18, s10
	s_cbranch_execz .LBB10_1784
; %bb.1312:                             ;   in Loop: Header=BB10_1311 Depth=1
	s_and_saveexec_b32 s10, s0
	s_cbranch_execz .LBB10_1314
; %bb.1313:                             ;   in Loop: Header=BB10_1311 Depth=1
	s_trap 2
	ds_load_b64 v[2:3], v0
	v_mov_b64_e32 v[10:11], 0
	s_wait_dscnt 0x0
	v_lshl_add_u64 v[2:3], v[26:27], 1, v[2:3]
	s_delay_alu instid0(VALU_DEP_1)
	v_lshl_add_u64 v[2:3], v[64:65], 1, v[2:3]
	ds_store_b64 v0, v[2:3]
	ds_store_b64 v0, v[10:11]
.LBB10_1314:                            ;   in Loop: Header=BB10_1311 Depth=1
	s_or_b32 exec_lo, exec_lo, s10
	v_and_b32_e32 v2, 8, v30
	v_min_u32_e32 v67, v67, v66
	s_mov_b32 s19, exec_lo
	s_delay_alu instid0(VALU_DEP_2)
	v_cmpx_ne_u32_e32 0, v2
	s_cbranch_execz .LBB10_1336
; %bb.1315:                             ;   in Loop: Header=BB10_1311 Depth=1
	s_wait_loadcnt 0x0
	v_add_nc_u64_e32 v[2:3], 8, v[48:49]
	v_add_nc_u64_e32 v[10:11], 1, v[8:9]
	s_mov_b32 s20, exec_lo
	s_delay_alu instid0(VALU_DEP_1)
	v_cmpx_lt_u64_e64 v[2:3], v[10:11]
	s_cbranch_execz .LBB10_1327
; %bb.1316:                             ;   in Loop: Header=BB10_1311 Depth=1
	v_and_b32_e32 v2, 64, v30
	s_mov_b32 s21, 0
	s_mov_b32 s25, 0
                                        ; implicit-def: $sgpr22
                                        ; implicit-def: $sgpr23
                                        ; implicit-def: $sgpr24
	s_delay_alu instid0(VALU_DEP_1)
	v_cmp_eq_u32_e32 vcc_lo, 0, v2
	s_branch .LBB10_1320
.LBB10_1317:                            ;   in Loop: Header=BB10_1320 Depth=2
	s_wait_loadcnt_dscnt 0x0
	v_add_nc_u64_e32 v[12:13], 8, v[48:49]
	s_or_b32 s28, s28, exec_lo
	s_delay_alu instid0(VALU_DEP_1)
	v_cmp_ge_u64_e64 s10, v[12:13], v[10:11]
	s_or_not1_b32 s27, s10, exec_lo
.LBB10_1318:                            ;   in Loop: Header=BB10_1320 Depth=2
	s_or_b32 exec_lo, exec_lo, s40
	s_delay_alu instid0(SALU_CYCLE_1)
	s_and_not1_b32 s10, s24, exec_lo
	s_and_b32 s24, s28, exec_lo
	s_and_not1_b32 s23, s23, exec_lo
	s_and_b32 s27, s27, exec_lo
	s_or_b32 s24, s10, s24
	s_or_b32 s23, s23, s27
.LBB10_1319:                            ;   in Loop: Header=BB10_1320 Depth=2
	s_or_b32 exec_lo, exec_lo, s26
	s_delay_alu instid0(SALU_CYCLE_1) | instskip(NEXT) | instid1(SALU_CYCLE_1)
	s_and_b32 s10, exec_lo, s23
	s_or_b32 s21, s10, s21
	s_and_not1_b32 s10, s22, exec_lo
	s_and_b32 s22, s24, exec_lo
	s_delay_alu instid0(SALU_CYCLE_1)
	s_or_b32 s22, s10, s22
	s_and_not1_b32 exec_lo, exec_lo, s21
	s_cbranch_execz .LBB10_1324
.LBB10_1320:                            ;   Parent Loop BB10_1311 Depth=1
                                        ; =>  This Inner Loop Header: Depth=2
	s_sleep 1
	s_wait_loadcnt_dscnt 0x0
	flat_load_b64 v[48:49], v[32:33] scope:SCOPE_SYS
	s_or_b32 s24, s24, exec_lo
	s_or_b32 s23, s23, exec_lo
                                        ; implicit-def: $vgpr2
	s_wait_xcnt 0x0
	s_and_saveexec_b32 s26, vcc_lo
	s_cbranch_execz .LBB10_1319
; %bb.1321:                             ;   in Loop: Header=BB10_1320 Depth=2
	s_cmp_lt_i32 s25, 0x270f
	s_mov_b32 s27, -1
	s_cselect_b32 s29, -1, 0
	s_cmp_gt_i32 s25, 0x270e
	s_cbranch_scc0 .LBB10_1323
; %bb.1322:                             ;   in Loop: Header=BB10_1320 Depth=2
	s_trap 2
	ds_load_b64 v[2:3], v0
	s_and_not1_b32 s25, s29, exec_lo
	s_mov_b32 s28, 0
	s_wait_storecnt 0x0
	s_wait_loadcnt_dscnt 0x0
	flat_load_b32 v2, v[2:3] scope:SCOPE_SYS
	s_wait_loadcnt_dscnt 0x0
	global_inv scope:SCOPE_SYS
	v_cmp_eq_u32_e64 s10, 0, v2
	s_and_b32 s10, s10, exec_lo
	s_delay_alu instid0(SALU_CYCLE_1)
	s_or_b32 s29, s25, s10
	s_mov_b32 s25, 0
	s_and_saveexec_b32 s40, s29
	s_cbranch_execz .LBB10_1318
	s_branch .LBB10_1317
.LBB10_1323:                            ;   in Loop: Header=BB10_1320 Depth=2
	s_add_co_i32 s25, s25, 1
	s_mov_b32 s28, -1
                                        ; implicit-def: $vgpr2
	s_and_saveexec_b32 s40, s29
	s_cbranch_execz .LBB10_1318
	s_branch .LBB10_1317
.LBB10_1324:                            ;   in Loop: Header=BB10_1311 Depth=1
	s_or_b32 exec_lo, exec_lo, s21
	s_xor_b32 s10, s22, -1
	s_delay_alu instid0(SALU_CYCLE_1) | instskip(NEXT) | instid1(SALU_CYCLE_1)
	s_and_saveexec_b32 s21, s10
	s_xor_b32 s10, exec_lo, s21
	s_cbranch_execz .LBB10_1326
; %bb.1325:                             ;   in Loop: Header=BB10_1311 Depth=1
	v_or_b32_e32 v30, 64, v30
	s_wait_storecnt 0x0
	s_wait_loadcnt_dscnt 0x0
	ds_store_b32 v0, v2
	s_trap 2
.LBB10_1326:                            ;   in Loop: Header=BB10_1311 Depth=1
	s_or_b32 exec_lo, exec_lo, s10
.LBB10_1327:                            ;   in Loop: Header=BB10_1311 Depth=1
	s_delay_alu instid0(SALU_CYCLE_1)
	s_or_b32 exec_lo, exec_lo, s20
	v_and_b32_e32 v2, 0x100, v30
	v_and_b32_e32 v14, 7, v8
	s_mov_b32 s10, -1
	s_mov_b32 s20, exec_lo
	;;#ASMSTART
	s_wakeup
	;;#ASMEND
                                        ; implicit-def: $vgpr8_vgpr9
	v_cmpx_ne_u32_e32 0, v2
	s_cbranch_execz .LBB10_1331
; %bb.1328:                             ;   in Loop: Header=BB10_1311 Depth=1
	v_mad_nc_u64_u32 v[12:13], v14, 24, v[6:7]
	v_dual_mov_b32 v3, v15 :: v_dual_lshlrev_b32 v2, 1, v67
	s_clause 0x1
	flat_load_b32 v8, v[12:13]
	flat_store_b64 v[12:13], v[2:3] offset:8
	s_wait_loadcnt_dscnt 0x1
	v_cmp_eq_u32_e64 s10, 1, v8
	v_cmp_ne_u32_e32 vcc_lo, 1, v8
                                        ; implicit-def: $vgpr8_vgpr9
	s_wait_xcnt 0x0
	s_and_saveexec_b32 s21, s10
	s_cbranch_execz .LBB10_1330
; %bb.1329:                             ;   in Loop: Header=BB10_1311 Depth=1
	flat_load_b32 v2, v[12:13] offset:4 scope:SCOPE_SYS
	s_wait_loadcnt_dscnt 0x0
	v_ashrrev_i32_e32 v3, 31, v2
	s_delay_alu instid0(VALU_DEP_1)
	v_lshrrev_b64 v[8:9], 1, v[2:3]
.LBB10_1330:                            ;   in Loop: Header=BB10_1311 Depth=1
	s_wait_xcnt 0x0
	s_or_b32 exec_lo, exec_lo, s21
	s_delay_alu instid0(SALU_CYCLE_1)
	s_or_not1_b32 s10, vcc_lo, exec_lo
.LBB10_1331:                            ;   in Loop: Header=BB10_1311 Depth=1
	s_or_b32 exec_lo, exec_lo, s20
	s_and_saveexec_b32 s20, s10
; %bb.1332:                             ;   in Loop: Header=BB10_1311 Depth=1
	v_mul_u64_e32 v[8:9], v[14:15], v[34:35]
; %bb.1333:                             ;   in Loop: Header=BB10_1311 Depth=1
	s_or_b32 exec_lo, exec_lo, s20
	v_and_b32_e32 v12, 0x2000, v30
	s_delay_alu instid0(VALU_DEP_2)
	v_lshl_add_u64 v[2:3], v[8:9], 1, v[36:37]
	s_mov_b32 s10, exec_lo
	ds_store_b64 v0, v[2:3] offset:784
	v_cmpx_ne_u32_e32 0, v12
	s_cbranch_execz .LBB10_1335
; %bb.1334:                             ;   in Loop: Header=BB10_1311 Depth=1
	ds_load_b64 v[2:3], v0 offset:872
	s_wait_dscnt 0x0
	v_add_nc_u64_e32 v[2:3], 1, v[2:3]
	ds_store_b64 v0, v[2:3] offset:872
.LBB10_1335:                            ;   in Loop: Header=BB10_1311 Depth=1
	s_or_b32 exec_lo, exec_lo, s10
	v_mov_b64_e32 v[8:9], v[10:11]
.LBB10_1336:                            ;   in Loop: Header=BB10_1311 Depth=1
	s_or_b32 exec_lo, exec_lo, s19
	s_and_saveexec_b32 s10, s2
	s_cbranch_execz .LBB10_1355
; %bb.1337:                             ;   in Loop: Header=BB10_1311 Depth=1
	s_and_saveexec_b32 s19, s3
	s_delay_alu instid0(SALU_CYCLE_1)
	s_xor_b32 s19, exec_lo, s19
	s_cbranch_execz .LBB10_1352
; %bb.1338:                             ;   in Loop: Header=BB10_1311 Depth=1
	s_and_saveexec_b32 s20, s4
	s_cbranch_execz .LBB10_1351
; %bb.1339:                             ;   in Loop: Header=BB10_1311 Depth=1
	s_mov_b32 s22, exec_lo
	s_mov_b32 s21, exec_lo
	v_mbcnt_lo_u32_b32 v2, s22, 0
	global_wb scope:SCOPE_DEV
	s_wait_storecnt 0x0
	s_wait_loadcnt_dscnt 0x0
	global_inv scope:SCOPE_DEV
	v_cmpx_eq_u32_e32 0, v2
	s_cbranch_execz .LBB10_1341
; %bb.1340:                             ;   in Loop: Header=BB10_1311 Depth=1
	s_bcnt1_i32_b32 s22, s22
	s_delay_alu instid0(SALU_CYCLE_1)
	v_mov_b32_e32 v14, s22
	s_wait_loadcnt 0x0
	ds_add_u64 v0, v[14:15]
	s_trap 2
.LBB10_1341:                            ;   in Loop: Header=BB10_1311 Depth=1
	s_or_b32 exec_lo, exec_lo, s21
	s_trap 2
	ds_load_b64 v[2:3], v0
	s_wait_dscnt 0x0
	v_add_nc_u64_e32 v[38:39], v[38:39], v[16:17]
	s_mov_b32 s21, exec_lo
	s_delay_alu instid0(VALU_DEP_1)
	v_cmpx_lt_u64_e64 v[2:3], v[38:39]
	s_cbranch_execz .LBB10_1350
; %bb.1342:                             ;   in Loop: Header=BB10_1311 Depth=1
	s_mov_b32 s22, 0
	s_mov_b32 s25, 0
                                        ; implicit-def: $sgpr23
                                        ; implicit-def: $sgpr24
	s_branch .LBB10_1344
.LBB10_1343:                            ;   in Loop: Header=BB10_1344 Depth=2
	s_or_b32 exec_lo, exec_lo, s27
	s_delay_alu instid0(SALU_CYCLE_1) | instskip(NEXT) | instid1(SALU_CYCLE_1)
	s_and_b32 s26, exec_lo, s28
	s_or_b32 s22, s26, s22
	s_and_not1_b32 s23, s23, exec_lo
	s_and_b32 s26, s24, exec_lo
	s_delay_alu instid0(SALU_CYCLE_1)
	s_or_b32 s23, s23, s26
	s_and_not1_b32 exec_lo, exec_lo, s22
	s_cbranch_execz .LBB10_1348
.LBB10_1344:                            ;   Parent Loop BB10_1311 Depth=1
                                        ; =>  This Inner Loop Header: Depth=2
	s_add_co_i32 s25, s25, 1
	s_delay_alu instid0(SALU_CYCLE_1) | instskip(SKIP_1) | instid1(SALU_CYCLE_1)
	s_cmp_lg_u32 s25, 0x2710
	s_cselect_b32 s26, -1, 0
	s_and_b32 vcc_lo, exec_lo, s26
	s_cbranch_vccz .LBB10_1346
; %bb.1345:                             ;   in Loop: Header=BB10_1344 Depth=2
	s_mov_b32 s28, -1
	s_or_b32 s24, s24, exec_lo
	s_and_saveexec_b32 s27, s26
	s_cbranch_execz .LBB10_1343
	s_branch .LBB10_1347
.LBB10_1346:                            ;   in Loop: Header=BB10_1344 Depth=2
	s_trap 2
	ds_load_b64 v[2:3], v0
	s_and_not1_b32 s26, s26, exec_lo
	s_mov_b32 s25, 0
	s_wait_loadcnt_dscnt 0x0
	flat_load_b32 v2, v[2:3] scope:SCOPE_SYS
	s_wait_loadcnt_dscnt 0x0
	global_inv scope:SCOPE_SYS
	v_cmp_eq_u32_e32 vcc_lo, 0, v2
	s_and_b32 s27, vcc_lo, exec_lo
	s_delay_alu instid0(SALU_CYCLE_1)
	s_or_b32 s26, s26, s27
	s_mov_b32 s28, -1
	s_or_b32 s24, s24, exec_lo
	s_and_saveexec_b32 s27, s26
	s_cbranch_execz .LBB10_1343
.LBB10_1347:                            ;   in Loop: Header=BB10_1344 Depth=2
	s_sleep 1
	s_trap 2
	ds_load_b64 v[2:3], v0
	s_wait_dscnt 0x0
	s_and_not1_b32 s24, s24, exec_lo
	v_cmp_ge_u64_e32 vcc_lo, v[2:3], v[38:39]
	s_or_not1_b32 s28, vcc_lo, exec_lo
	s_branch .LBB10_1343
.LBB10_1348:                            ;   in Loop: Header=BB10_1311 Depth=1
	s_or_b32 exec_lo, exec_lo, s22
	s_and_saveexec_b32 s22, s23
	s_delay_alu instid0(SALU_CYCLE_1)
	s_xor_b32 s22, exec_lo, s22
	s_cbranch_execz .LBB10_1350
; %bb.1349:                             ;   in Loop: Header=BB10_1311 Depth=1
	ds_store_b32 v0, v96
	s_trap 2
.LBB10_1350:                            ;   in Loop: Header=BB10_1311 Depth=1
	s_or_b32 exec_lo, exec_lo, s21
	;;#ASMSTART
	s_wakeup
	;;#ASMEND
.LBB10_1351:                            ;   in Loop: Header=BB10_1311 Depth=1
	s_or_b32 exec_lo, exec_lo, s20
.LBB10_1352:                            ;   in Loop: Header=BB10_1311 Depth=1
	s_and_not1_saveexec_b32 s19, s19
	s_cbranch_execz .LBB10_1354
; %bb.1353:                             ;   in Loop: Header=BB10_1311 Depth=1
	global_wb scope:SCOPE_DEV
	s_wait_storecnt 0x0
	s_wait_loadcnt_dscnt 0x0
	global_inv scope:SCOPE_DEV
	s_barrier_signal -1
	s_barrier_wait -1
.LBB10_1354:                            ;   in Loop: Header=BB10_1311 Depth=1
	s_or_b32 exec_lo, exec_lo, s19
.LBB10_1355:                            ;   in Loop: Header=BB10_1311 Depth=1
	s_delay_alu instid0(SALU_CYCLE_1) | instskip(SKIP_3) | instid1(VALU_DEP_1)
	s_or_b32 exec_lo, exec_lo, s10
	s_trap 2
	ds_load_b32 v2, v0
	v_and_b32_e32 v3, 0x4000, v30
	v_cmp_ne_u32_e32 vcc_lo, 0, v3
	s_and_b32 s19, s16, vcc_lo
	s_delay_alu instid0(SALU_CYCLE_1)
	s_and_saveexec_b32 s10, s19
	s_cbranch_execz .LBB10_1374
; %bb.1356:                             ;   in Loop: Header=BB10_1311 Depth=1
	s_and_saveexec_b32 s19, s3
	s_delay_alu instid0(SALU_CYCLE_1)
	s_xor_b32 s19, exec_lo, s19
	s_cbranch_execz .LBB10_1371
; %bb.1357:                             ;   in Loop: Header=BB10_1311 Depth=1
	s_and_saveexec_b32 s20, s4
	s_cbranch_execz .LBB10_1370
; %bb.1358:                             ;   in Loop: Header=BB10_1311 Depth=1
	s_mov_b32 s22, exec_lo
	s_mov_b32 s21, exec_lo
	v_mbcnt_lo_u32_b32 v3, s22, 0
	global_wb scope:SCOPE_DEV
	s_wait_storecnt 0x0
	s_wait_loadcnt_dscnt 0x0
	global_inv scope:SCOPE_DEV
	v_cmpx_eq_u32_e32 0, v3
	s_cbranch_execz .LBB10_1360
; %bb.1359:                             ;   in Loop: Header=BB10_1311 Depth=1
	s_bcnt1_i32_b32 s22, s22
	s_delay_alu instid0(SALU_CYCLE_1)
	v_mov_b32_e32 v14, s22
	s_wait_loadcnt 0x0
	ds_add_u64 v0, v[14:15]
	s_trap 2
.LBB10_1360:                            ;   in Loop: Header=BB10_1311 Depth=1
	s_or_b32 exec_lo, exec_lo, s21
	s_trap 2
	ds_load_b64 v[10:11], v0
	s_wait_dscnt 0x0
	v_add_nc_u64_e32 v[38:39], v[38:39], v[16:17]
	s_mov_b32 s21, exec_lo
	s_delay_alu instid0(VALU_DEP_1)
	v_cmpx_lt_u64_e64 v[10:11], v[38:39]
	s_cbranch_execz .LBB10_1369
; %bb.1361:                             ;   in Loop: Header=BB10_1311 Depth=1
	s_mov_b32 s22, 0
	s_mov_b32 s25, 0
                                        ; implicit-def: $sgpr23
                                        ; implicit-def: $sgpr24
	s_branch .LBB10_1363
.LBB10_1362:                            ;   in Loop: Header=BB10_1363 Depth=2
	s_or_b32 exec_lo, exec_lo, s27
	s_delay_alu instid0(SALU_CYCLE_1) | instskip(NEXT) | instid1(SALU_CYCLE_1)
	s_and_b32 s26, exec_lo, s28
	s_or_b32 s22, s26, s22
	s_and_not1_b32 s23, s23, exec_lo
	s_and_b32 s26, s24, exec_lo
	s_delay_alu instid0(SALU_CYCLE_1)
	s_or_b32 s23, s23, s26
	s_and_not1_b32 exec_lo, exec_lo, s22
	s_cbranch_execz .LBB10_1367
.LBB10_1363:                            ;   Parent Loop BB10_1311 Depth=1
                                        ; =>  This Inner Loop Header: Depth=2
	s_add_co_i32 s25, s25, 1
	s_delay_alu instid0(SALU_CYCLE_1) | instskip(SKIP_1) | instid1(SALU_CYCLE_1)
	s_cmp_lg_u32 s25, 0x2710
	s_cselect_b32 s26, -1, 0
	s_and_b32 vcc_lo, exec_lo, s26
	s_cbranch_vccz .LBB10_1365
; %bb.1364:                             ;   in Loop: Header=BB10_1363 Depth=2
	s_mov_b32 s28, -1
	s_or_b32 s24, s24, exec_lo
	s_and_saveexec_b32 s27, s26
	s_cbranch_execz .LBB10_1362
	s_branch .LBB10_1366
.LBB10_1365:                            ;   in Loop: Header=BB10_1363 Depth=2
	s_trap 2
	ds_load_b64 v[10:11], v0
	s_and_not1_b32 s26, s26, exec_lo
	s_mov_b32 s25, 0
	s_wait_loadcnt_dscnt 0x0
	flat_load_b32 v3, v[10:11] scope:SCOPE_SYS
	s_wait_loadcnt_dscnt 0x0
	global_inv scope:SCOPE_SYS
	v_cmp_eq_u32_e32 vcc_lo, 0, v3
	s_and_b32 s27, vcc_lo, exec_lo
	s_delay_alu instid0(SALU_CYCLE_1)
	s_or_b32 s26, s26, s27
	s_mov_b32 s28, -1
	s_or_b32 s24, s24, exec_lo
	s_and_saveexec_b32 s27, s26
	s_cbranch_execz .LBB10_1362
.LBB10_1366:                            ;   in Loop: Header=BB10_1363 Depth=2
	s_sleep 1
	s_trap 2
	ds_load_b64 v[10:11], v0
	s_wait_dscnt 0x0
	s_and_not1_b32 s24, s24, exec_lo
	v_cmp_ge_u64_e32 vcc_lo, v[10:11], v[38:39]
	s_or_not1_b32 s28, vcc_lo, exec_lo
	s_branch .LBB10_1362
.LBB10_1367:                            ;   in Loop: Header=BB10_1311 Depth=1
	s_or_b32 exec_lo, exec_lo, s22
	s_and_saveexec_b32 s22, s23
	s_delay_alu instid0(SALU_CYCLE_1)
	s_xor_b32 s22, exec_lo, s22
	s_cbranch_execz .LBB10_1369
; %bb.1368:                             ;   in Loop: Header=BB10_1311 Depth=1
	ds_store_b32 v0, v96
	s_trap 2
.LBB10_1369:                            ;   in Loop: Header=BB10_1311 Depth=1
	s_or_b32 exec_lo, exec_lo, s21
	;;#ASMSTART
	s_wakeup
	;;#ASMEND
.LBB10_1370:                            ;   in Loop: Header=BB10_1311 Depth=1
	s_or_b32 exec_lo, exec_lo, s20
.LBB10_1371:                            ;   in Loop: Header=BB10_1311 Depth=1
	s_and_not1_saveexec_b32 s19, s19
	s_cbranch_execz .LBB10_1373
; %bb.1372:                             ;   in Loop: Header=BB10_1311 Depth=1
	global_wb scope:SCOPE_DEV
	s_wait_storecnt 0x0
	s_wait_loadcnt_dscnt 0x0
	global_inv scope:SCOPE_DEV
	s_barrier_signal -1
	s_barrier_wait -1
.LBB10_1373:                            ;   in Loop: Header=BB10_1311 Depth=1
	s_or_b32 exec_lo, exec_lo, s19
.LBB10_1374:                            ;   in Loop: Header=BB10_1311 Depth=1
	s_delay_alu instid0(SALU_CYCLE_1)
	s_or_b32 exec_lo, exec_lo, s10
	s_trap 2
	ds_load_b64 v[68:69], v0
	s_wait_dscnt 0x0
	v_cmp_eq_u64_e32 vcc_lo, 0, v[68:69]
	s_cbranch_vccnz .LBB10_1382
; %bb.1375:                             ;   in Loop: Header=BB10_1311 Depth=1
	s_trap 2
	ds_load_b64 v[70:71], v0
	s_wait_dscnt 0x0
	v_cmp_eq_u64_e32 vcc_lo, 0, v[70:71]
	s_cbranch_vccnz .LBB10_1382
; %bb.1376:                             ;   in Loop: Header=BB10_1311 Depth=1
	s_mov_b32 s10, -1
	s_and_saveexec_b32 s19, s5
	s_cbranch_execz .LBB10_1378
; %bb.1377:                             ;   in Loop: Header=BB10_1311 Depth=1
	ds_load_b32 v3, v0 offset:720
	s_wait_dscnt 0x0
	v_and_b32_e32 v3, 15, v3
	s_delay_alu instid0(VALU_DEP_1)
	v_cmp_eq_u32_e32 vcc_lo, 0, v3
	s_or_not1_b32 s10, vcc_lo, exec_lo
.LBB10_1378:                            ;   in Loop: Header=BB10_1311 Depth=1
	s_or_b32 exec_lo, exec_lo, s19
	s_and_saveexec_b32 s19, s6
	s_cbranch_execz .LBB10_1380
; %bb.1379:                             ;   in Loop: Header=BB10_1311 Depth=1
	ds_load_b32 v3, v0 offset:784
	s_wait_dscnt 0x0
	v_and_b32_e32 v3, 15, v3
	s_delay_alu instid0(VALU_DEP_1) | instskip(SKIP_3) | instid1(SALU_CYCLE_1)
	v_cmp_eq_u32_e32 vcc_lo, 0, v3
	s_and_b32 s20, s10, vcc_lo
	s_and_not1_b32 s10, s10, exec_lo
	s_and_b32 s20, s20, exec_lo
	s_or_b32 s10, s10, s20
.LBB10_1380:                            ;   in Loop: Header=BB10_1311 Depth=1
	s_or_b32 exec_lo, exec_lo, s19
	v_cmp_eq_u32_e32 vcc_lo, 0, v2
	s_xor_b32 s10, s10, -1
	s_mov_b32 s20, -1
	v_cndmask_b32_e64 v3, 0, 1, s10
	v_dual_mov_b32 v84, 0 :: v_dual_cndmask_b32 v14, 0, v67, vcc_lo
	s_delay_alu instid0(VALU_DEP_2) | instskip(NEXT) | instid1(VALU_DEP_2)
	v_cmp_ne_u32_e32 vcc_lo, 0, v3
	v_lshlrev_b32_e32 v97, 1, v14
	s_cbranch_vccz .LBB10_1383
; %bb.1381:                             ;   in Loop: Header=BB10_1311 Depth=1
	v_mov_b32_e32 v85, v0
	s_and_saveexec_b32 s10, s20
	s_cbranch_execnz .LBB10_1682
	s_branch .LBB10_1758
.LBB10_1382:                            ;   in Loop: Header=BB10_1311 Depth=1
	s_mov_b32 s10, 0
	s_and_saveexec_b32 s19, s2
	s_cbranch_execnz .LBB10_1759
	s_branch .LBB10_1777
.LBB10_1383:                            ;   in Loop: Header=BB10_1311 Depth=1
	v_dual_lshrrev_b32 v99, 11, v14 :: v_dual_lshrrev_b32 v2, 5, v0
	s_mov_b32 s10, exec_lo
	s_delay_alu instid0(VALU_DEP_1) | instskip(NEXT) | instid1(VALU_DEP_1)
	v_sub_nc_u32_e32 v98, v99, v2
	v_cmpx_lt_i32_e32 0, v98
	s_cbranch_execz .LBB10_1643
; %bb.1384:                             ;   in Loop: Header=BB10_1311 Depth=1
	s_trap 2
	ds_load_b32 v2, v0
	v_mov_b64_e32 v[80:81], v[70:71]
	v_mov_b64_e32 v[82:83], v[68:69]
	s_mov_b32 s19, 0
	s_wait_dscnt 0x0
	v_lshlrev_b32_e32 v100, 16, v2
	s_branch .LBB10_1386
.LBB10_1385:                            ;   in Loop: Header=BB10_1386 Depth=2
	s_or_b32 exec_lo, exec_lo, s20
	v_dual_lshrrev_b32 v40, 16, v40 :: v_dual_lshrrev_b32 v118, 16, v118
	v_dual_lshrrev_b32 v103, 16, v103 :: v_dual_lshrrev_b32 v101, 16, v101
	;; [unrolled: 1-line block ×3, first 2 shown]
	s_delay_alu instid0(VALU_DEP_3) | instskip(NEXT) | instid1(VALU_DEP_4)
	v_and_or_b32 v41, 0xffff0000, v41, v40
	v_and_or_b32 v40, 0xffff0000, v119, v118
	v_dual_lshrrev_b32 v118, 16, v42 :: v_dual_lshrrev_b32 v119, 16, v44
	v_dual_lshrrev_b32 v3, 16, v3 :: v_dual_sub_nc_u32 v98, v98, v16
	v_dual_lshrrev_b32 v10, 16, v120 :: v_dual_lshrrev_b32 v12, 16, v110
	v_dual_lshrrev_b32 v13, 16, v122 :: v_dual_lshrrev_b32 v110, 16, v124
	;; [unrolled: 1-line block ×4, first 2 shown]
	v_lshrrev_b32_e32 v44, 16, v113
	v_and_or_b32 v113, 0xffff0000, v112, v103
	v_and_or_b32 v112, 0xffff0000, v102, v101
	v_dual_lshrrev_b32 v101, 16, v115 :: v_dual_lshrrev_b32 v72, 16, v72
	v_lshrrev_b32_e32 v62, 16, v62
	v_dual_lshrrev_b32 v74, 16, v74 :: v_dual_lshrrev_b32 v76, 16, v76
	v_and_or_b32 v42, 0xffff0000, v43, v118
	v_dual_lshrrev_b32 v118, 16, v126 :: v_dual_lshrrev_b32 v84, 16, v84
	v_dual_lshrrev_b32 v87, 16, v87 :: v_dual_lshrrev_b32 v88, 16, v88
	v_lshrrev_b32_e32 v78, 16, v78
	v_dual_lshrrev_b32 v90, 16, v90 :: v_dual_lshrrev_b32 v92, 16, v92
	v_lshrrev_b32_e32 v106, 16, v106
	v_and_or_b32 v105, 0xffff0000, v105, v104
	v_and_or_b32 v104, 0xffff0000, v95, v94
	v_lshrrev_b32_e32 v94, 16, v108
	v_add_nc_u64_e32 v[102:103], v[54:55], v[80:81]
	v_add_nc_u64_e32 v[82:83], v[82:83], v[18:19]
	;; [unrolled: 1-line block ×3, first 2 shown]
	v_cmp_gt_i32_e32 vcc_lo, 1, v98
	v_and_or_b32 v11, 0xffff0000, v121, v10
	v_and_or_b32 v10, 0xffff0000, v111, v12
	;; [unrolled: 1-line block ×25, first 2 shown]
	s_or_b32 s19, vcc_lo, s19
	s_clause 0x7
	global_store_b128 v[102:103], v[112:115], off th:TH_STORE_NT
	global_store_b128 v[102:103], v[40:43], off offset:512 th:TH_STORE_NT
	global_store_b128 v[102:103], v[56:59], off offset:1024 th:TH_STORE_NT
	;; [unrolled: 1-line block ×7, first 2 shown]
	s_wait_xcnt 0x0
	s_and_not1_b32 exec_lo, exec_lo, s19
	s_cbranch_execz .LBB10_1642
.LBB10_1386:                            ;   Parent Loop BB10_1311 Depth=1
                                        ; =>  This Inner Loop Header: Depth=2
	s_delay_alu instid0(VALU_DEP_2) | instskip(SKIP_4) | instid1(VALU_DEP_1)
	v_add_nc_u64_e32 v[84:85], v[54:55], v[82:83]
	s_mov_b32 s20, exec_lo
                                        ; implicit-def: $vgpr101
	global_load_b128 v[10:13], v[84:85], off th:TH_LOAD_NT
	s_wait_loadcnt 0x0
	v_lshlrev_b32_e32 v2, 16, v10
	v_mul_f32_e32 v2, v100, v2
	s_delay_alu instid0(VALU_DEP_1) | instskip(SKIP_1) | instid1(VALU_DEP_1)
	v_and_b32_e32 v3, 0x7f800000, v2
	s_wait_xcnt 0x0
	v_cmpx_ne_u32_e32 0x7f800000, v3
	s_xor_b32 s20, exec_lo, s20
; %bb.1387:                             ;   in Loop: Header=BB10_1386 Depth=2
	v_bfe_u32 v3, v2, 16, 1
	s_delay_alu instid0(VALU_DEP_1)
	v_add3_u32 v101, v2, v3, 0x7fff
                                        ; implicit-def: $vgpr2
; %bb.1388:                             ;   in Loop: Header=BB10_1386 Depth=2
	s_and_not1_saveexec_b32 s20, s20
; %bb.1389:                             ;   in Loop: Header=BB10_1386 Depth=2
	v_and_b32_e32 v3, 0xffff, v2
	v_or_b32_e32 v86, 0x10000, v2
	s_delay_alu instid0(VALU_DEP_2) | instskip(NEXT) | instid1(VALU_DEP_2)
	v_cmp_eq_u32_e32 vcc_lo, 0, v3
	v_cndmask_b32_e32 v101, v86, v2, vcc_lo
; %bb.1390:                             ;   in Loop: Header=BB10_1386 Depth=2
	s_or_b32 exec_lo, exec_lo, s20
	v_and_b32_e32 v2, 0xffff0000, v10
	s_mov_b32 s20, exec_lo
                                        ; implicit-def: $vgpr102
	s_delay_alu instid0(VALU_DEP_1) | instskip(NEXT) | instid1(VALU_DEP_1)
	v_mul_f32_e32 v2, v100, v2
	v_and_b32_e32 v3, 0x7f800000, v2
	s_delay_alu instid0(VALU_DEP_1)
	v_cmpx_ne_u32_e32 0x7f800000, v3
	s_xor_b32 s20, exec_lo, s20
; %bb.1391:                             ;   in Loop: Header=BB10_1386 Depth=2
	v_bfe_u32 v3, v2, 16, 1
	s_delay_alu instid0(VALU_DEP_1)
	v_add3_u32 v102, v2, v3, 0x7fff
                                        ; implicit-def: $vgpr2
; %bb.1392:                             ;   in Loop: Header=BB10_1386 Depth=2
	s_and_not1_saveexec_b32 s20, s20
; %bb.1393:                             ;   in Loop: Header=BB10_1386 Depth=2
	v_and_b32_e32 v3, 0xffff, v2
	v_or_b32_e32 v10, 0x10000, v2
	s_delay_alu instid0(VALU_DEP_2) | instskip(NEXT) | instid1(VALU_DEP_2)
	v_cmp_eq_u32_e32 vcc_lo, 0, v3
	v_cndmask_b32_e32 v102, v10, v2, vcc_lo
; %bb.1394:                             ;   in Loop: Header=BB10_1386 Depth=2
	s_or_b32 exec_lo, exec_lo, s20
	v_lshlrev_b32_e32 v2, 16, v11
	s_mov_b32 s20, exec_lo
                                        ; implicit-def: $vgpr103
	s_delay_alu instid0(VALU_DEP_1) | instskip(NEXT) | instid1(VALU_DEP_1)
	v_mul_f32_e32 v2, v100, v2
	v_and_b32_e32 v3, 0x7f800000, v2
	s_delay_alu instid0(VALU_DEP_1)
	v_cmpx_ne_u32_e32 0x7f800000, v3
	s_xor_b32 s20, exec_lo, s20
; %bb.1395:                             ;   in Loop: Header=BB10_1386 Depth=2
	v_bfe_u32 v3, v2, 16, 1
	s_delay_alu instid0(VALU_DEP_1)
	v_add3_u32 v103, v2, v3, 0x7fff
                                        ; implicit-def: $vgpr2
; %bb.1396:                             ;   in Loop: Header=BB10_1386 Depth=2
	s_and_not1_saveexec_b32 s20, s20
; %bb.1397:                             ;   in Loop: Header=BB10_1386 Depth=2
	v_and_b32_e32 v3, 0xffff, v2
	v_or_b32_e32 v10, 0x10000, v2
	s_delay_alu instid0(VALU_DEP_2) | instskip(NEXT) | instid1(VALU_DEP_2)
	v_cmp_eq_u32_e32 vcc_lo, 0, v3
	v_cndmask_b32_e32 v103, v10, v2, vcc_lo
; %bb.1398:                             ;   in Loop: Header=BB10_1386 Depth=2
	s_or_b32 exec_lo, exec_lo, s20
	v_and_b32_e32 v2, 0xffff0000, v11
	s_mov_b32 s20, exec_lo
                                        ; implicit-def: $vgpr112
	s_delay_alu instid0(VALU_DEP_1) | instskip(NEXT) | instid1(VALU_DEP_1)
	v_mul_f32_e32 v2, v100, v2
	v_and_b32_e32 v3, 0x7f800000, v2
	s_delay_alu instid0(VALU_DEP_1)
	v_cmpx_ne_u32_e32 0x7f800000, v3
	s_xor_b32 s20, exec_lo, s20
; %bb.1399:                             ;   in Loop: Header=BB10_1386 Depth=2
	v_bfe_u32 v3, v2, 16, 1
	s_delay_alu instid0(VALU_DEP_1)
	v_add3_u32 v112, v2, v3, 0x7fff
                                        ; implicit-def: $vgpr2
; %bb.1400:                             ;   in Loop: Header=BB10_1386 Depth=2
	s_and_not1_saveexec_b32 s20, s20
; %bb.1401:                             ;   in Loop: Header=BB10_1386 Depth=2
	v_and_b32_e32 v3, 0xffff, v2
	v_or_b32_e32 v10, 0x10000, v2
	s_delay_alu instid0(VALU_DEP_2) | instskip(NEXT) | instid1(VALU_DEP_2)
	v_cmp_eq_u32_e32 vcc_lo, 0, v3
	v_cndmask_b32_e32 v112, v10, v2, vcc_lo
; %bb.1402:                             ;   in Loop: Header=BB10_1386 Depth=2
	s_or_b32 exec_lo, exec_lo, s20
	v_lshlrev_b32_e32 v2, 16, v12
	s_mov_b32 s20, exec_lo
                                        ; implicit-def: $vgpr113
	s_delay_alu instid0(VALU_DEP_1) | instskip(NEXT) | instid1(VALU_DEP_1)
	v_mul_f32_e32 v2, v100, v2
	v_and_b32_e32 v3, 0x7f800000, v2
	s_delay_alu instid0(VALU_DEP_1)
	v_cmpx_ne_u32_e32 0x7f800000, v3
	s_xor_b32 s20, exec_lo, s20
; %bb.1403:                             ;   in Loop: Header=BB10_1386 Depth=2
	v_bfe_u32 v3, v2, 16, 1
	s_delay_alu instid0(VALU_DEP_1)
	v_add3_u32 v113, v2, v3, 0x7fff
                                        ; implicit-def: $vgpr2
; %bb.1404:                             ;   in Loop: Header=BB10_1386 Depth=2
	s_and_not1_saveexec_b32 s20, s20
; %bb.1405:                             ;   in Loop: Header=BB10_1386 Depth=2
	v_and_b32_e32 v3, 0xffff, v2
	v_or_b32_e32 v10, 0x10000, v2
	s_delay_alu instid0(VALU_DEP_2) | instskip(NEXT) | instid1(VALU_DEP_2)
	v_cmp_eq_u32_e32 vcc_lo, 0, v3
	v_cndmask_b32_e32 v113, v10, v2, vcc_lo
; %bb.1406:                             ;   in Loop: Header=BB10_1386 Depth=2
	s_or_b32 exec_lo, exec_lo, s20
	v_and_b32_e32 v2, 0xffff0000, v12
	s_mov_b32 s20, exec_lo
                                        ; implicit-def: $vgpr114
	s_delay_alu instid0(VALU_DEP_1) | instskip(NEXT) | instid1(VALU_DEP_1)
	v_mul_f32_e32 v2, v100, v2
	v_and_b32_e32 v3, 0x7f800000, v2
	s_delay_alu instid0(VALU_DEP_1)
	v_cmpx_ne_u32_e32 0x7f800000, v3
	s_xor_b32 s20, exec_lo, s20
; %bb.1407:                             ;   in Loop: Header=BB10_1386 Depth=2
	v_bfe_u32 v3, v2, 16, 1
	s_delay_alu instid0(VALU_DEP_1)
	v_add3_u32 v114, v2, v3, 0x7fff
                                        ; implicit-def: $vgpr2
; %bb.1408:                             ;   in Loop: Header=BB10_1386 Depth=2
	s_and_not1_saveexec_b32 s20, s20
; %bb.1409:                             ;   in Loop: Header=BB10_1386 Depth=2
	v_and_b32_e32 v3, 0xffff, v2
	v_or_b32_e32 v10, 0x10000, v2
	s_delay_alu instid0(VALU_DEP_2) | instskip(NEXT) | instid1(VALU_DEP_2)
	v_cmp_eq_u32_e32 vcc_lo, 0, v3
	v_cndmask_b32_e32 v114, v10, v2, vcc_lo
; %bb.1410:                             ;   in Loop: Header=BB10_1386 Depth=2
	s_or_b32 exec_lo, exec_lo, s20
	v_lshlrev_b32_e32 v2, 16, v13
	s_mov_b32 s20, exec_lo
                                        ; implicit-def: $vgpr115
	s_delay_alu instid0(VALU_DEP_1) | instskip(NEXT) | instid1(VALU_DEP_1)
	v_mul_f32_e32 v2, v100, v2
	v_and_b32_e32 v3, 0x7f800000, v2
	s_delay_alu instid0(VALU_DEP_1)
	v_cmpx_ne_u32_e32 0x7f800000, v3
	s_xor_b32 s20, exec_lo, s20
; %bb.1411:                             ;   in Loop: Header=BB10_1386 Depth=2
	v_bfe_u32 v3, v2, 16, 1
	s_delay_alu instid0(VALU_DEP_1)
	v_add3_u32 v115, v2, v3, 0x7fff
                                        ; implicit-def: $vgpr2
; %bb.1412:                             ;   in Loop: Header=BB10_1386 Depth=2
	s_and_not1_saveexec_b32 s20, s20
; %bb.1413:                             ;   in Loop: Header=BB10_1386 Depth=2
	v_and_b32_e32 v3, 0xffff, v2
	v_or_b32_e32 v10, 0x10000, v2
	s_delay_alu instid0(VALU_DEP_2) | instskip(NEXT) | instid1(VALU_DEP_2)
	v_cmp_eq_u32_e32 vcc_lo, 0, v3
	v_cndmask_b32_e32 v115, v10, v2, vcc_lo
; %bb.1414:                             ;   in Loop: Header=BB10_1386 Depth=2
	s_or_b32 exec_lo, exec_lo, s20
	v_and_b32_e32 v2, 0xffff0000, v13
	s_mov_b32 s20, exec_lo
                                        ; implicit-def: $vgpr117
	s_delay_alu instid0(VALU_DEP_1) | instskip(NEXT) | instid1(VALU_DEP_1)
	v_mul_f32_e32 v2, v100, v2
	v_and_b32_e32 v3, 0x7f800000, v2
	s_delay_alu instid0(VALU_DEP_1)
	v_cmpx_ne_u32_e32 0x7f800000, v3
	s_xor_b32 s20, exec_lo, s20
; %bb.1415:                             ;   in Loop: Header=BB10_1386 Depth=2
	v_bfe_u32 v3, v2, 16, 1
	s_delay_alu instid0(VALU_DEP_1)
	v_add3_u32 v117, v2, v3, 0x7fff
                                        ; implicit-def: $vgpr2
; %bb.1416:                             ;   in Loop: Header=BB10_1386 Depth=2
	s_and_not1_saveexec_b32 s20, s20
; %bb.1417:                             ;   in Loop: Header=BB10_1386 Depth=2
	v_and_b32_e32 v3, 0xffff, v2
	v_or_b32_e32 v10, 0x10000, v2
	s_delay_alu instid0(VALU_DEP_2) | instskip(NEXT) | instid1(VALU_DEP_2)
	v_cmp_eq_u32_e32 vcc_lo, 0, v3
	v_cndmask_b32_e32 v117, v10, v2, vcc_lo
; %bb.1418:                             ;   in Loop: Header=BB10_1386 Depth=2
	s_or_b32 exec_lo, exec_lo, s20
	global_load_b128 v[10:13], v[84:85], off offset:512 th:TH_LOAD_NT
	s_mov_b32 s20, exec_lo
                                        ; implicit-def: $vgpr118
	s_wait_loadcnt 0x0
	v_lshlrev_b32_e32 v2, 16, v10
	s_delay_alu instid0(VALU_DEP_1) | instskip(NEXT) | instid1(VALU_DEP_1)
	v_mul_f32_e32 v2, v100, v2
	v_and_b32_e32 v3, 0x7f800000, v2
	s_wait_xcnt 0x0
	s_delay_alu instid0(VALU_DEP_1)
	v_cmpx_ne_u32_e32 0x7f800000, v3
	s_xor_b32 s20, exec_lo, s20
; %bb.1419:                             ;   in Loop: Header=BB10_1386 Depth=2
	v_bfe_u32 v3, v2, 16, 1
	s_delay_alu instid0(VALU_DEP_1)
	v_add3_u32 v118, v2, v3, 0x7fff
                                        ; implicit-def: $vgpr2
; %bb.1420:                             ;   in Loop: Header=BB10_1386 Depth=2
	s_and_not1_saveexec_b32 s20, s20
; %bb.1421:                             ;   in Loop: Header=BB10_1386 Depth=2
	v_and_b32_e32 v3, 0xffff, v2
	v_or_b32_e32 v86, 0x10000, v2
	s_delay_alu instid0(VALU_DEP_2) | instskip(NEXT) | instid1(VALU_DEP_2)
	v_cmp_eq_u32_e32 vcc_lo, 0, v3
	v_cndmask_b32_e32 v118, v86, v2, vcc_lo
; %bb.1422:                             ;   in Loop: Header=BB10_1386 Depth=2
	s_or_b32 exec_lo, exec_lo, s20
	v_and_b32_e32 v2, 0xffff0000, v10
	s_mov_b32 s20, exec_lo
                                        ; implicit-def: $vgpr119
	s_delay_alu instid0(VALU_DEP_1) | instskip(NEXT) | instid1(VALU_DEP_1)
	v_mul_f32_e32 v2, v100, v2
	v_and_b32_e32 v3, 0x7f800000, v2
	s_delay_alu instid0(VALU_DEP_1)
	v_cmpx_ne_u32_e32 0x7f800000, v3
	s_xor_b32 s20, exec_lo, s20
; %bb.1423:                             ;   in Loop: Header=BB10_1386 Depth=2
	v_bfe_u32 v3, v2, 16, 1
	s_delay_alu instid0(VALU_DEP_1)
	v_add3_u32 v119, v2, v3, 0x7fff
                                        ; implicit-def: $vgpr2
; %bb.1424:                             ;   in Loop: Header=BB10_1386 Depth=2
	s_and_not1_saveexec_b32 s20, s20
; %bb.1425:                             ;   in Loop: Header=BB10_1386 Depth=2
	v_and_b32_e32 v3, 0xffff, v2
	v_or_b32_e32 v10, 0x10000, v2
	s_delay_alu instid0(VALU_DEP_2) | instskip(NEXT) | instid1(VALU_DEP_2)
	v_cmp_eq_u32_e32 vcc_lo, 0, v3
	v_cndmask_b32_e32 v119, v10, v2, vcc_lo
; %bb.1426:                             ;   in Loop: Header=BB10_1386 Depth=2
	s_or_b32 exec_lo, exec_lo, s20
	v_lshlrev_b32_e32 v2, 16, v11
	s_mov_b32 s20, exec_lo
                                        ; implicit-def: $vgpr40
	s_delay_alu instid0(VALU_DEP_1) | instskip(NEXT) | instid1(VALU_DEP_1)
	v_mul_f32_e32 v2, v100, v2
	v_and_b32_e32 v3, 0x7f800000, v2
	s_delay_alu instid0(VALU_DEP_1)
	v_cmpx_ne_u32_e32 0x7f800000, v3
	s_xor_b32 s20, exec_lo, s20
; %bb.1427:                             ;   in Loop: Header=BB10_1386 Depth=2
	v_bfe_u32 v3, v2, 16, 1
	s_delay_alu instid0(VALU_DEP_1)
	v_add3_u32 v40, v2, v3, 0x7fff
                                        ; implicit-def: $vgpr2
; %bb.1428:                             ;   in Loop: Header=BB10_1386 Depth=2
	s_and_not1_saveexec_b32 s20, s20
; %bb.1429:                             ;   in Loop: Header=BB10_1386 Depth=2
	v_and_b32_e32 v3, 0xffff, v2
	v_or_b32_e32 v10, 0x10000, v2
	s_delay_alu instid0(VALU_DEP_2) | instskip(NEXT) | instid1(VALU_DEP_2)
	v_cmp_eq_u32_e32 vcc_lo, 0, v3
	v_cndmask_b32_e32 v40, v10, v2, vcc_lo
; %bb.1430:                             ;   in Loop: Header=BB10_1386 Depth=2
	s_or_b32 exec_lo, exec_lo, s20
	v_and_b32_e32 v2, 0xffff0000, v11
	s_mov_b32 s20, exec_lo
                                        ; implicit-def: $vgpr41
	s_delay_alu instid0(VALU_DEP_1) | instskip(NEXT) | instid1(VALU_DEP_1)
	v_mul_f32_e32 v2, v100, v2
	v_and_b32_e32 v3, 0x7f800000, v2
	s_delay_alu instid0(VALU_DEP_1)
	v_cmpx_ne_u32_e32 0x7f800000, v3
	s_xor_b32 s20, exec_lo, s20
; %bb.1431:                             ;   in Loop: Header=BB10_1386 Depth=2
	v_bfe_u32 v3, v2, 16, 1
	s_delay_alu instid0(VALU_DEP_1)
	v_add3_u32 v41, v2, v3, 0x7fff
                                        ; implicit-def: $vgpr2
; %bb.1432:                             ;   in Loop: Header=BB10_1386 Depth=2
	s_and_not1_saveexec_b32 s20, s20
; %bb.1433:                             ;   in Loop: Header=BB10_1386 Depth=2
	v_and_b32_e32 v3, 0xffff, v2
	v_or_b32_e32 v10, 0x10000, v2
	s_delay_alu instid0(VALU_DEP_2) | instskip(NEXT) | instid1(VALU_DEP_2)
	v_cmp_eq_u32_e32 vcc_lo, 0, v3
	v_cndmask_b32_e32 v41, v10, v2, vcc_lo
; %bb.1434:                             ;   in Loop: Header=BB10_1386 Depth=2
	s_or_b32 exec_lo, exec_lo, s20
	v_lshlrev_b32_e32 v2, 16, v12
	s_mov_b32 s20, exec_lo
                                        ; implicit-def: $vgpr42
	s_delay_alu instid0(VALU_DEP_1) | instskip(NEXT) | instid1(VALU_DEP_1)
	v_mul_f32_e32 v2, v100, v2
	v_and_b32_e32 v3, 0x7f800000, v2
	s_delay_alu instid0(VALU_DEP_1)
	v_cmpx_ne_u32_e32 0x7f800000, v3
	s_xor_b32 s20, exec_lo, s20
; %bb.1435:                             ;   in Loop: Header=BB10_1386 Depth=2
	v_bfe_u32 v3, v2, 16, 1
	s_delay_alu instid0(VALU_DEP_1)
	v_add3_u32 v42, v2, v3, 0x7fff
                                        ; implicit-def: $vgpr2
; %bb.1436:                             ;   in Loop: Header=BB10_1386 Depth=2
	s_and_not1_saveexec_b32 s20, s20
; %bb.1437:                             ;   in Loop: Header=BB10_1386 Depth=2
	v_and_b32_e32 v3, 0xffff, v2
	v_or_b32_e32 v10, 0x10000, v2
	s_delay_alu instid0(VALU_DEP_2) | instskip(NEXT) | instid1(VALU_DEP_2)
	v_cmp_eq_u32_e32 vcc_lo, 0, v3
	v_cndmask_b32_e32 v42, v10, v2, vcc_lo
; %bb.1438:                             ;   in Loop: Header=BB10_1386 Depth=2
	s_or_b32 exec_lo, exec_lo, s20
	v_and_b32_e32 v2, 0xffff0000, v12
	s_mov_b32 s20, exec_lo
                                        ; implicit-def: $vgpr43
	s_delay_alu instid0(VALU_DEP_1) | instskip(NEXT) | instid1(VALU_DEP_1)
	v_mul_f32_e32 v2, v100, v2
	v_and_b32_e32 v3, 0x7f800000, v2
	s_delay_alu instid0(VALU_DEP_1)
	v_cmpx_ne_u32_e32 0x7f800000, v3
	s_xor_b32 s20, exec_lo, s20
; %bb.1439:                             ;   in Loop: Header=BB10_1386 Depth=2
	v_bfe_u32 v3, v2, 16, 1
	s_delay_alu instid0(VALU_DEP_1)
	v_add3_u32 v43, v2, v3, 0x7fff
                                        ; implicit-def: $vgpr2
; %bb.1440:                             ;   in Loop: Header=BB10_1386 Depth=2
	s_and_not1_saveexec_b32 s20, s20
; %bb.1441:                             ;   in Loop: Header=BB10_1386 Depth=2
	v_and_b32_e32 v3, 0xffff, v2
	v_or_b32_e32 v10, 0x10000, v2
	s_delay_alu instid0(VALU_DEP_2) | instskip(NEXT) | instid1(VALU_DEP_2)
	v_cmp_eq_u32_e32 vcc_lo, 0, v3
	v_cndmask_b32_e32 v43, v10, v2, vcc_lo
; %bb.1442:                             ;   in Loop: Header=BB10_1386 Depth=2
	s_or_b32 exec_lo, exec_lo, s20
	v_lshlrev_b32_e32 v2, 16, v13
	s_mov_b32 s20, exec_lo
                                        ; implicit-def: $vgpr44
	s_delay_alu instid0(VALU_DEP_1) | instskip(NEXT) | instid1(VALU_DEP_1)
	v_mul_f32_e32 v2, v100, v2
	v_and_b32_e32 v3, 0x7f800000, v2
	s_delay_alu instid0(VALU_DEP_1)
	v_cmpx_ne_u32_e32 0x7f800000, v3
	s_xor_b32 s20, exec_lo, s20
; %bb.1443:                             ;   in Loop: Header=BB10_1386 Depth=2
	v_bfe_u32 v3, v2, 16, 1
	s_delay_alu instid0(VALU_DEP_1)
	v_add3_u32 v44, v2, v3, 0x7fff
                                        ; implicit-def: $vgpr2
; %bb.1444:                             ;   in Loop: Header=BB10_1386 Depth=2
	s_and_not1_saveexec_b32 s20, s20
; %bb.1445:                             ;   in Loop: Header=BB10_1386 Depth=2
	v_and_b32_e32 v3, 0xffff, v2
	v_or_b32_e32 v10, 0x10000, v2
	s_delay_alu instid0(VALU_DEP_2) | instskip(NEXT) | instid1(VALU_DEP_2)
	v_cmp_eq_u32_e32 vcc_lo, 0, v3
	v_cndmask_b32_e32 v44, v10, v2, vcc_lo
; %bb.1446:                             ;   in Loop: Header=BB10_1386 Depth=2
	s_or_b32 exec_lo, exec_lo, s20
	v_and_b32_e32 v2, 0xffff0000, v13
	s_mov_b32 s20, exec_lo
                                        ; implicit-def: $vgpr45
	s_delay_alu instid0(VALU_DEP_1) | instskip(NEXT) | instid1(VALU_DEP_1)
	v_mul_f32_e32 v2, v100, v2
	v_and_b32_e32 v3, 0x7f800000, v2
	s_delay_alu instid0(VALU_DEP_1)
	v_cmpx_ne_u32_e32 0x7f800000, v3
	s_xor_b32 s20, exec_lo, s20
; %bb.1447:                             ;   in Loop: Header=BB10_1386 Depth=2
	v_bfe_u32 v3, v2, 16, 1
	s_delay_alu instid0(VALU_DEP_1)
	v_add3_u32 v45, v2, v3, 0x7fff
                                        ; implicit-def: $vgpr2
; %bb.1448:                             ;   in Loop: Header=BB10_1386 Depth=2
	s_and_not1_saveexec_b32 s20, s20
; %bb.1449:                             ;   in Loop: Header=BB10_1386 Depth=2
	v_and_b32_e32 v3, 0xffff, v2
	v_or_b32_e32 v10, 0x10000, v2
	s_delay_alu instid0(VALU_DEP_2) | instskip(NEXT) | instid1(VALU_DEP_2)
	v_cmp_eq_u32_e32 vcc_lo, 0, v3
	v_cndmask_b32_e32 v45, v10, v2, vcc_lo
; %bb.1450:                             ;   in Loop: Header=BB10_1386 Depth=2
	s_or_b32 exec_lo, exec_lo, s20
	global_load_b128 v[10:13], v[84:85], off offset:1024 th:TH_LOAD_NT
	s_mov_b32 s20, exec_lo
                                        ; implicit-def: $vgpr46
	s_wait_loadcnt 0x0
	v_lshlrev_b32_e32 v2, 16, v10
	s_delay_alu instid0(VALU_DEP_1) | instskip(NEXT) | instid1(VALU_DEP_1)
	v_mul_f32_e32 v2, v100, v2
	v_and_b32_e32 v3, 0x7f800000, v2
	s_wait_xcnt 0x0
	s_delay_alu instid0(VALU_DEP_1)
	v_cmpx_ne_u32_e32 0x7f800000, v3
	s_xor_b32 s20, exec_lo, s20
; %bb.1451:                             ;   in Loop: Header=BB10_1386 Depth=2
	v_bfe_u32 v3, v2, 16, 1
	s_delay_alu instid0(VALU_DEP_1)
	v_add3_u32 v46, v2, v3, 0x7fff
                                        ; implicit-def: $vgpr2
; %bb.1452:                             ;   in Loop: Header=BB10_1386 Depth=2
	s_and_not1_saveexec_b32 s20, s20
; %bb.1453:                             ;   in Loop: Header=BB10_1386 Depth=2
	v_and_b32_e32 v3, 0xffff, v2
	v_or_b32_e32 v86, 0x10000, v2
	s_delay_alu instid0(VALU_DEP_2) | instskip(NEXT) | instid1(VALU_DEP_2)
	v_cmp_eq_u32_e32 vcc_lo, 0, v3
	v_cndmask_b32_e32 v46, v86, v2, vcc_lo
; %bb.1454:                             ;   in Loop: Header=BB10_1386 Depth=2
	s_or_b32 exec_lo, exec_lo, s20
	v_and_b32_e32 v2, 0xffff0000, v10
	s_mov_b32 s20, exec_lo
                                        ; implicit-def: $vgpr47
	s_delay_alu instid0(VALU_DEP_1) | instskip(NEXT) | instid1(VALU_DEP_1)
	v_mul_f32_e32 v2, v100, v2
	v_and_b32_e32 v3, 0x7f800000, v2
	s_delay_alu instid0(VALU_DEP_1)
	v_cmpx_ne_u32_e32 0x7f800000, v3
	s_xor_b32 s20, exec_lo, s20
; %bb.1455:                             ;   in Loop: Header=BB10_1386 Depth=2
	v_bfe_u32 v3, v2, 16, 1
	s_delay_alu instid0(VALU_DEP_1)
	v_add3_u32 v47, v2, v3, 0x7fff
                                        ; implicit-def: $vgpr2
; %bb.1456:                             ;   in Loop: Header=BB10_1386 Depth=2
	s_and_not1_saveexec_b32 s20, s20
; %bb.1457:                             ;   in Loop: Header=BB10_1386 Depth=2
	v_and_b32_e32 v3, 0xffff, v2
	v_or_b32_e32 v10, 0x10000, v2
	s_delay_alu instid0(VALU_DEP_2) | instskip(NEXT) | instid1(VALU_DEP_2)
	v_cmp_eq_u32_e32 vcc_lo, 0, v3
	v_cndmask_b32_e32 v47, v10, v2, vcc_lo
; %bb.1458:                             ;   in Loop: Header=BB10_1386 Depth=2
	s_or_b32 exec_lo, exec_lo, s20
	v_lshlrev_b32_e32 v2, 16, v11
	s_mov_b32 s20, exec_lo
                                        ; implicit-def: $vgpr56
	s_delay_alu instid0(VALU_DEP_1) | instskip(NEXT) | instid1(VALU_DEP_1)
	v_mul_f32_e32 v2, v100, v2
	v_and_b32_e32 v3, 0x7f800000, v2
	s_delay_alu instid0(VALU_DEP_1)
	v_cmpx_ne_u32_e32 0x7f800000, v3
	s_xor_b32 s20, exec_lo, s20
; %bb.1459:                             ;   in Loop: Header=BB10_1386 Depth=2
	v_bfe_u32 v3, v2, 16, 1
	s_delay_alu instid0(VALU_DEP_1)
	v_add3_u32 v56, v2, v3, 0x7fff
                                        ; implicit-def: $vgpr2
; %bb.1460:                             ;   in Loop: Header=BB10_1386 Depth=2
	s_and_not1_saveexec_b32 s20, s20
; %bb.1461:                             ;   in Loop: Header=BB10_1386 Depth=2
	v_and_b32_e32 v3, 0xffff, v2
	v_or_b32_e32 v10, 0x10000, v2
	s_delay_alu instid0(VALU_DEP_2) | instskip(NEXT) | instid1(VALU_DEP_2)
	v_cmp_eq_u32_e32 vcc_lo, 0, v3
	v_cndmask_b32_e32 v56, v10, v2, vcc_lo
; %bb.1462:                             ;   in Loop: Header=BB10_1386 Depth=2
	s_or_b32 exec_lo, exec_lo, s20
	v_and_b32_e32 v2, 0xffff0000, v11
	s_mov_b32 s20, exec_lo
                                        ; implicit-def: $vgpr57
	s_delay_alu instid0(VALU_DEP_1) | instskip(NEXT) | instid1(VALU_DEP_1)
	v_mul_f32_e32 v2, v100, v2
	v_and_b32_e32 v3, 0x7f800000, v2
	s_delay_alu instid0(VALU_DEP_1)
	v_cmpx_ne_u32_e32 0x7f800000, v3
	s_xor_b32 s20, exec_lo, s20
; %bb.1463:                             ;   in Loop: Header=BB10_1386 Depth=2
	v_bfe_u32 v3, v2, 16, 1
	s_delay_alu instid0(VALU_DEP_1)
	v_add3_u32 v57, v2, v3, 0x7fff
                                        ; implicit-def: $vgpr2
; %bb.1464:                             ;   in Loop: Header=BB10_1386 Depth=2
	s_and_not1_saveexec_b32 s20, s20
; %bb.1465:                             ;   in Loop: Header=BB10_1386 Depth=2
	v_and_b32_e32 v3, 0xffff, v2
	v_or_b32_e32 v10, 0x10000, v2
	s_delay_alu instid0(VALU_DEP_2) | instskip(NEXT) | instid1(VALU_DEP_2)
	v_cmp_eq_u32_e32 vcc_lo, 0, v3
	v_cndmask_b32_e32 v57, v10, v2, vcc_lo
; %bb.1466:                             ;   in Loop: Header=BB10_1386 Depth=2
	s_or_b32 exec_lo, exec_lo, s20
	v_lshlrev_b32_e32 v2, 16, v12
	s_mov_b32 s20, exec_lo
                                        ; implicit-def: $vgpr58
	s_delay_alu instid0(VALU_DEP_1) | instskip(NEXT) | instid1(VALU_DEP_1)
	v_mul_f32_e32 v2, v100, v2
	v_and_b32_e32 v3, 0x7f800000, v2
	s_delay_alu instid0(VALU_DEP_1)
	v_cmpx_ne_u32_e32 0x7f800000, v3
	s_xor_b32 s20, exec_lo, s20
; %bb.1467:                             ;   in Loop: Header=BB10_1386 Depth=2
	v_bfe_u32 v3, v2, 16, 1
	s_delay_alu instid0(VALU_DEP_1)
	v_add3_u32 v58, v2, v3, 0x7fff
                                        ; implicit-def: $vgpr2
; %bb.1468:                             ;   in Loop: Header=BB10_1386 Depth=2
	s_and_not1_saveexec_b32 s20, s20
; %bb.1469:                             ;   in Loop: Header=BB10_1386 Depth=2
	v_and_b32_e32 v3, 0xffff, v2
	v_or_b32_e32 v10, 0x10000, v2
	s_delay_alu instid0(VALU_DEP_2) | instskip(NEXT) | instid1(VALU_DEP_2)
	v_cmp_eq_u32_e32 vcc_lo, 0, v3
	v_cndmask_b32_e32 v58, v10, v2, vcc_lo
; %bb.1470:                             ;   in Loop: Header=BB10_1386 Depth=2
	s_or_b32 exec_lo, exec_lo, s20
	v_and_b32_e32 v2, 0xffff0000, v12
	s_mov_b32 s20, exec_lo
                                        ; implicit-def: $vgpr59
	s_delay_alu instid0(VALU_DEP_1) | instskip(NEXT) | instid1(VALU_DEP_1)
	v_mul_f32_e32 v2, v100, v2
	v_and_b32_e32 v3, 0x7f800000, v2
	s_delay_alu instid0(VALU_DEP_1)
	v_cmpx_ne_u32_e32 0x7f800000, v3
	s_xor_b32 s20, exec_lo, s20
; %bb.1471:                             ;   in Loop: Header=BB10_1386 Depth=2
	v_bfe_u32 v3, v2, 16, 1
	s_delay_alu instid0(VALU_DEP_1)
	v_add3_u32 v59, v2, v3, 0x7fff
                                        ; implicit-def: $vgpr2
; %bb.1472:                             ;   in Loop: Header=BB10_1386 Depth=2
	s_and_not1_saveexec_b32 s20, s20
; %bb.1473:                             ;   in Loop: Header=BB10_1386 Depth=2
	v_and_b32_e32 v3, 0xffff, v2
	v_or_b32_e32 v10, 0x10000, v2
	s_delay_alu instid0(VALU_DEP_2) | instskip(NEXT) | instid1(VALU_DEP_2)
	v_cmp_eq_u32_e32 vcc_lo, 0, v3
	v_cndmask_b32_e32 v59, v10, v2, vcc_lo
; %bb.1474:                             ;   in Loop: Header=BB10_1386 Depth=2
	s_or_b32 exec_lo, exec_lo, s20
	v_lshlrev_b32_e32 v2, 16, v13
	s_mov_b32 s20, exec_lo
                                        ; implicit-def: $vgpr60
	s_delay_alu instid0(VALU_DEP_1) | instskip(NEXT) | instid1(VALU_DEP_1)
	v_mul_f32_e32 v2, v100, v2
	v_and_b32_e32 v3, 0x7f800000, v2
	s_delay_alu instid0(VALU_DEP_1)
	v_cmpx_ne_u32_e32 0x7f800000, v3
	s_xor_b32 s20, exec_lo, s20
; %bb.1475:                             ;   in Loop: Header=BB10_1386 Depth=2
	v_bfe_u32 v3, v2, 16, 1
	s_delay_alu instid0(VALU_DEP_1)
	v_add3_u32 v60, v2, v3, 0x7fff
                                        ; implicit-def: $vgpr2
; %bb.1476:                             ;   in Loop: Header=BB10_1386 Depth=2
	s_and_not1_saveexec_b32 s20, s20
; %bb.1477:                             ;   in Loop: Header=BB10_1386 Depth=2
	v_and_b32_e32 v3, 0xffff, v2
	v_or_b32_e32 v10, 0x10000, v2
	s_delay_alu instid0(VALU_DEP_2) | instskip(NEXT) | instid1(VALU_DEP_2)
	v_cmp_eq_u32_e32 vcc_lo, 0, v3
	v_cndmask_b32_e32 v60, v10, v2, vcc_lo
; %bb.1478:                             ;   in Loop: Header=BB10_1386 Depth=2
	s_or_b32 exec_lo, exec_lo, s20
	v_and_b32_e32 v2, 0xffff0000, v13
	s_mov_b32 s20, exec_lo
                                        ; implicit-def: $vgpr61
	s_delay_alu instid0(VALU_DEP_1) | instskip(NEXT) | instid1(VALU_DEP_1)
	v_mul_f32_e32 v2, v100, v2
	v_and_b32_e32 v3, 0x7f800000, v2
	s_delay_alu instid0(VALU_DEP_1)
	v_cmpx_ne_u32_e32 0x7f800000, v3
	s_xor_b32 s20, exec_lo, s20
; %bb.1479:                             ;   in Loop: Header=BB10_1386 Depth=2
	v_bfe_u32 v3, v2, 16, 1
	s_delay_alu instid0(VALU_DEP_1)
	v_add3_u32 v61, v2, v3, 0x7fff
                                        ; implicit-def: $vgpr2
; %bb.1480:                             ;   in Loop: Header=BB10_1386 Depth=2
	s_and_not1_saveexec_b32 s20, s20
; %bb.1481:                             ;   in Loop: Header=BB10_1386 Depth=2
	v_and_b32_e32 v3, 0xffff, v2
	v_or_b32_e32 v10, 0x10000, v2
	s_delay_alu instid0(VALU_DEP_2) | instskip(NEXT) | instid1(VALU_DEP_2)
	v_cmp_eq_u32_e32 vcc_lo, 0, v3
	v_cndmask_b32_e32 v61, v10, v2, vcc_lo
; %bb.1482:                             ;   in Loop: Header=BB10_1386 Depth=2
	s_or_b32 exec_lo, exec_lo, s20
	global_load_b128 v[10:13], v[84:85], off offset:1536 th:TH_LOAD_NT
	s_mov_b32 s20, exec_lo
                                        ; implicit-def: $vgpr62
	s_wait_loadcnt 0x0
	v_lshlrev_b32_e32 v2, 16, v10
	s_delay_alu instid0(VALU_DEP_1) | instskip(NEXT) | instid1(VALU_DEP_1)
	v_mul_f32_e32 v2, v100, v2
	v_and_b32_e32 v3, 0x7f800000, v2
	s_wait_xcnt 0x0
	s_delay_alu instid0(VALU_DEP_1)
	v_cmpx_ne_u32_e32 0x7f800000, v3
	s_xor_b32 s20, exec_lo, s20
; %bb.1483:                             ;   in Loop: Header=BB10_1386 Depth=2
	v_bfe_u32 v3, v2, 16, 1
	s_delay_alu instid0(VALU_DEP_1)
	v_add3_u32 v62, v2, v3, 0x7fff
                                        ; implicit-def: $vgpr2
; %bb.1484:                             ;   in Loop: Header=BB10_1386 Depth=2
	s_and_not1_saveexec_b32 s20, s20
; %bb.1485:                             ;   in Loop: Header=BB10_1386 Depth=2
	v_and_b32_e32 v3, 0xffff, v2
	v_or_b32_e32 v86, 0x10000, v2
	s_delay_alu instid0(VALU_DEP_2) | instskip(NEXT) | instid1(VALU_DEP_2)
	v_cmp_eq_u32_e32 vcc_lo, 0, v3
	v_cndmask_b32_e32 v62, v86, v2, vcc_lo
; %bb.1486:                             ;   in Loop: Header=BB10_1386 Depth=2
	s_or_b32 exec_lo, exec_lo, s20
	v_and_b32_e32 v2, 0xffff0000, v10
	s_mov_b32 s20, exec_lo
                                        ; implicit-def: $vgpr63
	s_delay_alu instid0(VALU_DEP_1) | instskip(NEXT) | instid1(VALU_DEP_1)
	v_mul_f32_e32 v2, v100, v2
	v_and_b32_e32 v3, 0x7f800000, v2
	s_delay_alu instid0(VALU_DEP_1)
	v_cmpx_ne_u32_e32 0x7f800000, v3
	s_xor_b32 s20, exec_lo, s20
; %bb.1487:                             ;   in Loop: Header=BB10_1386 Depth=2
	v_bfe_u32 v3, v2, 16, 1
	s_delay_alu instid0(VALU_DEP_1)
	v_add3_u32 v63, v2, v3, 0x7fff
                                        ; implicit-def: $vgpr2
; %bb.1488:                             ;   in Loop: Header=BB10_1386 Depth=2
	s_and_not1_saveexec_b32 s20, s20
; %bb.1489:                             ;   in Loop: Header=BB10_1386 Depth=2
	v_and_b32_e32 v3, 0xffff, v2
	v_or_b32_e32 v10, 0x10000, v2
	s_delay_alu instid0(VALU_DEP_2) | instskip(NEXT) | instid1(VALU_DEP_2)
	v_cmp_eq_u32_e32 vcc_lo, 0, v3
	v_cndmask_b32_e32 v63, v10, v2, vcc_lo
; %bb.1490:                             ;   in Loop: Header=BB10_1386 Depth=2
	s_or_b32 exec_lo, exec_lo, s20
	v_lshlrev_b32_e32 v2, 16, v11
	s_mov_b32 s20, exec_lo
                                        ; implicit-def: $vgpr72
	s_delay_alu instid0(VALU_DEP_1) | instskip(NEXT) | instid1(VALU_DEP_1)
	v_mul_f32_e32 v2, v100, v2
	v_and_b32_e32 v3, 0x7f800000, v2
	s_delay_alu instid0(VALU_DEP_1)
	v_cmpx_ne_u32_e32 0x7f800000, v3
	s_xor_b32 s20, exec_lo, s20
; %bb.1491:                             ;   in Loop: Header=BB10_1386 Depth=2
	v_bfe_u32 v3, v2, 16, 1
	s_delay_alu instid0(VALU_DEP_1)
	v_add3_u32 v72, v2, v3, 0x7fff
                                        ; implicit-def: $vgpr2
; %bb.1492:                             ;   in Loop: Header=BB10_1386 Depth=2
	s_and_not1_saveexec_b32 s20, s20
; %bb.1493:                             ;   in Loop: Header=BB10_1386 Depth=2
	v_and_b32_e32 v3, 0xffff, v2
	v_or_b32_e32 v10, 0x10000, v2
	s_delay_alu instid0(VALU_DEP_2) | instskip(NEXT) | instid1(VALU_DEP_2)
	v_cmp_eq_u32_e32 vcc_lo, 0, v3
	v_cndmask_b32_e32 v72, v10, v2, vcc_lo
; %bb.1494:                             ;   in Loop: Header=BB10_1386 Depth=2
	s_or_b32 exec_lo, exec_lo, s20
	v_and_b32_e32 v2, 0xffff0000, v11
	s_mov_b32 s20, exec_lo
                                        ; implicit-def: $vgpr73
	s_delay_alu instid0(VALU_DEP_1) | instskip(NEXT) | instid1(VALU_DEP_1)
	v_mul_f32_e32 v2, v100, v2
	v_and_b32_e32 v3, 0x7f800000, v2
	s_delay_alu instid0(VALU_DEP_1)
	v_cmpx_ne_u32_e32 0x7f800000, v3
	s_xor_b32 s20, exec_lo, s20
; %bb.1495:                             ;   in Loop: Header=BB10_1386 Depth=2
	v_bfe_u32 v3, v2, 16, 1
	s_delay_alu instid0(VALU_DEP_1)
	v_add3_u32 v73, v2, v3, 0x7fff
                                        ; implicit-def: $vgpr2
; %bb.1496:                             ;   in Loop: Header=BB10_1386 Depth=2
	s_and_not1_saveexec_b32 s20, s20
; %bb.1497:                             ;   in Loop: Header=BB10_1386 Depth=2
	v_and_b32_e32 v3, 0xffff, v2
	v_or_b32_e32 v10, 0x10000, v2
	s_delay_alu instid0(VALU_DEP_2) | instskip(NEXT) | instid1(VALU_DEP_2)
	v_cmp_eq_u32_e32 vcc_lo, 0, v3
	v_cndmask_b32_e32 v73, v10, v2, vcc_lo
; %bb.1498:                             ;   in Loop: Header=BB10_1386 Depth=2
	s_or_b32 exec_lo, exec_lo, s20
	v_lshlrev_b32_e32 v2, 16, v12
	s_mov_b32 s20, exec_lo
                                        ; implicit-def: $vgpr74
	s_delay_alu instid0(VALU_DEP_1) | instskip(NEXT) | instid1(VALU_DEP_1)
	v_mul_f32_e32 v2, v100, v2
	v_and_b32_e32 v3, 0x7f800000, v2
	s_delay_alu instid0(VALU_DEP_1)
	v_cmpx_ne_u32_e32 0x7f800000, v3
	s_xor_b32 s20, exec_lo, s20
; %bb.1499:                             ;   in Loop: Header=BB10_1386 Depth=2
	v_bfe_u32 v3, v2, 16, 1
	s_delay_alu instid0(VALU_DEP_1)
	v_add3_u32 v74, v2, v3, 0x7fff
                                        ; implicit-def: $vgpr2
; %bb.1500:                             ;   in Loop: Header=BB10_1386 Depth=2
	s_and_not1_saveexec_b32 s20, s20
; %bb.1501:                             ;   in Loop: Header=BB10_1386 Depth=2
	v_and_b32_e32 v3, 0xffff, v2
	v_or_b32_e32 v10, 0x10000, v2
	s_delay_alu instid0(VALU_DEP_2) | instskip(NEXT) | instid1(VALU_DEP_2)
	v_cmp_eq_u32_e32 vcc_lo, 0, v3
	v_cndmask_b32_e32 v74, v10, v2, vcc_lo
; %bb.1502:                             ;   in Loop: Header=BB10_1386 Depth=2
	s_or_b32 exec_lo, exec_lo, s20
	v_and_b32_e32 v2, 0xffff0000, v12
	s_mov_b32 s20, exec_lo
                                        ; implicit-def: $vgpr75
	s_delay_alu instid0(VALU_DEP_1) | instskip(NEXT) | instid1(VALU_DEP_1)
	v_mul_f32_e32 v2, v100, v2
	v_and_b32_e32 v3, 0x7f800000, v2
	s_delay_alu instid0(VALU_DEP_1)
	v_cmpx_ne_u32_e32 0x7f800000, v3
	s_xor_b32 s20, exec_lo, s20
; %bb.1503:                             ;   in Loop: Header=BB10_1386 Depth=2
	v_bfe_u32 v3, v2, 16, 1
	s_delay_alu instid0(VALU_DEP_1)
	v_add3_u32 v75, v2, v3, 0x7fff
                                        ; implicit-def: $vgpr2
; %bb.1504:                             ;   in Loop: Header=BB10_1386 Depth=2
	s_and_not1_saveexec_b32 s20, s20
; %bb.1505:                             ;   in Loop: Header=BB10_1386 Depth=2
	v_and_b32_e32 v3, 0xffff, v2
	v_or_b32_e32 v10, 0x10000, v2
	s_delay_alu instid0(VALU_DEP_2) | instskip(NEXT) | instid1(VALU_DEP_2)
	v_cmp_eq_u32_e32 vcc_lo, 0, v3
	v_cndmask_b32_e32 v75, v10, v2, vcc_lo
; %bb.1506:                             ;   in Loop: Header=BB10_1386 Depth=2
	s_or_b32 exec_lo, exec_lo, s20
	v_lshlrev_b32_e32 v2, 16, v13
	s_mov_b32 s20, exec_lo
                                        ; implicit-def: $vgpr76
	s_delay_alu instid0(VALU_DEP_1) | instskip(NEXT) | instid1(VALU_DEP_1)
	v_mul_f32_e32 v2, v100, v2
	v_and_b32_e32 v3, 0x7f800000, v2
	s_delay_alu instid0(VALU_DEP_1)
	v_cmpx_ne_u32_e32 0x7f800000, v3
	s_xor_b32 s20, exec_lo, s20
; %bb.1507:                             ;   in Loop: Header=BB10_1386 Depth=2
	v_bfe_u32 v3, v2, 16, 1
	s_delay_alu instid0(VALU_DEP_1)
	v_add3_u32 v76, v2, v3, 0x7fff
                                        ; implicit-def: $vgpr2
; %bb.1508:                             ;   in Loop: Header=BB10_1386 Depth=2
	s_and_not1_saveexec_b32 s20, s20
; %bb.1509:                             ;   in Loop: Header=BB10_1386 Depth=2
	v_and_b32_e32 v3, 0xffff, v2
	v_or_b32_e32 v10, 0x10000, v2
	s_delay_alu instid0(VALU_DEP_2) | instskip(NEXT) | instid1(VALU_DEP_2)
	v_cmp_eq_u32_e32 vcc_lo, 0, v3
	v_cndmask_b32_e32 v76, v10, v2, vcc_lo
; %bb.1510:                             ;   in Loop: Header=BB10_1386 Depth=2
	s_or_b32 exec_lo, exec_lo, s20
	v_and_b32_e32 v2, 0xffff0000, v13
	s_mov_b32 s20, exec_lo
                                        ; implicit-def: $vgpr77
	s_delay_alu instid0(VALU_DEP_1) | instskip(NEXT) | instid1(VALU_DEP_1)
	v_mul_f32_e32 v2, v100, v2
	v_and_b32_e32 v3, 0x7f800000, v2
	s_delay_alu instid0(VALU_DEP_1)
	v_cmpx_ne_u32_e32 0x7f800000, v3
	s_xor_b32 s20, exec_lo, s20
; %bb.1511:                             ;   in Loop: Header=BB10_1386 Depth=2
	v_bfe_u32 v3, v2, 16, 1
	s_delay_alu instid0(VALU_DEP_1)
	v_add3_u32 v77, v2, v3, 0x7fff
                                        ; implicit-def: $vgpr2
; %bb.1512:                             ;   in Loop: Header=BB10_1386 Depth=2
	s_and_not1_saveexec_b32 s20, s20
; %bb.1513:                             ;   in Loop: Header=BB10_1386 Depth=2
	v_and_b32_e32 v3, 0xffff, v2
	v_or_b32_e32 v10, 0x10000, v2
	s_delay_alu instid0(VALU_DEP_2) | instskip(NEXT) | instid1(VALU_DEP_2)
	v_cmp_eq_u32_e32 vcc_lo, 0, v3
	v_cndmask_b32_e32 v77, v10, v2, vcc_lo
; %bb.1514:                             ;   in Loop: Header=BB10_1386 Depth=2
	s_or_b32 exec_lo, exec_lo, s20
	global_load_b128 v[10:13], v[84:85], off offset:2048 th:TH_LOAD_NT
	s_mov_b32 s20, exec_lo
                                        ; implicit-def: $vgpr78
	s_wait_loadcnt 0x0
	v_lshlrev_b32_e32 v2, 16, v10
	s_delay_alu instid0(VALU_DEP_1) | instskip(NEXT) | instid1(VALU_DEP_1)
	v_mul_f32_e32 v2, v100, v2
	v_and_b32_e32 v3, 0x7f800000, v2
	s_wait_xcnt 0x0
	s_delay_alu instid0(VALU_DEP_1)
	v_cmpx_ne_u32_e32 0x7f800000, v3
	s_xor_b32 s20, exec_lo, s20
; %bb.1515:                             ;   in Loop: Header=BB10_1386 Depth=2
	v_bfe_u32 v3, v2, 16, 1
	s_delay_alu instid0(VALU_DEP_1)
	v_add3_u32 v78, v2, v3, 0x7fff
                                        ; implicit-def: $vgpr2
; %bb.1516:                             ;   in Loop: Header=BB10_1386 Depth=2
	s_and_not1_saveexec_b32 s20, s20
; %bb.1517:                             ;   in Loop: Header=BB10_1386 Depth=2
	v_and_b32_e32 v3, 0xffff, v2
	v_or_b32_e32 v86, 0x10000, v2
	s_delay_alu instid0(VALU_DEP_2) | instskip(NEXT) | instid1(VALU_DEP_2)
	v_cmp_eq_u32_e32 vcc_lo, 0, v3
	v_cndmask_b32_e32 v78, v86, v2, vcc_lo
; %bb.1518:                             ;   in Loop: Header=BB10_1386 Depth=2
	s_or_b32 exec_lo, exec_lo, s20
	v_and_b32_e32 v2, 0xffff0000, v10
	s_mov_b32 s20, exec_lo
                                        ; implicit-def: $vgpr79
	s_delay_alu instid0(VALU_DEP_1) | instskip(NEXT) | instid1(VALU_DEP_1)
	v_mul_f32_e32 v2, v100, v2
	v_and_b32_e32 v3, 0x7f800000, v2
	s_delay_alu instid0(VALU_DEP_1)
	v_cmpx_ne_u32_e32 0x7f800000, v3
	s_xor_b32 s20, exec_lo, s20
; %bb.1519:                             ;   in Loop: Header=BB10_1386 Depth=2
	v_bfe_u32 v3, v2, 16, 1
	s_delay_alu instid0(VALU_DEP_1)
	v_add3_u32 v79, v2, v3, 0x7fff
                                        ; implicit-def: $vgpr2
; %bb.1520:                             ;   in Loop: Header=BB10_1386 Depth=2
	s_and_not1_saveexec_b32 s20, s20
; %bb.1521:                             ;   in Loop: Header=BB10_1386 Depth=2
	v_and_b32_e32 v3, 0xffff, v2
	v_or_b32_e32 v10, 0x10000, v2
	s_delay_alu instid0(VALU_DEP_2) | instskip(NEXT) | instid1(VALU_DEP_2)
	v_cmp_eq_u32_e32 vcc_lo, 0, v3
	v_cndmask_b32_e32 v79, v10, v2, vcc_lo
; %bb.1522:                             ;   in Loop: Header=BB10_1386 Depth=2
	s_or_b32 exec_lo, exec_lo, s20
	v_lshlrev_b32_e32 v2, 16, v11
	s_mov_b32 s20, exec_lo
                                        ; implicit-def: $vgpr88
	s_delay_alu instid0(VALU_DEP_1) | instskip(NEXT) | instid1(VALU_DEP_1)
	v_mul_f32_e32 v2, v100, v2
	v_and_b32_e32 v3, 0x7f800000, v2
	s_delay_alu instid0(VALU_DEP_1)
	v_cmpx_ne_u32_e32 0x7f800000, v3
	s_xor_b32 s20, exec_lo, s20
; %bb.1523:                             ;   in Loop: Header=BB10_1386 Depth=2
	v_bfe_u32 v3, v2, 16, 1
	s_delay_alu instid0(VALU_DEP_1)
	v_add3_u32 v88, v2, v3, 0x7fff
                                        ; implicit-def: $vgpr2
; %bb.1524:                             ;   in Loop: Header=BB10_1386 Depth=2
	s_and_not1_saveexec_b32 s20, s20
; %bb.1525:                             ;   in Loop: Header=BB10_1386 Depth=2
	v_and_b32_e32 v3, 0xffff, v2
	v_or_b32_e32 v10, 0x10000, v2
	s_delay_alu instid0(VALU_DEP_2) | instskip(NEXT) | instid1(VALU_DEP_2)
	v_cmp_eq_u32_e32 vcc_lo, 0, v3
	v_cndmask_b32_e32 v88, v10, v2, vcc_lo
; %bb.1526:                             ;   in Loop: Header=BB10_1386 Depth=2
	s_or_b32 exec_lo, exec_lo, s20
	v_and_b32_e32 v2, 0xffff0000, v11
	s_mov_b32 s20, exec_lo
                                        ; implicit-def: $vgpr89
	s_delay_alu instid0(VALU_DEP_1) | instskip(NEXT) | instid1(VALU_DEP_1)
	v_mul_f32_e32 v2, v100, v2
	v_and_b32_e32 v3, 0x7f800000, v2
	s_delay_alu instid0(VALU_DEP_1)
	v_cmpx_ne_u32_e32 0x7f800000, v3
	s_xor_b32 s20, exec_lo, s20
; %bb.1527:                             ;   in Loop: Header=BB10_1386 Depth=2
	v_bfe_u32 v3, v2, 16, 1
	s_delay_alu instid0(VALU_DEP_1)
	v_add3_u32 v89, v2, v3, 0x7fff
                                        ; implicit-def: $vgpr2
; %bb.1528:                             ;   in Loop: Header=BB10_1386 Depth=2
	s_and_not1_saveexec_b32 s20, s20
; %bb.1529:                             ;   in Loop: Header=BB10_1386 Depth=2
	v_and_b32_e32 v3, 0xffff, v2
	v_or_b32_e32 v10, 0x10000, v2
	s_delay_alu instid0(VALU_DEP_2) | instskip(NEXT) | instid1(VALU_DEP_2)
	v_cmp_eq_u32_e32 vcc_lo, 0, v3
	v_cndmask_b32_e32 v89, v10, v2, vcc_lo
; %bb.1530:                             ;   in Loop: Header=BB10_1386 Depth=2
	s_or_b32 exec_lo, exec_lo, s20
	v_lshlrev_b32_e32 v2, 16, v12
	s_mov_b32 s20, exec_lo
                                        ; implicit-def: $vgpr90
	s_delay_alu instid0(VALU_DEP_1) | instskip(NEXT) | instid1(VALU_DEP_1)
	v_mul_f32_e32 v2, v100, v2
	v_and_b32_e32 v3, 0x7f800000, v2
	s_delay_alu instid0(VALU_DEP_1)
	v_cmpx_ne_u32_e32 0x7f800000, v3
	s_xor_b32 s20, exec_lo, s20
; %bb.1531:                             ;   in Loop: Header=BB10_1386 Depth=2
	v_bfe_u32 v3, v2, 16, 1
	s_delay_alu instid0(VALU_DEP_1)
	v_add3_u32 v90, v2, v3, 0x7fff
                                        ; implicit-def: $vgpr2
; %bb.1532:                             ;   in Loop: Header=BB10_1386 Depth=2
	s_and_not1_saveexec_b32 s20, s20
; %bb.1533:                             ;   in Loop: Header=BB10_1386 Depth=2
	v_and_b32_e32 v3, 0xffff, v2
	v_or_b32_e32 v10, 0x10000, v2
	s_delay_alu instid0(VALU_DEP_2) | instskip(NEXT) | instid1(VALU_DEP_2)
	v_cmp_eq_u32_e32 vcc_lo, 0, v3
	v_cndmask_b32_e32 v90, v10, v2, vcc_lo
; %bb.1534:                             ;   in Loop: Header=BB10_1386 Depth=2
	s_or_b32 exec_lo, exec_lo, s20
	v_and_b32_e32 v2, 0xffff0000, v12
	s_mov_b32 s20, exec_lo
                                        ; implicit-def: $vgpr91
	s_delay_alu instid0(VALU_DEP_1) | instskip(NEXT) | instid1(VALU_DEP_1)
	v_mul_f32_e32 v2, v100, v2
	v_and_b32_e32 v3, 0x7f800000, v2
	s_delay_alu instid0(VALU_DEP_1)
	v_cmpx_ne_u32_e32 0x7f800000, v3
	s_xor_b32 s20, exec_lo, s20
; %bb.1535:                             ;   in Loop: Header=BB10_1386 Depth=2
	v_bfe_u32 v3, v2, 16, 1
	s_delay_alu instid0(VALU_DEP_1)
	v_add3_u32 v91, v2, v3, 0x7fff
                                        ; implicit-def: $vgpr2
; %bb.1536:                             ;   in Loop: Header=BB10_1386 Depth=2
	s_and_not1_saveexec_b32 s20, s20
; %bb.1537:                             ;   in Loop: Header=BB10_1386 Depth=2
	v_and_b32_e32 v3, 0xffff, v2
	v_or_b32_e32 v10, 0x10000, v2
	s_delay_alu instid0(VALU_DEP_2) | instskip(NEXT) | instid1(VALU_DEP_2)
	v_cmp_eq_u32_e32 vcc_lo, 0, v3
	v_cndmask_b32_e32 v91, v10, v2, vcc_lo
; %bb.1538:                             ;   in Loop: Header=BB10_1386 Depth=2
	s_or_b32 exec_lo, exec_lo, s20
	v_lshlrev_b32_e32 v2, 16, v13
	s_mov_b32 s20, exec_lo
                                        ; implicit-def: $vgpr92
	s_delay_alu instid0(VALU_DEP_1) | instskip(NEXT) | instid1(VALU_DEP_1)
	v_mul_f32_e32 v2, v100, v2
	v_and_b32_e32 v3, 0x7f800000, v2
	s_delay_alu instid0(VALU_DEP_1)
	v_cmpx_ne_u32_e32 0x7f800000, v3
	s_xor_b32 s20, exec_lo, s20
; %bb.1539:                             ;   in Loop: Header=BB10_1386 Depth=2
	v_bfe_u32 v3, v2, 16, 1
	s_delay_alu instid0(VALU_DEP_1)
	v_add3_u32 v92, v2, v3, 0x7fff
                                        ; implicit-def: $vgpr2
; %bb.1540:                             ;   in Loop: Header=BB10_1386 Depth=2
	s_and_not1_saveexec_b32 s20, s20
; %bb.1541:                             ;   in Loop: Header=BB10_1386 Depth=2
	v_and_b32_e32 v3, 0xffff, v2
	v_or_b32_e32 v10, 0x10000, v2
	s_delay_alu instid0(VALU_DEP_2) | instskip(NEXT) | instid1(VALU_DEP_2)
	v_cmp_eq_u32_e32 vcc_lo, 0, v3
	v_cndmask_b32_e32 v92, v10, v2, vcc_lo
; %bb.1542:                             ;   in Loop: Header=BB10_1386 Depth=2
	s_or_b32 exec_lo, exec_lo, s20
	v_and_b32_e32 v2, 0xffff0000, v13
	s_mov_b32 s20, exec_lo
                                        ; implicit-def: $vgpr93
	s_delay_alu instid0(VALU_DEP_1) | instskip(NEXT) | instid1(VALU_DEP_1)
	v_mul_f32_e32 v2, v100, v2
	v_and_b32_e32 v3, 0x7f800000, v2
	s_delay_alu instid0(VALU_DEP_1)
	v_cmpx_ne_u32_e32 0x7f800000, v3
	s_xor_b32 s20, exec_lo, s20
; %bb.1543:                             ;   in Loop: Header=BB10_1386 Depth=2
	v_bfe_u32 v3, v2, 16, 1
	s_delay_alu instid0(VALU_DEP_1)
	v_add3_u32 v93, v2, v3, 0x7fff
                                        ; implicit-def: $vgpr2
; %bb.1544:                             ;   in Loop: Header=BB10_1386 Depth=2
	s_and_not1_saveexec_b32 s20, s20
; %bb.1545:                             ;   in Loop: Header=BB10_1386 Depth=2
	v_and_b32_e32 v3, 0xffff, v2
	v_or_b32_e32 v10, 0x10000, v2
	s_delay_alu instid0(VALU_DEP_2) | instskip(NEXT) | instid1(VALU_DEP_2)
	v_cmp_eq_u32_e32 vcc_lo, 0, v3
	v_cndmask_b32_e32 v93, v10, v2, vcc_lo
; %bb.1546:                             ;   in Loop: Header=BB10_1386 Depth=2
	s_or_b32 exec_lo, exec_lo, s20
	global_load_b128 v[10:13], v[84:85], off offset:2560 th:TH_LOAD_NT
	s_mov_b32 s20, exec_lo
                                        ; implicit-def: $vgpr94
	s_wait_loadcnt 0x0
	v_lshlrev_b32_e32 v2, 16, v10
	s_delay_alu instid0(VALU_DEP_1) | instskip(NEXT) | instid1(VALU_DEP_1)
	v_mul_f32_e32 v2, v100, v2
	v_and_b32_e32 v3, 0x7f800000, v2
	s_wait_xcnt 0x0
	s_delay_alu instid0(VALU_DEP_1)
	v_cmpx_ne_u32_e32 0x7f800000, v3
	s_xor_b32 s20, exec_lo, s20
; %bb.1547:                             ;   in Loop: Header=BB10_1386 Depth=2
	v_bfe_u32 v3, v2, 16, 1
	s_delay_alu instid0(VALU_DEP_1)
	v_add3_u32 v94, v2, v3, 0x7fff
                                        ; implicit-def: $vgpr2
; %bb.1548:                             ;   in Loop: Header=BB10_1386 Depth=2
	s_and_not1_saveexec_b32 s20, s20
; %bb.1549:                             ;   in Loop: Header=BB10_1386 Depth=2
	v_and_b32_e32 v3, 0xffff, v2
	v_or_b32_e32 v86, 0x10000, v2
	s_delay_alu instid0(VALU_DEP_2) | instskip(NEXT) | instid1(VALU_DEP_2)
	v_cmp_eq_u32_e32 vcc_lo, 0, v3
	v_cndmask_b32_e32 v94, v86, v2, vcc_lo
; %bb.1550:                             ;   in Loop: Header=BB10_1386 Depth=2
	s_or_b32 exec_lo, exec_lo, s20
	v_and_b32_e32 v2, 0xffff0000, v10
	s_mov_b32 s20, exec_lo
                                        ; implicit-def: $vgpr95
	s_delay_alu instid0(VALU_DEP_1) | instskip(NEXT) | instid1(VALU_DEP_1)
	v_mul_f32_e32 v2, v100, v2
	v_and_b32_e32 v3, 0x7f800000, v2
	s_delay_alu instid0(VALU_DEP_1)
	v_cmpx_ne_u32_e32 0x7f800000, v3
	s_xor_b32 s20, exec_lo, s20
; %bb.1551:                             ;   in Loop: Header=BB10_1386 Depth=2
	v_bfe_u32 v3, v2, 16, 1
	s_delay_alu instid0(VALU_DEP_1)
	v_add3_u32 v95, v2, v3, 0x7fff
                                        ; implicit-def: $vgpr2
; %bb.1552:                             ;   in Loop: Header=BB10_1386 Depth=2
	s_and_not1_saveexec_b32 s20, s20
; %bb.1553:                             ;   in Loop: Header=BB10_1386 Depth=2
	v_and_b32_e32 v3, 0xffff, v2
	v_or_b32_e32 v10, 0x10000, v2
	s_delay_alu instid0(VALU_DEP_2) | instskip(NEXT) | instid1(VALU_DEP_2)
	v_cmp_eq_u32_e32 vcc_lo, 0, v3
	v_cndmask_b32_e32 v95, v10, v2, vcc_lo
; %bb.1554:                             ;   in Loop: Header=BB10_1386 Depth=2
	s_or_b32 exec_lo, exec_lo, s20
	v_lshlrev_b32_e32 v2, 16, v11
	s_mov_b32 s20, exec_lo
                                        ; implicit-def: $vgpr104
	s_delay_alu instid0(VALU_DEP_1) | instskip(NEXT) | instid1(VALU_DEP_1)
	v_mul_f32_e32 v2, v100, v2
	v_and_b32_e32 v3, 0x7f800000, v2
	s_delay_alu instid0(VALU_DEP_1)
	v_cmpx_ne_u32_e32 0x7f800000, v3
	s_xor_b32 s20, exec_lo, s20
; %bb.1555:                             ;   in Loop: Header=BB10_1386 Depth=2
	v_bfe_u32 v3, v2, 16, 1
	s_delay_alu instid0(VALU_DEP_1)
	v_add3_u32 v104, v2, v3, 0x7fff
                                        ; implicit-def: $vgpr2
; %bb.1556:                             ;   in Loop: Header=BB10_1386 Depth=2
	s_and_not1_saveexec_b32 s20, s20
; %bb.1557:                             ;   in Loop: Header=BB10_1386 Depth=2
	v_and_b32_e32 v3, 0xffff, v2
	v_or_b32_e32 v10, 0x10000, v2
	s_delay_alu instid0(VALU_DEP_2) | instskip(NEXT) | instid1(VALU_DEP_2)
	v_cmp_eq_u32_e32 vcc_lo, 0, v3
	v_cndmask_b32_e32 v104, v10, v2, vcc_lo
; %bb.1558:                             ;   in Loop: Header=BB10_1386 Depth=2
	s_or_b32 exec_lo, exec_lo, s20
	v_and_b32_e32 v2, 0xffff0000, v11
	s_mov_b32 s20, exec_lo
                                        ; implicit-def: $vgpr105
	s_delay_alu instid0(VALU_DEP_1) | instskip(NEXT) | instid1(VALU_DEP_1)
	v_mul_f32_e32 v2, v100, v2
	v_and_b32_e32 v3, 0x7f800000, v2
	s_delay_alu instid0(VALU_DEP_1)
	v_cmpx_ne_u32_e32 0x7f800000, v3
	s_xor_b32 s20, exec_lo, s20
; %bb.1559:                             ;   in Loop: Header=BB10_1386 Depth=2
	v_bfe_u32 v3, v2, 16, 1
	s_delay_alu instid0(VALU_DEP_1)
	v_add3_u32 v105, v2, v3, 0x7fff
                                        ; implicit-def: $vgpr2
; %bb.1560:                             ;   in Loop: Header=BB10_1386 Depth=2
	s_and_not1_saveexec_b32 s20, s20
; %bb.1561:                             ;   in Loop: Header=BB10_1386 Depth=2
	v_and_b32_e32 v3, 0xffff, v2
	v_or_b32_e32 v10, 0x10000, v2
	s_delay_alu instid0(VALU_DEP_2) | instskip(NEXT) | instid1(VALU_DEP_2)
	v_cmp_eq_u32_e32 vcc_lo, 0, v3
	v_cndmask_b32_e32 v105, v10, v2, vcc_lo
; %bb.1562:                             ;   in Loop: Header=BB10_1386 Depth=2
	s_or_b32 exec_lo, exec_lo, s20
	v_lshlrev_b32_e32 v2, 16, v12
	s_mov_b32 s20, exec_lo
                                        ; implicit-def: $vgpr106
	s_delay_alu instid0(VALU_DEP_1) | instskip(NEXT) | instid1(VALU_DEP_1)
	v_mul_f32_e32 v2, v100, v2
	v_and_b32_e32 v3, 0x7f800000, v2
	s_delay_alu instid0(VALU_DEP_1)
	v_cmpx_ne_u32_e32 0x7f800000, v3
	s_xor_b32 s20, exec_lo, s20
; %bb.1563:                             ;   in Loop: Header=BB10_1386 Depth=2
	v_bfe_u32 v3, v2, 16, 1
	s_delay_alu instid0(VALU_DEP_1)
	v_add3_u32 v106, v2, v3, 0x7fff
                                        ; implicit-def: $vgpr2
; %bb.1564:                             ;   in Loop: Header=BB10_1386 Depth=2
	s_and_not1_saveexec_b32 s20, s20
; %bb.1565:                             ;   in Loop: Header=BB10_1386 Depth=2
	v_and_b32_e32 v3, 0xffff, v2
	v_or_b32_e32 v10, 0x10000, v2
	s_delay_alu instid0(VALU_DEP_2) | instskip(NEXT) | instid1(VALU_DEP_2)
	v_cmp_eq_u32_e32 vcc_lo, 0, v3
	v_cndmask_b32_e32 v106, v10, v2, vcc_lo
; %bb.1566:                             ;   in Loop: Header=BB10_1386 Depth=2
	s_or_b32 exec_lo, exec_lo, s20
	v_and_b32_e32 v2, 0xffff0000, v12
	s_mov_b32 s20, exec_lo
                                        ; implicit-def: $vgpr107
	s_delay_alu instid0(VALU_DEP_1) | instskip(NEXT) | instid1(VALU_DEP_1)
	v_mul_f32_e32 v2, v100, v2
	v_and_b32_e32 v3, 0x7f800000, v2
	s_delay_alu instid0(VALU_DEP_1)
	v_cmpx_ne_u32_e32 0x7f800000, v3
	s_xor_b32 s20, exec_lo, s20
; %bb.1567:                             ;   in Loop: Header=BB10_1386 Depth=2
	v_bfe_u32 v3, v2, 16, 1
	s_delay_alu instid0(VALU_DEP_1)
	v_add3_u32 v107, v2, v3, 0x7fff
                                        ; implicit-def: $vgpr2
; %bb.1568:                             ;   in Loop: Header=BB10_1386 Depth=2
	s_and_not1_saveexec_b32 s20, s20
; %bb.1569:                             ;   in Loop: Header=BB10_1386 Depth=2
	v_and_b32_e32 v3, 0xffff, v2
	v_or_b32_e32 v10, 0x10000, v2
	s_delay_alu instid0(VALU_DEP_2) | instskip(NEXT) | instid1(VALU_DEP_2)
	v_cmp_eq_u32_e32 vcc_lo, 0, v3
	v_cndmask_b32_e32 v107, v10, v2, vcc_lo
; %bb.1570:                             ;   in Loop: Header=BB10_1386 Depth=2
	s_or_b32 exec_lo, exec_lo, s20
	v_lshlrev_b32_e32 v2, 16, v13
	s_mov_b32 s20, exec_lo
                                        ; implicit-def: $vgpr108
	s_delay_alu instid0(VALU_DEP_1) | instskip(NEXT) | instid1(VALU_DEP_1)
	v_mul_f32_e32 v2, v100, v2
	v_and_b32_e32 v3, 0x7f800000, v2
	s_delay_alu instid0(VALU_DEP_1)
	v_cmpx_ne_u32_e32 0x7f800000, v3
	s_xor_b32 s20, exec_lo, s20
; %bb.1571:                             ;   in Loop: Header=BB10_1386 Depth=2
	v_bfe_u32 v3, v2, 16, 1
	s_delay_alu instid0(VALU_DEP_1)
	v_add3_u32 v108, v2, v3, 0x7fff
                                        ; implicit-def: $vgpr2
; %bb.1572:                             ;   in Loop: Header=BB10_1386 Depth=2
	s_and_not1_saveexec_b32 s20, s20
; %bb.1573:                             ;   in Loop: Header=BB10_1386 Depth=2
	v_and_b32_e32 v3, 0xffff, v2
	v_or_b32_e32 v10, 0x10000, v2
	s_delay_alu instid0(VALU_DEP_2) | instskip(NEXT) | instid1(VALU_DEP_2)
	v_cmp_eq_u32_e32 vcc_lo, 0, v3
	v_cndmask_b32_e32 v108, v10, v2, vcc_lo
; %bb.1574:                             ;   in Loop: Header=BB10_1386 Depth=2
	s_or_b32 exec_lo, exec_lo, s20
	v_and_b32_e32 v2, 0xffff0000, v13
	s_mov_b32 s20, exec_lo
                                        ; implicit-def: $vgpr109
	s_delay_alu instid0(VALU_DEP_1) | instskip(NEXT) | instid1(VALU_DEP_1)
	v_mul_f32_e32 v2, v100, v2
	v_and_b32_e32 v3, 0x7f800000, v2
	s_delay_alu instid0(VALU_DEP_1)
	v_cmpx_ne_u32_e32 0x7f800000, v3
	s_xor_b32 s20, exec_lo, s20
; %bb.1575:                             ;   in Loop: Header=BB10_1386 Depth=2
	v_bfe_u32 v3, v2, 16, 1
	s_delay_alu instid0(VALU_DEP_1)
	v_add3_u32 v109, v2, v3, 0x7fff
                                        ; implicit-def: $vgpr2
; %bb.1576:                             ;   in Loop: Header=BB10_1386 Depth=2
	s_and_not1_saveexec_b32 s20, s20
; %bb.1577:                             ;   in Loop: Header=BB10_1386 Depth=2
	v_and_b32_e32 v3, 0xffff, v2
	v_or_b32_e32 v10, 0x10000, v2
	s_delay_alu instid0(VALU_DEP_2) | instskip(NEXT) | instid1(VALU_DEP_2)
	v_cmp_eq_u32_e32 vcc_lo, 0, v3
	v_cndmask_b32_e32 v109, v10, v2, vcc_lo
; %bb.1578:                             ;   in Loop: Header=BB10_1386 Depth=2
	s_or_b32 exec_lo, exec_lo, s20
	global_load_b128 v[10:13], v[84:85], off offset:3072 th:TH_LOAD_NT
	s_mov_b32 s20, exec_lo
                                        ; implicit-def: $vgpr110
	s_wait_loadcnt 0x0
	v_lshlrev_b32_e32 v2, 16, v10
	s_delay_alu instid0(VALU_DEP_1) | instskip(NEXT) | instid1(VALU_DEP_1)
	v_mul_f32_e32 v2, v100, v2
	v_and_b32_e32 v3, 0x7f800000, v2
	s_wait_xcnt 0x0
	s_delay_alu instid0(VALU_DEP_1)
	v_cmpx_ne_u32_e32 0x7f800000, v3
	s_xor_b32 s20, exec_lo, s20
; %bb.1579:                             ;   in Loop: Header=BB10_1386 Depth=2
	v_bfe_u32 v3, v2, 16, 1
	s_delay_alu instid0(VALU_DEP_1)
	v_add3_u32 v110, v2, v3, 0x7fff
                                        ; implicit-def: $vgpr2
; %bb.1580:                             ;   in Loop: Header=BB10_1386 Depth=2
	s_and_not1_saveexec_b32 s20, s20
; %bb.1581:                             ;   in Loop: Header=BB10_1386 Depth=2
	v_and_b32_e32 v3, 0xffff, v2
	v_or_b32_e32 v86, 0x10000, v2
	s_delay_alu instid0(VALU_DEP_2) | instskip(NEXT) | instid1(VALU_DEP_2)
	v_cmp_eq_u32_e32 vcc_lo, 0, v3
	v_cndmask_b32_e32 v110, v86, v2, vcc_lo
; %bb.1582:                             ;   in Loop: Header=BB10_1386 Depth=2
	s_or_b32 exec_lo, exec_lo, s20
	v_and_b32_e32 v2, 0xffff0000, v10
	s_mov_b32 s20, exec_lo
                                        ; implicit-def: $vgpr111
	s_delay_alu instid0(VALU_DEP_1) | instskip(NEXT) | instid1(VALU_DEP_1)
	v_mul_f32_e32 v2, v100, v2
	v_and_b32_e32 v3, 0x7f800000, v2
	s_delay_alu instid0(VALU_DEP_1)
	v_cmpx_ne_u32_e32 0x7f800000, v3
	s_xor_b32 s20, exec_lo, s20
; %bb.1583:                             ;   in Loop: Header=BB10_1386 Depth=2
	v_bfe_u32 v3, v2, 16, 1
	s_delay_alu instid0(VALU_DEP_1)
	v_add3_u32 v111, v2, v3, 0x7fff
                                        ; implicit-def: $vgpr2
; %bb.1584:                             ;   in Loop: Header=BB10_1386 Depth=2
	s_and_not1_saveexec_b32 s20, s20
; %bb.1585:                             ;   in Loop: Header=BB10_1386 Depth=2
	v_and_b32_e32 v3, 0xffff, v2
	v_or_b32_e32 v10, 0x10000, v2
	s_delay_alu instid0(VALU_DEP_2) | instskip(NEXT) | instid1(VALU_DEP_2)
	v_cmp_eq_u32_e32 vcc_lo, 0, v3
	v_cndmask_b32_e32 v111, v10, v2, vcc_lo
; %bb.1586:                             ;   in Loop: Header=BB10_1386 Depth=2
	s_or_b32 exec_lo, exec_lo, s20
	v_lshlrev_b32_e32 v2, 16, v11
	s_mov_b32 s20, exec_lo
                                        ; implicit-def: $vgpr120
	s_delay_alu instid0(VALU_DEP_1) | instskip(NEXT) | instid1(VALU_DEP_1)
	v_mul_f32_e32 v2, v100, v2
	v_and_b32_e32 v3, 0x7f800000, v2
	s_delay_alu instid0(VALU_DEP_1)
	v_cmpx_ne_u32_e32 0x7f800000, v3
	s_xor_b32 s20, exec_lo, s20
; %bb.1587:                             ;   in Loop: Header=BB10_1386 Depth=2
	v_bfe_u32 v3, v2, 16, 1
	s_delay_alu instid0(VALU_DEP_1)
	v_add3_u32 v120, v2, v3, 0x7fff
                                        ; implicit-def: $vgpr2
; %bb.1588:                             ;   in Loop: Header=BB10_1386 Depth=2
	s_and_not1_saveexec_b32 s20, s20
; %bb.1589:                             ;   in Loop: Header=BB10_1386 Depth=2
	v_and_b32_e32 v3, 0xffff, v2
	v_or_b32_e32 v10, 0x10000, v2
	s_delay_alu instid0(VALU_DEP_2) | instskip(NEXT) | instid1(VALU_DEP_2)
	v_cmp_eq_u32_e32 vcc_lo, 0, v3
	v_cndmask_b32_e32 v120, v10, v2, vcc_lo
; %bb.1590:                             ;   in Loop: Header=BB10_1386 Depth=2
	s_or_b32 exec_lo, exec_lo, s20
	v_and_b32_e32 v2, 0xffff0000, v11
	s_mov_b32 s20, exec_lo
                                        ; implicit-def: $vgpr121
	s_delay_alu instid0(VALU_DEP_1) | instskip(NEXT) | instid1(VALU_DEP_1)
	v_mul_f32_e32 v2, v100, v2
	v_and_b32_e32 v3, 0x7f800000, v2
	s_delay_alu instid0(VALU_DEP_1)
	v_cmpx_ne_u32_e32 0x7f800000, v3
	s_xor_b32 s20, exec_lo, s20
; %bb.1591:                             ;   in Loop: Header=BB10_1386 Depth=2
	v_bfe_u32 v3, v2, 16, 1
	s_delay_alu instid0(VALU_DEP_1)
	v_add3_u32 v121, v2, v3, 0x7fff
                                        ; implicit-def: $vgpr2
; %bb.1592:                             ;   in Loop: Header=BB10_1386 Depth=2
	s_and_not1_saveexec_b32 s20, s20
; %bb.1593:                             ;   in Loop: Header=BB10_1386 Depth=2
	v_and_b32_e32 v3, 0xffff, v2
	v_or_b32_e32 v10, 0x10000, v2
	s_delay_alu instid0(VALU_DEP_2) | instskip(NEXT) | instid1(VALU_DEP_2)
	v_cmp_eq_u32_e32 vcc_lo, 0, v3
	v_cndmask_b32_e32 v121, v10, v2, vcc_lo
; %bb.1594:                             ;   in Loop: Header=BB10_1386 Depth=2
	s_or_b32 exec_lo, exec_lo, s20
	v_lshlrev_b32_e32 v2, 16, v12
	s_mov_b32 s20, exec_lo
                                        ; implicit-def: $vgpr122
	s_delay_alu instid0(VALU_DEP_1) | instskip(NEXT) | instid1(VALU_DEP_1)
	v_mul_f32_e32 v2, v100, v2
	v_and_b32_e32 v3, 0x7f800000, v2
	s_delay_alu instid0(VALU_DEP_1)
	v_cmpx_ne_u32_e32 0x7f800000, v3
	s_xor_b32 s20, exec_lo, s20
; %bb.1595:                             ;   in Loop: Header=BB10_1386 Depth=2
	v_bfe_u32 v3, v2, 16, 1
	s_delay_alu instid0(VALU_DEP_1)
	v_add3_u32 v122, v2, v3, 0x7fff
                                        ; implicit-def: $vgpr2
; %bb.1596:                             ;   in Loop: Header=BB10_1386 Depth=2
	s_and_not1_saveexec_b32 s20, s20
; %bb.1597:                             ;   in Loop: Header=BB10_1386 Depth=2
	v_and_b32_e32 v3, 0xffff, v2
	v_or_b32_e32 v10, 0x10000, v2
	s_delay_alu instid0(VALU_DEP_2) | instskip(NEXT) | instid1(VALU_DEP_2)
	v_cmp_eq_u32_e32 vcc_lo, 0, v3
	v_cndmask_b32_e32 v122, v10, v2, vcc_lo
; %bb.1598:                             ;   in Loop: Header=BB10_1386 Depth=2
	s_or_b32 exec_lo, exec_lo, s20
	v_and_b32_e32 v2, 0xffff0000, v12
	s_mov_b32 s20, exec_lo
                                        ; implicit-def: $vgpr123
	s_delay_alu instid0(VALU_DEP_1) | instskip(NEXT) | instid1(VALU_DEP_1)
	v_mul_f32_e32 v2, v100, v2
	v_and_b32_e32 v3, 0x7f800000, v2
	s_delay_alu instid0(VALU_DEP_1)
	v_cmpx_ne_u32_e32 0x7f800000, v3
	s_xor_b32 s20, exec_lo, s20
; %bb.1599:                             ;   in Loop: Header=BB10_1386 Depth=2
	v_bfe_u32 v3, v2, 16, 1
	s_delay_alu instid0(VALU_DEP_1)
	v_add3_u32 v123, v2, v3, 0x7fff
                                        ; implicit-def: $vgpr2
; %bb.1600:                             ;   in Loop: Header=BB10_1386 Depth=2
	s_and_not1_saveexec_b32 s20, s20
; %bb.1601:                             ;   in Loop: Header=BB10_1386 Depth=2
	v_and_b32_e32 v3, 0xffff, v2
	v_or_b32_e32 v10, 0x10000, v2
	s_delay_alu instid0(VALU_DEP_2) | instskip(NEXT) | instid1(VALU_DEP_2)
	v_cmp_eq_u32_e32 vcc_lo, 0, v3
	v_cndmask_b32_e32 v123, v10, v2, vcc_lo
; %bb.1602:                             ;   in Loop: Header=BB10_1386 Depth=2
	s_or_b32 exec_lo, exec_lo, s20
	v_lshlrev_b32_e32 v2, 16, v13
	s_mov_b32 s20, exec_lo
                                        ; implicit-def: $vgpr124
	s_delay_alu instid0(VALU_DEP_1) | instskip(NEXT) | instid1(VALU_DEP_1)
	v_mul_f32_e32 v2, v100, v2
	v_and_b32_e32 v3, 0x7f800000, v2
	s_delay_alu instid0(VALU_DEP_1)
	v_cmpx_ne_u32_e32 0x7f800000, v3
	s_xor_b32 s20, exec_lo, s20
; %bb.1603:                             ;   in Loop: Header=BB10_1386 Depth=2
	v_bfe_u32 v3, v2, 16, 1
	s_delay_alu instid0(VALU_DEP_1)
	v_add3_u32 v124, v2, v3, 0x7fff
                                        ; implicit-def: $vgpr2
; %bb.1604:                             ;   in Loop: Header=BB10_1386 Depth=2
	s_and_not1_saveexec_b32 s20, s20
; %bb.1605:                             ;   in Loop: Header=BB10_1386 Depth=2
	v_and_b32_e32 v3, 0xffff, v2
	v_or_b32_e32 v10, 0x10000, v2
	s_delay_alu instid0(VALU_DEP_2) | instskip(NEXT) | instid1(VALU_DEP_2)
	v_cmp_eq_u32_e32 vcc_lo, 0, v3
	v_cndmask_b32_e32 v124, v10, v2, vcc_lo
; %bb.1606:                             ;   in Loop: Header=BB10_1386 Depth=2
	s_or_b32 exec_lo, exec_lo, s20
	v_and_b32_e32 v2, 0xffff0000, v13
	s_mov_b32 s20, exec_lo
                                        ; implicit-def: $vgpr125
	s_delay_alu instid0(VALU_DEP_1) | instskip(NEXT) | instid1(VALU_DEP_1)
	v_mul_f32_e32 v2, v100, v2
	v_and_b32_e32 v3, 0x7f800000, v2
	s_delay_alu instid0(VALU_DEP_1)
	v_cmpx_ne_u32_e32 0x7f800000, v3
	s_xor_b32 s20, exec_lo, s20
; %bb.1607:                             ;   in Loop: Header=BB10_1386 Depth=2
	v_bfe_u32 v3, v2, 16, 1
	s_delay_alu instid0(VALU_DEP_1)
	v_add3_u32 v125, v2, v3, 0x7fff
                                        ; implicit-def: $vgpr2
; %bb.1608:                             ;   in Loop: Header=BB10_1386 Depth=2
	s_and_not1_saveexec_b32 s20, s20
; %bb.1609:                             ;   in Loop: Header=BB10_1386 Depth=2
	v_and_b32_e32 v3, 0xffff, v2
	v_or_b32_e32 v10, 0x10000, v2
	s_delay_alu instid0(VALU_DEP_2) | instskip(NEXT) | instid1(VALU_DEP_2)
	v_cmp_eq_u32_e32 vcc_lo, 0, v3
	v_cndmask_b32_e32 v125, v10, v2, vcc_lo
; %bb.1610:                             ;   in Loop: Header=BB10_1386 Depth=2
	s_or_b32 exec_lo, exec_lo, s20
	global_load_b128 v[10:13], v[84:85], off offset:3584 th:TH_LOAD_NT
	s_mov_b32 s20, exec_lo
                                        ; implicit-def: $vgpr84
	s_wait_loadcnt 0x0
	v_lshlrev_b32_e32 v2, 16, v10
	s_delay_alu instid0(VALU_DEP_1) | instskip(NEXT) | instid1(VALU_DEP_1)
	v_mul_f32_e32 v2, v100, v2
	v_and_b32_e32 v3, 0x7f800000, v2
	s_wait_xcnt 0x0
	s_delay_alu instid0(VALU_DEP_1)
	v_cmpx_ne_u32_e32 0x7f800000, v3
	s_xor_b32 s20, exec_lo, s20
; %bb.1611:                             ;   in Loop: Header=BB10_1386 Depth=2
	v_bfe_u32 v3, v2, 16, 1
	s_delay_alu instid0(VALU_DEP_1)
	v_add3_u32 v84, v2, v3, 0x7fff
                                        ; implicit-def: $vgpr2
; %bb.1612:                             ;   in Loop: Header=BB10_1386 Depth=2
	s_and_not1_saveexec_b32 s20, s20
; %bb.1613:                             ;   in Loop: Header=BB10_1386 Depth=2
	v_and_b32_e32 v3, 0xffff, v2
	v_or_b32_e32 v84, 0x10000, v2
	s_delay_alu instid0(VALU_DEP_2) | instskip(NEXT) | instid1(VALU_DEP_2)
	v_cmp_eq_u32_e32 vcc_lo, 0, v3
	v_cndmask_b32_e32 v84, v84, v2, vcc_lo
; %bb.1614:                             ;   in Loop: Header=BB10_1386 Depth=2
	s_or_b32 exec_lo, exec_lo, s20
	v_and_b32_e32 v2, 0xffff0000, v10
	s_mov_b32 s20, exec_lo
                                        ; implicit-def: $vgpr85
	s_delay_alu instid0(VALU_DEP_1) | instskip(NEXT) | instid1(VALU_DEP_1)
	v_mul_f32_e32 v2, v100, v2
	v_and_b32_e32 v3, 0x7f800000, v2
	s_delay_alu instid0(VALU_DEP_1)
	v_cmpx_ne_u32_e32 0x7f800000, v3
	s_xor_b32 s20, exec_lo, s20
; %bb.1615:                             ;   in Loop: Header=BB10_1386 Depth=2
	v_bfe_u32 v3, v2, 16, 1
	s_delay_alu instid0(VALU_DEP_1)
	v_add3_u32 v85, v2, v3, 0x7fff
                                        ; implicit-def: $vgpr2
; %bb.1616:                             ;   in Loop: Header=BB10_1386 Depth=2
	s_and_not1_saveexec_b32 s20, s20
; %bb.1617:                             ;   in Loop: Header=BB10_1386 Depth=2
	v_and_b32_e32 v3, 0xffff, v2
	v_or_b32_e32 v10, 0x10000, v2
	s_delay_alu instid0(VALU_DEP_2) | instskip(NEXT) | instid1(VALU_DEP_2)
	v_cmp_eq_u32_e32 vcc_lo, 0, v3
	v_cndmask_b32_e32 v85, v10, v2, vcc_lo
; %bb.1618:                             ;   in Loop: Header=BB10_1386 Depth=2
	s_or_b32 exec_lo, exec_lo, s20
	v_lshlrev_b32_e32 v2, 16, v11
	s_mov_b32 s20, exec_lo
                                        ; implicit-def: $vgpr126
	s_delay_alu instid0(VALU_DEP_1) | instskip(NEXT) | instid1(VALU_DEP_1)
	v_mul_f32_e32 v2, v100, v2
	v_and_b32_e32 v3, 0x7f800000, v2
	s_delay_alu instid0(VALU_DEP_1)
	v_cmpx_ne_u32_e32 0x7f800000, v3
	s_xor_b32 s20, exec_lo, s20
; %bb.1619:                             ;   in Loop: Header=BB10_1386 Depth=2
	v_bfe_u32 v3, v2, 16, 1
	s_delay_alu instid0(VALU_DEP_1)
	v_add3_u32 v126, v2, v3, 0x7fff
                                        ; implicit-def: $vgpr2
; %bb.1620:                             ;   in Loop: Header=BB10_1386 Depth=2
	s_and_not1_saveexec_b32 s20, s20
; %bb.1621:                             ;   in Loop: Header=BB10_1386 Depth=2
	v_and_b32_e32 v3, 0xffff, v2
	v_or_b32_e32 v10, 0x10000, v2
	s_delay_alu instid0(VALU_DEP_2) | instskip(NEXT) | instid1(VALU_DEP_2)
	v_cmp_eq_u32_e32 vcc_lo, 0, v3
	v_cndmask_b32_e32 v126, v10, v2, vcc_lo
; %bb.1622:                             ;   in Loop: Header=BB10_1386 Depth=2
	s_or_b32 exec_lo, exec_lo, s20
	v_and_b32_e32 v2, 0xffff0000, v11
	s_delay_alu instid0(VALU_DEP_1) | instskip(NEXT) | instid1(VALU_DEP_1)
	v_mul_f32_e32 v3, v100, v2
	v_and_b32_e32 v2, 0x7f800000, v3
	s_delay_alu instid0(VALU_DEP_1) | instskip(SKIP_1) | instid1(SALU_CYCLE_1)
	v_cmp_ne_u32_e32 vcc_lo, 0x7f800000, v2
                                        ; implicit-def: $vgpr2
	s_and_saveexec_b32 s20, vcc_lo
	s_xor_b32 s20, exec_lo, s20
; %bb.1623:                             ;   in Loop: Header=BB10_1386 Depth=2
	v_bfe_u32 v2, v3, 16, 1
	s_delay_alu instid0(VALU_DEP_1)
	v_add3_u32 v2, v3, v2, 0x7fff
                                        ; implicit-def: $vgpr3
; %bb.1624:                             ;   in Loop: Header=BB10_1386 Depth=2
	s_and_not1_saveexec_b32 s20, s20
; %bb.1625:                             ;   in Loop: Header=BB10_1386 Depth=2
	v_and_b32_e32 v2, 0xffff, v3
	v_or_b32_e32 v10, 0x10000, v3
	s_delay_alu instid0(VALU_DEP_2) | instskip(NEXT) | instid1(VALU_DEP_2)
	v_cmp_eq_u32_e32 vcc_lo, 0, v2
	v_cndmask_b32_e32 v2, v10, v3, vcc_lo
; %bb.1626:                             ;   in Loop: Header=BB10_1386 Depth=2
	s_or_b32 exec_lo, exec_lo, s20
	v_lshlrev_b32_e32 v3, 16, v12
	s_delay_alu instid0(VALU_DEP_1) | instskip(NEXT) | instid1(VALU_DEP_1)
	v_mul_f32_e32 v10, v100, v3
	v_and_b32_e32 v3, 0x7f800000, v10
	s_delay_alu instid0(VALU_DEP_1) | instskip(SKIP_1) | instid1(SALU_CYCLE_1)
	v_cmp_ne_u32_e32 vcc_lo, 0x7f800000, v3
                                        ; implicit-def: $vgpr3
	s_and_saveexec_b32 s20, vcc_lo
	s_xor_b32 s20, exec_lo, s20
; %bb.1627:                             ;   in Loop: Header=BB10_1386 Depth=2
	v_bfe_u32 v3, v10, 16, 1
	s_delay_alu instid0(VALU_DEP_1)
	v_add3_u32 v3, v10, v3, 0x7fff
                                        ; implicit-def: $vgpr10
; %bb.1628:                             ;   in Loop: Header=BB10_1386 Depth=2
	s_and_not1_saveexec_b32 s20, s20
; %bb.1629:                             ;   in Loop: Header=BB10_1386 Depth=2
	v_and_b32_e32 v3, 0xffff, v10
	v_or_b32_e32 v11, 0x10000, v10
	s_delay_alu instid0(VALU_DEP_2) | instskip(NEXT) | instid1(VALU_DEP_2)
	v_cmp_eq_u32_e32 vcc_lo, 0, v3
	v_cndmask_b32_e32 v3, v11, v10, vcc_lo
; %bb.1630:                             ;   in Loop: Header=BB10_1386 Depth=2
	s_or_b32 exec_lo, exec_lo, s20
	v_and_b32_e32 v10, 0xffff0000, v12
	s_mov_b32 s20, exec_lo
                                        ; implicit-def: $vgpr116
	s_delay_alu instid0(VALU_DEP_1) | instskip(NEXT) | instid1(VALU_DEP_1)
	v_mul_f32_e32 v10, v100, v10
	v_and_b32_e32 v11, 0x7f800000, v10
	s_delay_alu instid0(VALU_DEP_1)
	v_cmpx_ne_u32_e32 0x7f800000, v11
	s_xor_b32 s20, exec_lo, s20
; %bb.1631:                             ;   in Loop: Header=BB10_1386 Depth=2
	v_bfe_u32 v11, v10, 16, 1
	s_delay_alu instid0(VALU_DEP_1)
	v_add3_u32 v116, v10, v11, 0x7fff
                                        ; implicit-def: $vgpr10
; %bb.1632:                             ;   in Loop: Header=BB10_1386 Depth=2
	s_and_not1_saveexec_b32 s20, s20
; %bb.1633:                             ;   in Loop: Header=BB10_1386 Depth=2
	v_and_b32_e32 v11, 0xffff, v10
	v_or_b32_e32 v12, 0x10000, v10
	s_delay_alu instid0(VALU_DEP_2) | instskip(NEXT) | instid1(VALU_DEP_2)
	v_cmp_eq_u32_e32 vcc_lo, 0, v11
	v_cndmask_b32_e32 v116, v12, v10, vcc_lo
; %bb.1634:                             ;   in Loop: Header=BB10_1386 Depth=2
	s_or_b32 exec_lo, exec_lo, s20
	v_lshlrev_b32_e32 v10, 16, v13
	s_mov_b32 s20, exec_lo
                                        ; implicit-def: $vgpr87
	s_delay_alu instid0(VALU_DEP_1) | instskip(NEXT) | instid1(VALU_DEP_1)
	v_mul_f32_e32 v10, v100, v10
	v_and_b32_e32 v11, 0x7f800000, v10
	s_delay_alu instid0(VALU_DEP_1)
	v_cmpx_ne_u32_e32 0x7f800000, v11
	s_xor_b32 s20, exec_lo, s20
; %bb.1635:                             ;   in Loop: Header=BB10_1386 Depth=2
	v_bfe_u32 v11, v10, 16, 1
	s_delay_alu instid0(VALU_DEP_1)
	v_add3_u32 v87, v10, v11, 0x7fff
                                        ; implicit-def: $vgpr10
; %bb.1636:                             ;   in Loop: Header=BB10_1386 Depth=2
	s_and_not1_saveexec_b32 s20, s20
; %bb.1637:                             ;   in Loop: Header=BB10_1386 Depth=2
	v_and_b32_e32 v11, 0xffff, v10
	v_or_b32_e32 v12, 0x10000, v10
	s_delay_alu instid0(VALU_DEP_2) | instskip(NEXT) | instid1(VALU_DEP_2)
	v_cmp_eq_u32_e32 vcc_lo, 0, v11
	v_cndmask_b32_e32 v87, v12, v10, vcc_lo
; %bb.1638:                             ;   in Loop: Header=BB10_1386 Depth=2
	s_or_b32 exec_lo, exec_lo, s20
	v_and_b32_e32 v10, 0xffff0000, v13
	s_mov_b32 s20, exec_lo
                                        ; implicit-def: $vgpr86
	s_delay_alu instid0(VALU_DEP_1) | instskip(NEXT) | instid1(VALU_DEP_1)
	v_mul_f32_e32 v10, v100, v10
	v_and_b32_e32 v11, 0x7f800000, v10
	s_delay_alu instid0(VALU_DEP_1)
	v_cmpx_ne_u32_e32 0x7f800000, v11
	s_xor_b32 s20, exec_lo, s20
; %bb.1639:                             ;   in Loop: Header=BB10_1386 Depth=2
	v_bfe_u32 v11, v10, 16, 1
	s_delay_alu instid0(VALU_DEP_1)
	v_add3_u32 v86, v10, v11, 0x7fff
                                        ; implicit-def: $vgpr10
; %bb.1640:                             ;   in Loop: Header=BB10_1386 Depth=2
	s_and_not1_saveexec_b32 s20, s20
	s_cbranch_execz .LBB10_1385
; %bb.1641:                             ;   in Loop: Header=BB10_1386 Depth=2
	v_and_b32_e32 v11, 0xffff, v10
	v_or_b32_e32 v12, 0x10000, v10
	s_delay_alu instid0(VALU_DEP_2) | instskip(NEXT) | instid1(VALU_DEP_2)
	v_cmp_eq_u32_e32 vcc_lo, 0, v11
	v_cndmask_b32_e32 v86, v12, v10, vcc_lo
	s_branch .LBB10_1385
.LBB10_1642:                            ;   in Loop: Header=BB10_1311 Depth=1
	s_or_b32 exec_lo, exec_lo, s19
.LBB10_1643:                            ;   in Loop: Header=BB10_1311 Depth=1
	s_delay_alu instid0(SALU_CYCLE_1) | instskip(SKIP_3) | instid1(VALU_DEP_1)
	s_or_b32 exec_lo, exec_lo, s10
	v_dual_lshlrev_b32 v82, 12, v99 :: v_dual_mov_b32 v84, 0
	s_mov_b32 s20, 0
	s_mov_b32 s19, exec_lo
                                        ; implicit-def: $vgpr85
	v_cmpx_ne_u32_e64 v97, v82
	s_cbranch_execz .LBB10_1681
; %bb.1644:                             ;   in Loop: Header=BB10_1311 Depth=1
	v_dual_lshlrev_b32 v2, 5, v98 :: v_dual_bitop2_b32 v3, 31, v0 bitop3:0x40
	s_mov_b32 s20, exec_lo
	s_delay_alu instid0(VALU_DEP_1) | instskip(SKIP_1) | instid1(VALU_DEP_1)
	v_sub_nc_u32_e32 v2, v3, v2
	v_sub_nc_u32_e32 v10, v97, v82
	v_ashrrev_i32_e32 v11, 31, v10
	s_delay_alu instid0(VALU_DEP_1) | instskip(NEXT) | instid1(VALU_DEP_1)
	v_dual_ashrrev_i32 v3, 31, v2 :: v_dual_lshrrev_b32 v11, 23, v11
	v_lshrrev_b32_e32 v3, 27, v3
	s_delay_alu instid0(VALU_DEP_1) | instskip(NEXT) | instid1(VALU_DEP_3)
	v_add_nc_u32_e32 v3, v2, v3
	v_add_nc_u32_e32 v11, v10, v11
	s_delay_alu instid0(VALU_DEP_2) | instskip(NEXT) | instid1(VALU_DEP_2)
	v_and_b32_e32 v12, 0xffffffe0, v3
	v_and_b32_e32 v84, 0xfffffe00, v11
	s_delay_alu instid0(VALU_DEP_2) | instskip(NEXT) | instid1(VALU_DEP_2)
	v_dual_ashrrev_i32 v3, 5, v3 :: v_dual_sub_nc_u32 v83, v2, v12
	v_dual_sub_nc_u32 v85, v10, v84 :: v_dual_ashrrev_i32 v11, 9, v11
	s_delay_alu instid0(VALU_DEP_2) | instskip(NEXT) | instid1(VALU_DEP_2)
	v_lshlrev_b32_e32 v2, 4, v83
	v_cmp_lt_i32_e32 vcc_lo, 15, v85
	s_delay_alu instid0(VALU_DEP_2) | instskip(NEXT) | instid1(VALU_DEP_4)
	v_lshl_add_u32 v2, v3, 9, v2
	v_add_co_ci_u32_e64 v11, null, 0, v11, vcc_lo
	s_delay_alu instid0(VALU_DEP_1) | instskip(NEXT) | instid1(VALU_DEP_1)
	v_dual_sub_nc_u32 v99, v10, v2 :: v_dual_sub_nc_u32 v98, v11, v3
	v_cmpx_lt_i32_e32 15, v99
	s_cbranch_execz .LBB10_1680
; %bb.1645:                             ;   in Loop: Header=BB10_1311 Depth=1
	s_trap 2
	ds_load_b32 v3, v0
	v_add_nc_u32_e32 v80, v2, v82
	s_mov_b32 s21, 0
	s_wait_dscnt 0x0
	s_delay_alu instid0(VALU_DEP_1)
	v_dual_lshlrev_b32 v100, 16, v3 :: v_dual_ashrrev_i32 v81, 31, v80
	s_branch .LBB10_1647
.LBB10_1646:                            ;   in Loop: Header=BB10_1647 Depth=2
	s_or_b32 exec_lo, exec_lo, s22
	v_dual_lshrrev_b32 v2, 16, v2 :: v_dual_lshrrev_b32 v87, 16, v101
	v_dual_lshrrev_b32 v101, 16, v11 :: v_dual_sub_nc_u32 v99, v99, v20
	v_add_nc_u64_e32 v[102:103], v[70:71], v[80:81]
	s_delay_alu instid0(VALU_DEP_3) | instskip(SKIP_1) | instid1(VALU_DEP_4)
	v_and_or_b32 v11, 0xffff0000, v3, v2
	v_dual_lshrrev_b32 v2, 16, v86 :: v_dual_sub_nc_u32 v98, v98, v16
	v_cmp_gt_i32_e64 s10, 16, v99
	v_add_nc_u64_e32 v[80:81], v[80:81], v[20:21]
	v_and_or_b32 v10, 0xffff0000, v10, v87
	v_and_or_b32 v12, 0xffff0000, v12, v101
	;; [unrolled: 1-line block ×3, first 2 shown]
	s_or_b32 s21, s10, s21
	global_store_b128 v[102:103], v[10:13], off th:TH_STORE_NT
	s_wait_xcnt 0x0
	s_and_not1_b32 exec_lo, exec_lo, s21
	s_cbranch_execz .LBB10_1679
.LBB10_1647:                            ;   Parent Loop BB10_1311 Depth=1
                                        ; =>  This Inner Loop Header: Depth=2
	s_delay_alu instid0(VALU_DEP_1) | instskip(SKIP_3) | instid1(VALU_DEP_1)
	v_add_nc_u64_e32 v[2:3], v[68:69], v[80:81]
                                        ; implicit-def: $vgpr101
	global_load_b128 v[10:13], v[2:3], off th:TH_LOAD_NT
	s_wait_loadcnt 0x0
	v_lshlrev_b32_e32 v2, 16, v10
	v_mul_f32_e32 v2, v100, v2
	s_delay_alu instid0(VALU_DEP_1) | instskip(NEXT) | instid1(VALU_DEP_1)
	v_and_b32_e32 v3, 0x7f800000, v2
	v_cmp_ne_u32_e64 s10, 0x7f800000, v3
	s_and_saveexec_b32 s22, s10
	s_delay_alu instid0(SALU_CYCLE_1)
	s_xor_b32 s10, exec_lo, s22
; %bb.1648:                             ;   in Loop: Header=BB10_1647 Depth=2
	v_bfe_u32 v3, v2, 16, 1
	s_delay_alu instid0(VALU_DEP_1)
	v_add3_u32 v101, v2, v3, 0x7fff
                                        ; implicit-def: $vgpr2
; %bb.1649:                             ;   in Loop: Header=BB10_1647 Depth=2
	s_and_not1_saveexec_b32 s22, s10
; %bb.1650:                             ;   in Loop: Header=BB10_1647 Depth=2
	v_and_b32_e32 v3, 0xffff, v2
	v_or_b32_e32 v86, 0x10000, v2
	s_delay_alu instid0(VALU_DEP_2) | instskip(NEXT) | instid1(VALU_DEP_1)
	v_cmp_eq_u32_e64 s10, 0, v3
	v_cndmask_b32_e64 v101, v86, v2, s10
; %bb.1651:                             ;   in Loop: Header=BB10_1647 Depth=2
	s_or_b32 exec_lo, exec_lo, s22
	v_and_b32_e32 v2, 0xffff0000, v10
                                        ; implicit-def: $vgpr10
	s_delay_alu instid0(VALU_DEP_1) | instskip(NEXT) | instid1(VALU_DEP_1)
	v_mul_f32_e32 v2, v100, v2
	v_and_b32_e32 v3, 0x7f800000, v2
	s_delay_alu instid0(VALU_DEP_1) | instskip(SKIP_1) | instid1(SALU_CYCLE_1)
	v_cmp_ne_u32_e64 s10, 0x7f800000, v3
	s_and_saveexec_b32 s22, s10
	s_xor_b32 s10, exec_lo, s22
; %bb.1652:                             ;   in Loop: Header=BB10_1647 Depth=2
	v_bfe_u32 v3, v2, 16, 1
	s_delay_alu instid0(VALU_DEP_1)
	v_add3_u32 v10, v2, v3, 0x7fff
                                        ; implicit-def: $vgpr2
; %bb.1653:                             ;   in Loop: Header=BB10_1647 Depth=2
	s_and_not1_saveexec_b32 s22, s10
; %bb.1654:                             ;   in Loop: Header=BB10_1647 Depth=2
	v_and_b32_e32 v3, 0xffff, v2
	v_or_b32_e32 v10, 0x10000, v2
	s_delay_alu instid0(VALU_DEP_2) | instskip(NEXT) | instid1(VALU_DEP_1)
	v_cmp_eq_u32_e64 s10, 0, v3
	v_cndmask_b32_e64 v10, v10, v2, s10
; %bb.1655:                             ;   in Loop: Header=BB10_1647 Depth=2
	s_or_b32 exec_lo, exec_lo, s22
	v_lshlrev_b32_e32 v2, 16, v11
	s_delay_alu instid0(VALU_DEP_1) | instskip(NEXT) | instid1(VALU_DEP_1)
	v_mul_f32_e32 v3, v100, v2
	v_and_b32_e32 v2, 0x7f800000, v3
	s_delay_alu instid0(VALU_DEP_1) | instskip(SKIP_1) | instid1(SALU_CYCLE_1)
	v_cmp_ne_u32_e64 s10, 0x7f800000, v2
                                        ; implicit-def: $vgpr2
	s_and_saveexec_b32 s22, s10
	s_xor_b32 s10, exec_lo, s22
; %bb.1656:                             ;   in Loop: Header=BB10_1647 Depth=2
	v_bfe_u32 v2, v3, 16, 1
	s_delay_alu instid0(VALU_DEP_1)
	v_add3_u32 v2, v3, v2, 0x7fff
                                        ; implicit-def: $vgpr3
; %bb.1657:                             ;   in Loop: Header=BB10_1647 Depth=2
	s_and_not1_saveexec_b32 s22, s10
; %bb.1658:                             ;   in Loop: Header=BB10_1647 Depth=2
	v_and_b32_e32 v2, 0xffff, v3
	v_or_b32_e32 v86, 0x10000, v3
	s_delay_alu instid0(VALU_DEP_2) | instskip(NEXT) | instid1(VALU_DEP_1)
	v_cmp_eq_u32_e64 s10, 0, v2
	v_cndmask_b32_e64 v2, v86, v3, s10
; %bb.1659:                             ;   in Loop: Header=BB10_1647 Depth=2
	s_or_b32 exec_lo, exec_lo, s22
	v_and_b32_e32 v3, 0xffff0000, v11
	s_delay_alu instid0(VALU_DEP_1) | instskip(NEXT) | instid1(VALU_DEP_1)
	v_mul_f32_e32 v11, v100, v3
	v_and_b32_e32 v3, 0x7f800000, v11
	s_delay_alu instid0(VALU_DEP_1) | instskip(SKIP_1) | instid1(SALU_CYCLE_1)
	v_cmp_ne_u32_e64 s10, 0x7f800000, v3
                                        ; implicit-def: $vgpr3
	s_and_saveexec_b32 s22, s10
	s_xor_b32 s10, exec_lo, s22
; %bb.1660:                             ;   in Loop: Header=BB10_1647 Depth=2
	v_bfe_u32 v3, v11, 16, 1
	s_delay_alu instid0(VALU_DEP_1)
	v_add3_u32 v3, v11, v3, 0x7fff
                                        ; implicit-def: $vgpr11
; %bb.1661:                             ;   in Loop: Header=BB10_1647 Depth=2
	s_and_not1_saveexec_b32 s22, s10
; %bb.1662:                             ;   in Loop: Header=BB10_1647 Depth=2
	v_and_b32_e32 v3, 0xffff, v11
	v_or_b32_e32 v86, 0x10000, v11
	s_delay_alu instid0(VALU_DEP_2) | instskip(NEXT) | instid1(VALU_DEP_1)
	v_cmp_eq_u32_e64 s10, 0, v3
	v_cndmask_b32_e64 v3, v86, v11, s10
; %bb.1663:                             ;   in Loop: Header=BB10_1647 Depth=2
	s_or_b32 exec_lo, exec_lo, s22
	v_lshlrev_b32_e32 v11, 16, v12
	s_delay_alu instid0(VALU_DEP_1) | instskip(NEXT) | instid1(VALU_DEP_1)
	v_mul_f32_e32 v86, v100, v11
	v_and_b32_e32 v11, 0x7f800000, v86
	s_delay_alu instid0(VALU_DEP_1) | instskip(SKIP_1) | instid1(SALU_CYCLE_1)
	v_cmp_ne_u32_e64 s10, 0x7f800000, v11
                                        ; implicit-def: $vgpr11
	s_and_saveexec_b32 s22, s10
	s_xor_b32 s10, exec_lo, s22
; %bb.1664:                             ;   in Loop: Header=BB10_1647 Depth=2
	v_bfe_u32 v11, v86, 16, 1
	s_delay_alu instid0(VALU_DEP_1)
	v_add3_u32 v11, v86, v11, 0x7fff
                                        ; implicit-def: $vgpr86
; %bb.1665:                             ;   in Loop: Header=BB10_1647 Depth=2
	s_and_not1_saveexec_b32 s22, s10
; %bb.1666:                             ;   in Loop: Header=BB10_1647 Depth=2
	v_and_b32_e32 v11, 0xffff, v86
	v_or_b32_e32 v87, 0x10000, v86
	s_delay_alu instid0(VALU_DEP_2) | instskip(NEXT) | instid1(VALU_DEP_1)
	v_cmp_eq_u32_e64 s10, 0, v11
	v_cndmask_b32_e64 v11, v87, v86, s10
; %bb.1667:                             ;   in Loop: Header=BB10_1647 Depth=2
	s_or_b32 exec_lo, exec_lo, s22
	v_and_b32_e32 v12, 0xffff0000, v12
	s_delay_alu instid0(VALU_DEP_1) | instskip(NEXT) | instid1(VALU_DEP_1)
	v_mul_f32_e32 v86, v100, v12
	v_and_b32_e32 v12, 0x7f800000, v86
	s_delay_alu instid0(VALU_DEP_1) | instskip(SKIP_1) | instid1(SALU_CYCLE_1)
	v_cmp_ne_u32_e64 s10, 0x7f800000, v12
                                        ; implicit-def: $vgpr12
	s_and_saveexec_b32 s22, s10
	s_xor_b32 s10, exec_lo, s22
; %bb.1668:                             ;   in Loop: Header=BB10_1647 Depth=2
	v_bfe_u32 v12, v86, 16, 1
	s_delay_alu instid0(VALU_DEP_1)
	v_add3_u32 v12, v86, v12, 0x7fff
                                        ; implicit-def: $vgpr86
; %bb.1669:                             ;   in Loop: Header=BB10_1647 Depth=2
	s_and_not1_saveexec_b32 s22, s10
; %bb.1670:                             ;   in Loop: Header=BB10_1647 Depth=2
	v_and_b32_e32 v12, 0xffff, v86
	v_or_b32_e32 v87, 0x10000, v86
	s_delay_alu instid0(VALU_DEP_2) | instskip(NEXT) | instid1(VALU_DEP_1)
	v_cmp_eq_u32_e64 s10, 0, v12
	v_cndmask_b32_e64 v12, v87, v86, s10
; %bb.1671:                             ;   in Loop: Header=BB10_1647 Depth=2
	s_or_b32 exec_lo, exec_lo, s22
	v_lshlrev_b32_e32 v86, 16, v13
	s_delay_alu instid0(VALU_DEP_1) | instskip(NEXT) | instid1(VALU_DEP_1)
	v_mul_f32_e32 v87, v100, v86
	v_and_b32_e32 v86, 0x7f800000, v87
	s_delay_alu instid0(VALU_DEP_1) | instskip(SKIP_1) | instid1(SALU_CYCLE_1)
	v_cmp_ne_u32_e64 s10, 0x7f800000, v86
                                        ; implicit-def: $vgpr86
	s_and_saveexec_b32 s22, s10
	s_xor_b32 s10, exec_lo, s22
; %bb.1672:                             ;   in Loop: Header=BB10_1647 Depth=2
	v_bfe_u32 v86, v87, 16, 1
	s_delay_alu instid0(VALU_DEP_1)
	v_add3_u32 v86, v87, v86, 0x7fff
                                        ; implicit-def: $vgpr87
; %bb.1673:                             ;   in Loop: Header=BB10_1647 Depth=2
	s_and_not1_saveexec_b32 s22, s10
; %bb.1674:                             ;   in Loop: Header=BB10_1647 Depth=2
	v_and_b32_e32 v86, 0xffff, v87
	v_or_b32_e32 v102, 0x10000, v87
	s_delay_alu instid0(VALU_DEP_2) | instskip(NEXT) | instid1(VALU_DEP_1)
	v_cmp_eq_u32_e64 s10, 0, v86
	v_cndmask_b32_e64 v86, v102, v87, s10
; %bb.1675:                             ;   in Loop: Header=BB10_1647 Depth=2
	s_or_b32 exec_lo, exec_lo, s22
	v_and_b32_e32 v13, 0xffff0000, v13
	s_delay_alu instid0(VALU_DEP_1) | instskip(NEXT) | instid1(VALU_DEP_1)
	v_mul_f32_e32 v87, v100, v13
	v_and_b32_e32 v13, 0x7f800000, v87
	s_delay_alu instid0(VALU_DEP_1) | instskip(SKIP_1) | instid1(SALU_CYCLE_1)
	v_cmp_ne_u32_e64 s10, 0x7f800000, v13
                                        ; implicit-def: $vgpr13
	s_and_saveexec_b32 s22, s10
	s_xor_b32 s10, exec_lo, s22
; %bb.1676:                             ;   in Loop: Header=BB10_1647 Depth=2
	v_bfe_u32 v13, v87, 16, 1
	s_delay_alu instid0(VALU_DEP_1)
	v_add3_u32 v13, v87, v13, 0x7fff
                                        ; implicit-def: $vgpr87
; %bb.1677:                             ;   in Loop: Header=BB10_1647 Depth=2
	s_and_not1_saveexec_b32 s22, s10
	s_cbranch_execz .LBB10_1646
; %bb.1678:                             ;   in Loop: Header=BB10_1647 Depth=2
	v_and_b32_e32 v13, 0xffff, v87
	v_or_b32_e32 v102, 0x10000, v87
	s_delay_alu instid0(VALU_DEP_2) | instskip(NEXT) | instid1(VALU_DEP_1)
	v_cmp_eq_u32_e64 s10, 0, v13
	v_cndmask_b32_e64 v13, v102, v87, s10
	s_branch .LBB10_1646
.LBB10_1679:                            ;   in Loop: Header=BB10_1311 Depth=1
	s_or_b32 exec_lo, exec_lo, s21
.LBB10_1680:                            ;   in Loop: Header=BB10_1311 Depth=1
	s_delay_alu instid0(SALU_CYCLE_1) | instskip(NEXT) | instid1(VALU_DEP_2)
	s_or_b32 exec_lo, exec_lo, s20
	v_cmp_lt_i32_e64 s10, 0, v98
	s_delay_alu instid0(VALU_DEP_1) | instskip(NEXT) | instid1(VALU_DEP_1)
	v_dual_cndmask_b32 v10, 0, v16, s10 :: v_dual_bitop2_b32 v2, 14, v97 bitop3:0x40
	v_dual_sub_nc_u32 v3, v85, v2 :: v_dual_cndmask_b32 v97, v85, v2, vcc_lo
	s_delay_alu instid0(VALU_DEP_1) | instskip(NEXT) | instid1(VALU_DEP_2)
	v_dual_cndmask_b32 v2, 0, v3 :: v_dual_sub_nc_u32 v3, v10, v98
	v_cmp_ne_u32_e32 vcc_lo, 0, v97
	s_delay_alu instid0(VALU_DEP_2) | instskip(NEXT) | instid1(VALU_DEP_3)
	v_add3_u32 v84, v84, v82, v2
	v_lshl_add_u32 v85, v3, 5, v83
	s_and_b32 s20, vcc_lo, exec_lo
.LBB10_1681:                            ;   in Loop: Header=BB10_1311 Depth=1
	s_or_b32 exec_lo, exec_lo, s19
	s_and_saveexec_b32 s10, s20
	s_cbranch_execz .LBB10_1758
.LBB10_1682:                            ;   in Loop: Header=BB10_1311 Depth=1
	v_ashrrev_i32_e32 v3, 31, v97
	v_ashrrev_i32_e32 v2, 31, v85
	s_mov_b32 s19, exec_lo
	s_delay_alu instid0(VALU_DEP_1) | instskip(NEXT) | instid1(VALU_DEP_1)
	v_dual_lshrrev_b32 v3, 22, v3 :: v_dual_lshrrev_b32 v2, 27, v2
	v_add_nc_u32_e32 v3, v97, v3
	s_delay_alu instid0(VALU_DEP_1) | instskip(NEXT) | instid1(VALU_DEP_1)
	v_dual_add_nc_u32 v2, v85, v2 :: v_dual_ashrrev_i32 v100, 10, v3
	v_ashrrev_i32_e32 v98, 5, v2
	s_delay_alu instid0(VALU_DEP_1) | instskip(NEXT) | instid1(VALU_DEP_1)
	v_sub_nc_u32_e32 v99, v100, v98
	v_cmpx_lt_i32_e32 0, v99
	s_cbranch_execz .LBB10_1750
; %bb.1683:                             ;   in Loop: Header=BB10_1311 Depth=1
	s_trap 2
	ds_load_b32 v3, v0
	v_and_b32_e32 v2, 0x7fffffe0, v2
	v_lshlrev_b32_e32 v10, 10, v98
	v_mov_b64_e32 v[12:13], v[70:71]
	v_mov_b64_e32 v[80:81], v[68:69]
	s_mov_b32 s20, 0
	s_wait_dscnt 0x0
	v_dual_sub_nc_u32 v2, v85, v2 :: v_dual_lshlrev_b32 v101, 16, v3
	s_delay_alu instid0(VALU_DEP_1) | instskip(NEXT) | instid1(VALU_DEP_1)
	v_lshlrev_b32_e32 v2, 1, v2
	v_add3_u32 v10, v2, v84, v10
	s_delay_alu instid0(VALU_DEP_1)
	v_ashrrev_i32_e32 v11, 31, v10
	s_branch .LBB10_1685
.LBB10_1684:                            ;   in Loop: Header=BB10_1685 Depth=2
	s_or_b32 exec_lo, exec_lo, s21
	v_sub_nc_u32_e32 v99, v99, v16
	v_add_nc_u64_e32 v[42:43], v[10:11], v[12:13]
	v_add_nc_u64_e32 v[80:81], v[80:81], v[22:23]
	;; [unrolled: 1-line block ×3, first 2 shown]
	s_clause 0x7
	flat_store_d16_hi_b16 v[42:43], v102 th:TH_STORE_NT
	flat_store_d16_hi_b16 v[42:43], v103 offset:64 th:TH_STORE_NT
	flat_store_d16_hi_b16 v[42:43], v112 offset:128 th:TH_STORE_NT
	flat_store_d16_hi_b16 v[42:43], v113 offset:192 th:TH_STORE_NT
	flat_store_d16_hi_b16 v[42:43], v114 offset:256 th:TH_STORE_NT
	flat_store_d16_hi_b16 v[42:43], v115 offset:320 th:TH_STORE_NT
	flat_store_d16_hi_b16 v[42:43], v117 offset:384 th:TH_STORE_NT
	flat_store_d16_hi_b16 v[42:43], v118 offset:448 th:TH_STORE_NT
	v_cmp_gt_i32_e32 vcc_lo, 1, v99
	s_clause 0x7
	flat_store_d16_hi_b16 v[42:43], v119 offset:512 th:TH_STORE_NT
	flat_store_d16_hi_b16 v[42:43], v40 offset:576 th:TH_STORE_NT
	;; [unrolled: 1-line block ×8, first 2 shown]
	s_or_b32 s20, vcc_lo, s20
	s_wait_xcnt 0x0
	s_and_not1_b32 exec_lo, exec_lo, s20
	s_cbranch_execz .LBB10_1749
.LBB10_1685:                            ;   Parent Loop BB10_1311 Depth=1
                                        ; =>  This Inner Loop Header: Depth=2
	s_delay_alu instid0(VALU_DEP_1) | instskip(SKIP_4) | instid1(VALU_DEP_1)
	v_add_nc_u64_e32 v[82:83], v[10:11], v[80:81]
	s_mov_b32 s21, exec_lo
                                        ; implicit-def: $vgpr102
	flat_load_u16 v2, v[82:83] th:TH_LOAD_NT
	s_wait_loadcnt_dscnt 0x0
	v_lshlrev_b32_e32 v2, 16, v2
	v_mul_f32_e32 v2, v101, v2
	s_delay_alu instid0(VALU_DEP_1) | instskip(SKIP_1) | instid1(VALU_DEP_1)
	v_and_b32_e32 v3, 0x7f800000, v2
	s_wait_xcnt 0x0
	v_cmpx_ne_u32_e32 0x7f800000, v3
	s_xor_b32 s21, exec_lo, s21
; %bb.1686:                             ;   in Loop: Header=BB10_1685 Depth=2
	v_bfe_u32 v3, v2, 16, 1
	s_delay_alu instid0(VALU_DEP_1)
	v_add3_u32 v102, v2, v3, 0x7fff
                                        ; implicit-def: $vgpr2
; %bb.1687:                             ;   in Loop: Header=BB10_1685 Depth=2
	s_and_not1_saveexec_b32 s21, s21
; %bb.1688:                             ;   in Loop: Header=BB10_1685 Depth=2
	v_and_b32_e32 v3, 0xffff, v2
	v_or_b32_e32 v86, 0x10000, v2
	s_delay_alu instid0(VALU_DEP_2) | instskip(NEXT) | instid1(VALU_DEP_2)
	v_cmp_eq_u32_e32 vcc_lo, 0, v3
	v_cndmask_b32_e32 v102, v86, v2, vcc_lo
; %bb.1689:                             ;   in Loop: Header=BB10_1685 Depth=2
	s_or_b32 exec_lo, exec_lo, s21
	flat_load_u16 v2, v[82:83] offset:64 th:TH_LOAD_NT
	s_mov_b32 s21, exec_lo
                                        ; implicit-def: $vgpr103
	s_wait_loadcnt_dscnt 0x0
	v_lshlrev_b32_e32 v2, 16, v2
	s_delay_alu instid0(VALU_DEP_1) | instskip(NEXT) | instid1(VALU_DEP_1)
	v_mul_f32_e32 v2, v101, v2
	v_and_b32_e32 v3, 0x7f800000, v2
	s_wait_xcnt 0x0
	s_delay_alu instid0(VALU_DEP_1)
	v_cmpx_ne_u32_e32 0x7f800000, v3
	s_xor_b32 s21, exec_lo, s21
; %bb.1690:                             ;   in Loop: Header=BB10_1685 Depth=2
	v_bfe_u32 v3, v2, 16, 1
	s_delay_alu instid0(VALU_DEP_1)
	v_add3_u32 v103, v2, v3, 0x7fff
                                        ; implicit-def: $vgpr2
; %bb.1691:                             ;   in Loop: Header=BB10_1685 Depth=2
	s_and_not1_saveexec_b32 s21, s21
; %bb.1692:                             ;   in Loop: Header=BB10_1685 Depth=2
	v_and_b32_e32 v3, 0xffff, v2
	v_or_b32_e32 v86, 0x10000, v2
	s_delay_alu instid0(VALU_DEP_2) | instskip(NEXT) | instid1(VALU_DEP_2)
	v_cmp_eq_u32_e32 vcc_lo, 0, v3
	v_cndmask_b32_e32 v103, v86, v2, vcc_lo
; %bb.1693:                             ;   in Loop: Header=BB10_1685 Depth=2
	s_or_b32 exec_lo, exec_lo, s21
	flat_load_u16 v2, v[82:83] offset:128 th:TH_LOAD_NT
	s_mov_b32 s21, exec_lo
                                        ; implicit-def: $vgpr112
	s_wait_loadcnt_dscnt 0x0
	v_lshlrev_b32_e32 v2, 16, v2
	s_delay_alu instid0(VALU_DEP_1) | instskip(NEXT) | instid1(VALU_DEP_1)
	v_mul_f32_e32 v2, v101, v2
	v_and_b32_e32 v3, 0x7f800000, v2
	s_wait_xcnt 0x0
	s_delay_alu instid0(VALU_DEP_1)
	v_cmpx_ne_u32_e32 0x7f800000, v3
	s_xor_b32 s21, exec_lo, s21
; %bb.1694:                             ;   in Loop: Header=BB10_1685 Depth=2
	v_bfe_u32 v3, v2, 16, 1
	s_delay_alu instid0(VALU_DEP_1)
	v_add3_u32 v112, v2, v3, 0x7fff
                                        ; implicit-def: $vgpr2
; %bb.1695:                             ;   in Loop: Header=BB10_1685 Depth=2
	s_and_not1_saveexec_b32 s21, s21
; %bb.1696:                             ;   in Loop: Header=BB10_1685 Depth=2
	v_and_b32_e32 v3, 0xffff, v2
	v_or_b32_e32 v86, 0x10000, v2
	s_delay_alu instid0(VALU_DEP_2) | instskip(NEXT) | instid1(VALU_DEP_2)
	v_cmp_eq_u32_e32 vcc_lo, 0, v3
	v_cndmask_b32_e32 v112, v86, v2, vcc_lo
; %bb.1697:                             ;   in Loop: Header=BB10_1685 Depth=2
	s_or_b32 exec_lo, exec_lo, s21
	flat_load_u16 v2, v[82:83] offset:192 th:TH_LOAD_NT
	s_mov_b32 s21, exec_lo
                                        ; implicit-def: $vgpr113
	s_wait_loadcnt_dscnt 0x0
	v_lshlrev_b32_e32 v2, 16, v2
	s_delay_alu instid0(VALU_DEP_1) | instskip(NEXT) | instid1(VALU_DEP_1)
	v_mul_f32_e32 v2, v101, v2
	v_and_b32_e32 v3, 0x7f800000, v2
	s_wait_xcnt 0x0
	s_delay_alu instid0(VALU_DEP_1)
	v_cmpx_ne_u32_e32 0x7f800000, v3
	s_xor_b32 s21, exec_lo, s21
; %bb.1698:                             ;   in Loop: Header=BB10_1685 Depth=2
	v_bfe_u32 v3, v2, 16, 1
	s_delay_alu instid0(VALU_DEP_1)
	v_add3_u32 v113, v2, v3, 0x7fff
                                        ; implicit-def: $vgpr2
; %bb.1699:                             ;   in Loop: Header=BB10_1685 Depth=2
	s_and_not1_saveexec_b32 s21, s21
; %bb.1700:                             ;   in Loop: Header=BB10_1685 Depth=2
	v_and_b32_e32 v3, 0xffff, v2
	v_or_b32_e32 v86, 0x10000, v2
	s_delay_alu instid0(VALU_DEP_2) | instskip(NEXT) | instid1(VALU_DEP_2)
	v_cmp_eq_u32_e32 vcc_lo, 0, v3
	v_cndmask_b32_e32 v113, v86, v2, vcc_lo
; %bb.1701:                             ;   in Loop: Header=BB10_1685 Depth=2
	s_or_b32 exec_lo, exec_lo, s21
	flat_load_u16 v2, v[82:83] offset:256 th:TH_LOAD_NT
	s_mov_b32 s21, exec_lo
                                        ; implicit-def: $vgpr114
	s_wait_loadcnt_dscnt 0x0
	v_lshlrev_b32_e32 v2, 16, v2
	s_delay_alu instid0(VALU_DEP_1) | instskip(NEXT) | instid1(VALU_DEP_1)
	v_mul_f32_e32 v2, v101, v2
	v_and_b32_e32 v3, 0x7f800000, v2
	s_wait_xcnt 0x0
	s_delay_alu instid0(VALU_DEP_1)
	v_cmpx_ne_u32_e32 0x7f800000, v3
	s_xor_b32 s21, exec_lo, s21
; %bb.1702:                             ;   in Loop: Header=BB10_1685 Depth=2
	v_bfe_u32 v3, v2, 16, 1
	s_delay_alu instid0(VALU_DEP_1)
	v_add3_u32 v114, v2, v3, 0x7fff
                                        ; implicit-def: $vgpr2
; %bb.1703:                             ;   in Loop: Header=BB10_1685 Depth=2
	s_and_not1_saveexec_b32 s21, s21
; %bb.1704:                             ;   in Loop: Header=BB10_1685 Depth=2
	v_and_b32_e32 v3, 0xffff, v2
	v_or_b32_e32 v86, 0x10000, v2
	s_delay_alu instid0(VALU_DEP_2) | instskip(NEXT) | instid1(VALU_DEP_2)
	v_cmp_eq_u32_e32 vcc_lo, 0, v3
	v_cndmask_b32_e32 v114, v86, v2, vcc_lo
; %bb.1705:                             ;   in Loop: Header=BB10_1685 Depth=2
	s_or_b32 exec_lo, exec_lo, s21
	flat_load_u16 v2, v[82:83] offset:320 th:TH_LOAD_NT
	s_mov_b32 s21, exec_lo
                                        ; implicit-def: $vgpr115
	s_wait_loadcnt_dscnt 0x0
	v_lshlrev_b32_e32 v2, 16, v2
	s_delay_alu instid0(VALU_DEP_1) | instskip(NEXT) | instid1(VALU_DEP_1)
	v_mul_f32_e32 v2, v101, v2
	v_and_b32_e32 v3, 0x7f800000, v2
	s_wait_xcnt 0x0
	s_delay_alu instid0(VALU_DEP_1)
	v_cmpx_ne_u32_e32 0x7f800000, v3
	s_xor_b32 s21, exec_lo, s21
; %bb.1706:                             ;   in Loop: Header=BB10_1685 Depth=2
	v_bfe_u32 v3, v2, 16, 1
	s_delay_alu instid0(VALU_DEP_1)
	v_add3_u32 v115, v2, v3, 0x7fff
                                        ; implicit-def: $vgpr2
; %bb.1707:                             ;   in Loop: Header=BB10_1685 Depth=2
	s_and_not1_saveexec_b32 s21, s21
; %bb.1708:                             ;   in Loop: Header=BB10_1685 Depth=2
	v_and_b32_e32 v3, 0xffff, v2
	v_or_b32_e32 v86, 0x10000, v2
	s_delay_alu instid0(VALU_DEP_2) | instskip(NEXT) | instid1(VALU_DEP_2)
	v_cmp_eq_u32_e32 vcc_lo, 0, v3
	v_cndmask_b32_e32 v115, v86, v2, vcc_lo
; %bb.1709:                             ;   in Loop: Header=BB10_1685 Depth=2
	s_or_b32 exec_lo, exec_lo, s21
	flat_load_u16 v2, v[82:83] offset:384 th:TH_LOAD_NT
	s_mov_b32 s21, exec_lo
                                        ; implicit-def: $vgpr117
	s_wait_loadcnt_dscnt 0x0
	v_lshlrev_b32_e32 v2, 16, v2
	s_delay_alu instid0(VALU_DEP_1) | instskip(NEXT) | instid1(VALU_DEP_1)
	v_mul_f32_e32 v2, v101, v2
	v_and_b32_e32 v3, 0x7f800000, v2
	s_wait_xcnt 0x0
	s_delay_alu instid0(VALU_DEP_1)
	v_cmpx_ne_u32_e32 0x7f800000, v3
	s_xor_b32 s21, exec_lo, s21
; %bb.1710:                             ;   in Loop: Header=BB10_1685 Depth=2
	v_bfe_u32 v3, v2, 16, 1
	s_delay_alu instid0(VALU_DEP_1)
	v_add3_u32 v117, v2, v3, 0x7fff
                                        ; implicit-def: $vgpr2
; %bb.1711:                             ;   in Loop: Header=BB10_1685 Depth=2
	s_and_not1_saveexec_b32 s21, s21
; %bb.1712:                             ;   in Loop: Header=BB10_1685 Depth=2
	v_and_b32_e32 v3, 0xffff, v2
	v_or_b32_e32 v86, 0x10000, v2
	s_delay_alu instid0(VALU_DEP_2) | instskip(NEXT) | instid1(VALU_DEP_2)
	v_cmp_eq_u32_e32 vcc_lo, 0, v3
	v_cndmask_b32_e32 v117, v86, v2, vcc_lo
; %bb.1713:                             ;   in Loop: Header=BB10_1685 Depth=2
	s_or_b32 exec_lo, exec_lo, s21
	flat_load_u16 v2, v[82:83] offset:448 th:TH_LOAD_NT
	s_mov_b32 s21, exec_lo
                                        ; implicit-def: $vgpr118
	s_wait_loadcnt_dscnt 0x0
	v_lshlrev_b32_e32 v2, 16, v2
	s_delay_alu instid0(VALU_DEP_1) | instskip(NEXT) | instid1(VALU_DEP_1)
	v_mul_f32_e32 v2, v101, v2
	v_and_b32_e32 v3, 0x7f800000, v2
	s_wait_xcnt 0x0
	s_delay_alu instid0(VALU_DEP_1)
	v_cmpx_ne_u32_e32 0x7f800000, v3
	s_xor_b32 s21, exec_lo, s21
; %bb.1714:                             ;   in Loop: Header=BB10_1685 Depth=2
	v_bfe_u32 v3, v2, 16, 1
	s_delay_alu instid0(VALU_DEP_1)
	v_add3_u32 v118, v2, v3, 0x7fff
                                        ; implicit-def: $vgpr2
; %bb.1715:                             ;   in Loop: Header=BB10_1685 Depth=2
	s_and_not1_saveexec_b32 s21, s21
; %bb.1716:                             ;   in Loop: Header=BB10_1685 Depth=2
	v_and_b32_e32 v3, 0xffff, v2
	v_or_b32_e32 v86, 0x10000, v2
	s_delay_alu instid0(VALU_DEP_2) | instskip(NEXT) | instid1(VALU_DEP_2)
	v_cmp_eq_u32_e32 vcc_lo, 0, v3
	v_cndmask_b32_e32 v118, v86, v2, vcc_lo
; %bb.1717:                             ;   in Loop: Header=BB10_1685 Depth=2
	s_or_b32 exec_lo, exec_lo, s21
	flat_load_u16 v2, v[82:83] offset:512 th:TH_LOAD_NT
	s_mov_b32 s21, exec_lo
                                        ; implicit-def: $vgpr119
	s_wait_loadcnt_dscnt 0x0
	v_lshlrev_b32_e32 v2, 16, v2
	s_delay_alu instid0(VALU_DEP_1) | instskip(NEXT) | instid1(VALU_DEP_1)
	v_mul_f32_e32 v2, v101, v2
	v_and_b32_e32 v3, 0x7f800000, v2
	s_wait_xcnt 0x0
	s_delay_alu instid0(VALU_DEP_1)
	v_cmpx_ne_u32_e32 0x7f800000, v3
	s_xor_b32 s21, exec_lo, s21
; %bb.1718:                             ;   in Loop: Header=BB10_1685 Depth=2
	v_bfe_u32 v3, v2, 16, 1
	s_delay_alu instid0(VALU_DEP_1)
	v_add3_u32 v119, v2, v3, 0x7fff
                                        ; implicit-def: $vgpr2
; %bb.1719:                             ;   in Loop: Header=BB10_1685 Depth=2
	s_and_not1_saveexec_b32 s21, s21
; %bb.1720:                             ;   in Loop: Header=BB10_1685 Depth=2
	v_and_b32_e32 v3, 0xffff, v2
	v_or_b32_e32 v86, 0x10000, v2
	s_delay_alu instid0(VALU_DEP_2) | instskip(NEXT) | instid1(VALU_DEP_2)
	v_cmp_eq_u32_e32 vcc_lo, 0, v3
	v_cndmask_b32_e32 v119, v86, v2, vcc_lo
; %bb.1721:                             ;   in Loop: Header=BB10_1685 Depth=2
	s_or_b32 exec_lo, exec_lo, s21
	flat_load_u16 v2, v[82:83] offset:576 th:TH_LOAD_NT
	s_mov_b32 s21, exec_lo
                                        ; implicit-def: $vgpr40
	s_wait_loadcnt_dscnt 0x0
	v_lshlrev_b32_e32 v2, 16, v2
	s_delay_alu instid0(VALU_DEP_1) | instskip(NEXT) | instid1(VALU_DEP_1)
	v_mul_f32_e32 v2, v101, v2
	v_and_b32_e32 v3, 0x7f800000, v2
	s_wait_xcnt 0x0
	s_delay_alu instid0(VALU_DEP_1)
	v_cmpx_ne_u32_e32 0x7f800000, v3
	s_xor_b32 s21, exec_lo, s21
; %bb.1722:                             ;   in Loop: Header=BB10_1685 Depth=2
	v_bfe_u32 v3, v2, 16, 1
	s_delay_alu instid0(VALU_DEP_1)
	v_add3_u32 v40, v2, v3, 0x7fff
                                        ; implicit-def: $vgpr2
; %bb.1723:                             ;   in Loop: Header=BB10_1685 Depth=2
	s_and_not1_saveexec_b32 s21, s21
; %bb.1724:                             ;   in Loop: Header=BB10_1685 Depth=2
	v_and_b32_e32 v3, 0xffff, v2
	v_or_b32_e32 v86, 0x10000, v2
	s_delay_alu instid0(VALU_DEP_2) | instskip(NEXT) | instid1(VALU_DEP_2)
	v_cmp_eq_u32_e32 vcc_lo, 0, v3
	v_cndmask_b32_e32 v40, v86, v2, vcc_lo
; %bb.1725:                             ;   in Loop: Header=BB10_1685 Depth=2
	s_or_b32 exec_lo, exec_lo, s21
	flat_load_u16 v2, v[82:83] offset:640 th:TH_LOAD_NT
	s_wait_loadcnt_dscnt 0x0
	v_lshlrev_b32_e32 v2, 16, v2
	s_delay_alu instid0(VALU_DEP_1) | instskip(NEXT) | instid1(VALU_DEP_1)
	v_mul_f32_e32 v3, v101, v2
	v_and_b32_e32 v2, 0x7f800000, v3
	s_delay_alu instid0(VALU_DEP_1) | instskip(SKIP_2) | instid1(SALU_CYCLE_1)
	v_cmp_ne_u32_e32 vcc_lo, 0x7f800000, v2
                                        ; implicit-def: $vgpr2
	s_wait_xcnt 0x0
	s_and_saveexec_b32 s21, vcc_lo
	s_xor_b32 s21, exec_lo, s21
; %bb.1726:                             ;   in Loop: Header=BB10_1685 Depth=2
	v_bfe_u32 v2, v3, 16, 1
	s_delay_alu instid0(VALU_DEP_1)
	v_add3_u32 v2, v3, v2, 0x7fff
                                        ; implicit-def: $vgpr3
; %bb.1727:                             ;   in Loop: Header=BB10_1685 Depth=2
	s_and_not1_saveexec_b32 s21, s21
; %bb.1728:                             ;   in Loop: Header=BB10_1685 Depth=2
	v_and_b32_e32 v2, 0xffff, v3
	v_or_b32_e32 v86, 0x10000, v3
	s_delay_alu instid0(VALU_DEP_2) | instskip(NEXT) | instid1(VALU_DEP_2)
	v_cmp_eq_u32_e32 vcc_lo, 0, v2
	v_cndmask_b32_e32 v2, v86, v3, vcc_lo
; %bb.1729:                             ;   in Loop: Header=BB10_1685 Depth=2
	s_or_b32 exec_lo, exec_lo, s21
	flat_load_u16 v3, v[82:83] offset:704 th:TH_LOAD_NT
	s_wait_loadcnt_dscnt 0x0
	v_lshlrev_b32_e32 v3, 16, v3
	s_delay_alu instid0(VALU_DEP_1) | instskip(NEXT) | instid1(VALU_DEP_1)
	v_mul_f32_e32 v86, v101, v3
	v_and_b32_e32 v3, 0x7f800000, v86
	s_delay_alu instid0(VALU_DEP_1) | instskip(SKIP_2) | instid1(SALU_CYCLE_1)
	v_cmp_ne_u32_e32 vcc_lo, 0x7f800000, v3
                                        ; implicit-def: $vgpr3
	s_wait_xcnt 0x0
	s_and_saveexec_b32 s21, vcc_lo
	s_xor_b32 s21, exec_lo, s21
; %bb.1730:                             ;   in Loop: Header=BB10_1685 Depth=2
	v_bfe_u32 v3, v86, 16, 1
	s_delay_alu instid0(VALU_DEP_1)
	v_add3_u32 v3, v86, v3, 0x7fff
                                        ; implicit-def: $vgpr86
; %bb.1731:                             ;   in Loop: Header=BB10_1685 Depth=2
	s_and_not1_saveexec_b32 s21, s21
; %bb.1732:                             ;   in Loop: Header=BB10_1685 Depth=2
	v_and_b32_e32 v3, 0xffff, v86
	v_or_b32_e32 v87, 0x10000, v86
	s_delay_alu instid0(VALU_DEP_2) | instskip(NEXT) | instid1(VALU_DEP_2)
	v_cmp_eq_u32_e32 vcc_lo, 0, v3
	v_cndmask_b32_e32 v3, v87, v86, vcc_lo
; %bb.1733:                             ;   in Loop: Header=BB10_1685 Depth=2
	s_or_b32 exec_lo, exec_lo, s21
	flat_load_u16 v86, v[82:83] offset:768 th:TH_LOAD_NT
	s_mov_b32 s21, exec_lo
                                        ; implicit-def: $vgpr116
	s_wait_loadcnt_dscnt 0x0
	v_lshlrev_b32_e32 v86, 16, v86
	s_delay_alu instid0(VALU_DEP_1) | instskip(NEXT) | instid1(VALU_DEP_1)
	v_mul_f32_e32 v86, v101, v86
	v_and_b32_e32 v87, 0x7f800000, v86
	s_wait_xcnt 0x0
	s_delay_alu instid0(VALU_DEP_1)
	v_cmpx_ne_u32_e32 0x7f800000, v87
	s_xor_b32 s21, exec_lo, s21
; %bb.1734:                             ;   in Loop: Header=BB10_1685 Depth=2
	v_bfe_u32 v87, v86, 16, 1
	s_delay_alu instid0(VALU_DEP_1)
	v_add3_u32 v116, v86, v87, 0x7fff
                                        ; implicit-def: $vgpr86
; %bb.1735:                             ;   in Loop: Header=BB10_1685 Depth=2
	s_and_not1_saveexec_b32 s21, s21
; %bb.1736:                             ;   in Loop: Header=BB10_1685 Depth=2
	v_and_b32_e32 v87, 0xffff, v86
	v_or_b32_e32 v116, 0x10000, v86
	s_delay_alu instid0(VALU_DEP_2) | instskip(NEXT) | instid1(VALU_DEP_2)
	v_cmp_eq_u32_e32 vcc_lo, 0, v87
	v_cndmask_b32_e32 v116, v116, v86, vcc_lo
; %bb.1737:                             ;   in Loop: Header=BB10_1685 Depth=2
	s_or_b32 exec_lo, exec_lo, s21
	flat_load_u16 v86, v[82:83] offset:832 th:TH_LOAD_NT
	s_wait_loadcnt_dscnt 0x0
	v_lshlrev_b32_e32 v86, 16, v86
	s_delay_alu instid0(VALU_DEP_1) | instskip(NEXT) | instid1(VALU_DEP_1)
	v_mul_f32_e32 v86, v101, v86
	v_and_b32_e32 v87, 0x7f800000, v86
	s_delay_alu instid0(VALU_DEP_1) | instskip(SKIP_2) | instid1(SALU_CYCLE_1)
	v_cmp_ne_u32_e32 vcc_lo, 0x7f800000, v87
                                        ; implicit-def: $vgpr87
	s_wait_xcnt 0x0
	s_and_saveexec_b32 s21, vcc_lo
	s_xor_b32 s21, exec_lo, s21
; %bb.1738:                             ;   in Loop: Header=BB10_1685 Depth=2
	v_bfe_u32 v87, v86, 16, 1
	s_delay_alu instid0(VALU_DEP_1)
	v_add3_u32 v87, v86, v87, 0x7fff
                                        ; implicit-def: $vgpr86
; %bb.1739:                             ;   in Loop: Header=BB10_1685 Depth=2
	s_and_not1_saveexec_b32 s21, s21
; %bb.1740:                             ;   in Loop: Header=BB10_1685 Depth=2
	v_and_b32_e32 v87, 0xffff, v86
	v_or_b32_e32 v41, 0x10000, v86
	s_delay_alu instid0(VALU_DEP_2) | instskip(NEXT) | instid1(VALU_DEP_2)
	v_cmp_eq_u32_e32 vcc_lo, 0, v87
	v_cndmask_b32_e32 v87, v41, v86, vcc_lo
; %bb.1741:                             ;   in Loop: Header=BB10_1685 Depth=2
	s_or_b32 exec_lo, exec_lo, s21
	flat_load_u16 v86, v[82:83] offset:896 th:TH_LOAD_NT
	s_wait_loadcnt_dscnt 0x0
	v_lshlrev_b32_e32 v86, 16, v86
	s_delay_alu instid0(VALU_DEP_1) | instskip(NEXT) | instid1(VALU_DEP_1)
	v_mul_f32_e32 v41, v101, v86
	v_and_b32_e32 v86, 0x7f800000, v41
	s_delay_alu instid0(VALU_DEP_1) | instskip(SKIP_2) | instid1(SALU_CYCLE_1)
	v_cmp_ne_u32_e32 vcc_lo, 0x7f800000, v86
                                        ; implicit-def: $vgpr86
	s_wait_xcnt 0x0
	s_and_saveexec_b32 s21, vcc_lo
	s_xor_b32 s21, exec_lo, s21
; %bb.1742:                             ;   in Loop: Header=BB10_1685 Depth=2
	v_bfe_u32 v86, v41, 16, 1
	s_delay_alu instid0(VALU_DEP_1)
	v_add3_u32 v86, v41, v86, 0x7fff
                                        ; implicit-def: $vgpr41
; %bb.1743:                             ;   in Loop: Header=BB10_1685 Depth=2
	s_and_not1_saveexec_b32 s21, s21
; %bb.1744:                             ;   in Loop: Header=BB10_1685 Depth=2
	v_and_b32_e32 v86, 0xffff, v41
	v_or_b32_e32 v42, 0x10000, v41
	s_delay_alu instid0(VALU_DEP_2) | instskip(NEXT) | instid1(VALU_DEP_2)
	v_cmp_eq_u32_e32 vcc_lo, 0, v86
	v_cndmask_b32_e32 v86, v42, v41, vcc_lo
; %bb.1745:                             ;   in Loop: Header=BB10_1685 Depth=2
	s_or_b32 exec_lo, exec_lo, s21
	flat_load_u16 v82, v[82:83] offset:960 th:TH_LOAD_NT
	s_wait_loadcnt_dscnt 0x0
	v_lshlrev_b32_e32 v82, 16, v82
	s_delay_alu instid0(VALU_DEP_1) | instskip(NEXT) | instid1(VALU_DEP_1)
	v_mul_f32_e32 v83, v101, v82
	v_and_b32_e32 v82, 0x7f800000, v83
	s_delay_alu instid0(VALU_DEP_1) | instskip(SKIP_1) | instid1(SALU_CYCLE_1)
	v_cmp_ne_u32_e32 vcc_lo, 0x7f800000, v82
                                        ; implicit-def: $vgpr82
	s_and_saveexec_b32 s21, vcc_lo
	s_xor_b32 s21, exec_lo, s21
; %bb.1746:                             ;   in Loop: Header=BB10_1685 Depth=2
	v_bfe_u32 v82, v83, 16, 1
	s_delay_alu instid0(VALU_DEP_1)
	v_add3_u32 v82, v83, v82, 0x7fff
                                        ; implicit-def: $vgpr83
; %bb.1747:                             ;   in Loop: Header=BB10_1685 Depth=2
	s_and_not1_saveexec_b32 s21, s21
	s_cbranch_execz .LBB10_1684
; %bb.1748:                             ;   in Loop: Header=BB10_1685 Depth=2
	v_and_b32_e32 v82, 0xffff, v83
	v_or_b32_e32 v41, 0x10000, v83
	s_delay_alu instid0(VALU_DEP_2) | instskip(NEXT) | instid1(VALU_DEP_2)
	v_cmp_eq_u32_e32 vcc_lo, 0, v82
	v_cndmask_b32_e32 v82, v41, v83, vcc_lo
	s_branch .LBB10_1684
.LBB10_1749:                            ;   in Loop: Header=BB10_1311 Depth=1
	s_or_b32 exec_lo, exec_lo, s20
.LBB10_1750:                            ;   in Loop: Header=BB10_1311 Depth=1
	s_delay_alu instid0(SALU_CYCLE_1) | instskip(SKIP_1) | instid1(VALU_DEP_1)
	s_or_b32 exec_lo, exec_lo, s19
	v_lshlrev_b32_e32 v2, 10, v100
	v_cmp_ne_u32_e32 vcc_lo, v97, v2
	s_and_b32 exec_lo, exec_lo, vcc_lo
	s_cbranch_execz .LBB10_1758
; %bb.1751:                             ;   in Loop: Header=BB10_1311 Depth=1
	v_dual_lshlrev_b32 v3, 5, v98 :: v_dual_lshlrev_b32 v10, 5, v99
	s_delay_alu instid0(VALU_DEP_1) | instskip(NEXT) | instid1(VALU_DEP_1)
	v_sub_nc_u32_e32 v3, v85, v3
	v_sub_nc_u32_e32 v3, v3, v10
	s_delay_alu instid0(VALU_DEP_1) | instskip(NEXT) | instid1(VALU_DEP_1)
	v_ashrrev_i32_e32 v10, 31, v3
	v_lshrrev_b32_e32 v10, 27, v10
	s_delay_alu instid0(VALU_DEP_1) | instskip(NEXT) | instid1(VALU_DEP_1)
	v_add_nc_u32_e32 v10, v3, v10
	v_and_b32_e32 v11, 0x7fffffe0, v10
	s_delay_alu instid0(VALU_DEP_1) | instskip(NEXT) | instid1(VALU_DEP_1)
	v_dual_lshlrev_b32 v10, 1, v10 :: v_dual_sub_nc_u32 v3, v3, v11
	v_and_b32_e32 v10, 0xffffffc0, v10
	s_delay_alu instid0(VALU_DEP_2) | instskip(NEXT) | instid1(VALU_DEP_1)
	v_lshlrev_b32_e32 v3, 1, v3
	v_add3_u32 v3, v10, v3, v2
	s_delay_alu instid0(VALU_DEP_1) | instskip(NEXT) | instid1(VALU_DEP_1)
	v_sub_nc_u32_e32 v2, v97, v3
	v_cmp_lt_i32_e32 vcc_lo, 1, v2
	s_and_b32 exec_lo, exec_lo, vcc_lo
	s_cbranch_execz .LBB10_1758
; %bb.1752:                             ;   in Loop: Header=BB10_1311 Depth=1
	s_trap 2
	ds_load_b32 v12, v0
	v_add_nc_u32_e32 v10, v3, v84
	s_mov_b32 s19, 0
	s_wait_dscnt 0x0
	s_delay_alu instid0(VALU_DEP_1)
	v_dual_ashrrev_i32 v11, 31, v10 :: v_dual_lshlrev_b32 v3, 16, v12
	s_branch .LBB10_1754
.LBB10_1753:                            ;   in Loop: Header=BB10_1754 Depth=2
	s_or_b32 exec_lo, exec_lo, s20
	v_sub_nc_u32_e32 v2, v2, v24
	v_add_nc_u64_e32 v[80:81], v[70:71], v[10:11]
	v_add_nc_u64_e32 v[10:11], v[10:11], v[24:25]
	s_delay_alu instid0(VALU_DEP_3)
	v_cmp_gt_i32_e32 vcc_lo, 2, v2
	flat_store_d16_hi_b16 v[80:81], v12 th:TH_STORE_NT
	s_or_b32 s19, vcc_lo, s19
	s_wait_xcnt 0x0
	s_and_not1_b32 exec_lo, exec_lo, s19
	s_cbranch_execz .LBB10_1758
.LBB10_1754:                            ;   Parent Loop BB10_1311 Depth=1
                                        ; =>  This Inner Loop Header: Depth=2
	s_delay_alu instid0(VALU_DEP_1) | instskip(SKIP_4) | instid1(VALU_DEP_1)
	v_add_nc_u64_e32 v[12:13], v[68:69], v[10:11]
	flat_load_u16 v12, v[12:13] th:TH_LOAD_NT
	s_wait_loadcnt_dscnt 0x0
	s_wait_xcnt 0x0
	v_lshlrev_b32_e32 v12, 16, v12
	v_mul_f32_e32 v13, v3, v12
	s_delay_alu instid0(VALU_DEP_1) | instskip(NEXT) | instid1(VALU_DEP_1)
	v_and_b32_e32 v12, 0x7f800000, v13
	v_cmp_ne_u32_e32 vcc_lo, 0x7f800000, v12
                                        ; implicit-def: $vgpr12
	s_and_saveexec_b32 s20, vcc_lo
	s_delay_alu instid0(SALU_CYCLE_1)
	s_xor_b32 s20, exec_lo, s20
; %bb.1755:                             ;   in Loop: Header=BB10_1754 Depth=2
	v_bfe_u32 v12, v13, 16, 1
	s_delay_alu instid0(VALU_DEP_1)
	v_add3_u32 v12, v13, v12, 0x7fff
                                        ; implicit-def: $vgpr13
; %bb.1756:                             ;   in Loop: Header=BB10_1754 Depth=2
	s_and_not1_saveexec_b32 s20, s20
	s_cbranch_execz .LBB10_1753
; %bb.1757:                             ;   in Loop: Header=BB10_1754 Depth=2
	v_and_b32_e32 v12, 0xffff, v13
	v_or_b32_e32 v80, 0x10000, v13
	s_delay_alu instid0(VALU_DEP_2) | instskip(NEXT) | instid1(VALU_DEP_2)
	v_cmp_eq_u32_e32 vcc_lo, 0, v12
	v_cndmask_b32_e32 v12, v80, v13, vcc_lo
	s_branch .LBB10_1753
.LBB10_1758:                            ;   in Loop: Header=BB10_1311 Depth=1
	s_or_b32 exec_lo, exec_lo, s10
	v_cmp_ne_u32_e64 s10, 0, v14
	s_and_saveexec_b32 s19, s2
	s_cbranch_execz .LBB10_1777
.LBB10_1759:                            ;   in Loop: Header=BB10_1311 Depth=1
	s_and_saveexec_b32 s20, s3
	s_delay_alu instid0(SALU_CYCLE_1)
	s_xor_b32 s20, exec_lo, s20
	s_cbranch_execz .LBB10_1774
; %bb.1760:                             ;   in Loop: Header=BB10_1311 Depth=1
	s_and_saveexec_b32 s21, s4
	s_cbranch_execz .LBB10_1773
; %bb.1761:                             ;   in Loop: Header=BB10_1311 Depth=1
	s_mov_b32 s23, exec_lo
	s_mov_b32 s22, exec_lo
	v_mbcnt_lo_u32_b32 v2, s23, 0
	global_wb scope:SCOPE_DEV
	s_wait_storecnt 0x0
	s_wait_loadcnt_dscnt 0x0
	global_inv scope:SCOPE_DEV
	v_cmpx_eq_u32_e32 0, v2
	s_cbranch_execz .LBB10_1763
; %bb.1762:                             ;   in Loop: Header=BB10_1311 Depth=1
	s_bcnt1_i32_b32 s23, s23
	s_delay_alu instid0(SALU_CYCLE_1)
	v_mov_b32_e32 v14, s23
	s_wait_loadcnt 0x0
	ds_add_u64 v0, v[14:15]
	s_trap 2
.LBB10_1763:                            ;   in Loop: Header=BB10_1311 Depth=1
	s_or_b32 exec_lo, exec_lo, s22
	s_trap 2
	ds_load_b64 v[2:3], v0
	s_wait_dscnt 0x0
	v_add_nc_u64_e32 v[38:39], v[38:39], v[16:17]
	s_mov_b32 s22, exec_lo
	s_delay_alu instid0(VALU_DEP_1)
	v_cmpx_lt_u64_e64 v[2:3], v[38:39]
	s_cbranch_execz .LBB10_1772
; %bb.1764:                             ;   in Loop: Header=BB10_1311 Depth=1
	s_mov_b32 s23, 0
	s_mov_b32 s26, 0
                                        ; implicit-def: $sgpr24
                                        ; implicit-def: $sgpr25
	s_branch .LBB10_1766
.LBB10_1765:                            ;   in Loop: Header=BB10_1766 Depth=2
	s_or_b32 exec_lo, exec_lo, s28
	s_delay_alu instid0(SALU_CYCLE_1) | instskip(NEXT) | instid1(SALU_CYCLE_1)
	s_and_b32 s27, exec_lo, s29
	s_or_b32 s23, s27, s23
	s_and_not1_b32 s24, s24, exec_lo
	s_and_b32 s27, s25, exec_lo
	s_delay_alu instid0(SALU_CYCLE_1)
	s_or_b32 s24, s24, s27
	s_and_not1_b32 exec_lo, exec_lo, s23
	s_cbranch_execz .LBB10_1770
.LBB10_1766:                            ;   Parent Loop BB10_1311 Depth=1
                                        ; =>  This Inner Loop Header: Depth=2
	s_add_co_i32 s26, s26, 1
	s_delay_alu instid0(SALU_CYCLE_1) | instskip(SKIP_1) | instid1(SALU_CYCLE_1)
	s_cmp_lg_u32 s26, 0x2710
	s_cselect_b32 s27, -1, 0
	s_and_b32 vcc_lo, exec_lo, s27
	s_cbranch_vccz .LBB10_1768
; %bb.1767:                             ;   in Loop: Header=BB10_1766 Depth=2
	s_mov_b32 s29, -1
	s_or_b32 s25, s25, exec_lo
	s_and_saveexec_b32 s28, s27
	s_cbranch_execz .LBB10_1765
	s_branch .LBB10_1769
.LBB10_1768:                            ;   in Loop: Header=BB10_1766 Depth=2
	s_trap 2
	ds_load_b64 v[2:3], v0
	s_and_not1_b32 s27, s27, exec_lo
	s_mov_b32 s26, 0
	s_wait_loadcnt_dscnt 0x0
	flat_load_b32 v2, v[2:3] scope:SCOPE_SYS
	s_wait_loadcnt_dscnt 0x0
	global_inv scope:SCOPE_SYS
	v_cmp_eq_u32_e32 vcc_lo, 0, v2
	s_and_b32 s28, vcc_lo, exec_lo
	s_delay_alu instid0(SALU_CYCLE_1)
	s_or_b32 s27, s27, s28
	s_mov_b32 s29, -1
	s_or_b32 s25, s25, exec_lo
	s_and_saveexec_b32 s28, s27
	s_cbranch_execz .LBB10_1765
.LBB10_1769:                            ;   in Loop: Header=BB10_1766 Depth=2
	s_sleep 1
	s_trap 2
	ds_load_b64 v[2:3], v0
	s_wait_dscnt 0x0
	s_and_not1_b32 s25, s25, exec_lo
	v_cmp_ge_u64_e32 vcc_lo, v[2:3], v[38:39]
	s_or_not1_b32 s29, vcc_lo, exec_lo
	s_branch .LBB10_1765
.LBB10_1770:                            ;   in Loop: Header=BB10_1311 Depth=1
	s_or_b32 exec_lo, exec_lo, s23
	s_and_saveexec_b32 s23, s24
	s_delay_alu instid0(SALU_CYCLE_1)
	s_xor_b32 s23, exec_lo, s23
	s_cbranch_execz .LBB10_1772
; %bb.1771:                             ;   in Loop: Header=BB10_1311 Depth=1
	ds_store_b32 v0, v96
	s_trap 2
.LBB10_1772:                            ;   in Loop: Header=BB10_1311 Depth=1
	s_or_b32 exec_lo, exec_lo, s22
	;;#ASMSTART
	s_wakeup
	;;#ASMEND
.LBB10_1773:                            ;   in Loop: Header=BB10_1311 Depth=1
	s_or_b32 exec_lo, exec_lo, s21
.LBB10_1774:                            ;   in Loop: Header=BB10_1311 Depth=1
	s_and_not1_saveexec_b32 s20, s20
	s_cbranch_execz .LBB10_1776
; %bb.1775:                             ;   in Loop: Header=BB10_1311 Depth=1
	global_wb scope:SCOPE_DEV
	s_wait_storecnt 0x0
	s_wait_loadcnt_dscnt 0x0
	global_inv scope:SCOPE_DEV
	s_barrier_signal -1
	s_barrier_wait -1
.LBB10_1776:                            ;   in Loop: Header=BB10_1311 Depth=1
	s_or_b32 exec_lo, exec_lo, s20
.LBB10_1777:                            ;   in Loop: Header=BB10_1311 Depth=1
	s_delay_alu instid0(SALU_CYCLE_1) | instskip(SKIP_1) | instid1(VALU_DEP_1)
	s_or_b32 exec_lo, exec_lo, s19
	v_and_b32_e32 v2, 16, v30
	v_cmp_ne_u32_e32 vcc_lo, 0, v2
	s_and_b32 s19, vcc_lo, s10
	s_delay_alu instid0(SALU_CYCLE_1)
	s_and_saveexec_b32 s10, s19
	s_cbranch_execz .LBB10_1779
; %bb.1778:                             ;   in Loop: Header=BB10_1311 Depth=1
	global_wb scope:SCOPE_SYS
	s_wait_storecnt 0x0
	s_wait_loadcnt_dscnt 0x0
	global_inv scope:SCOPE_SYS
.LBB10_1779:                            ;   in Loop: Header=BB10_1311 Depth=1
	s_or_b32 exec_lo, exec_lo, s10
	s_delay_alu instid0(SALU_CYCLE_1)
	s_mov_b32 s10, exec_lo
	v_cmpx_ne_u32_e32 0, v2
	s_cbranch_execz .LBB10_1783
; %bb.1780:                             ;   in Loop: Header=BB10_1311 Depth=1
	s_and_saveexec_b32 s19, s7
	s_cbranch_execz .LBB10_1782
; %bb.1781:                             ;   in Loop: Header=BB10_1311 Depth=1
	global_wb scope:SCOPE_SYS
	s_wait_storecnt 0x0
	s_wait_loadcnt_dscnt 0x0
	flat_store_b32 v[52:53], v96 scope:SCOPE_SYS
.LBB10_1782:                            ;   in Loop: Header=BB10_1311 Depth=1
	s_wait_xcnt 0x0
	s_or_b32 exec_lo, exec_lo, s19
	v_add_nc_u64_e32 v[8:9], 1, v[8:9]
	global_wb scope:SCOPE_SYS
	s_wait_storecnt 0x0
	s_wait_loadcnt_dscnt 0x0
	flat_store_b64 v[32:33], v[8:9] scope:SCOPE_SYS
.LBB10_1783:                            ;   in Loop: Header=BB10_1311 Depth=1
	s_wait_xcnt 0x0
	s_or_b32 exec_lo, exec_lo, s10
	v_mov_b32_e32 v2, v67
.LBB10_1784:                            ;   in Loop: Header=BB10_1311 Depth=1
	s_or_b32 exec_lo, exec_lo, s18
	s_and_saveexec_b32 s18, s17
	s_cbranch_execz .LBB10_1310
; %bb.1785:                             ;   in Loop: Header=BB10_1311 Depth=1
	s_delay_alu instid0(VALU_DEP_1) | instskip(SKIP_2) | instid1(VALU_DEP_2)
	v_sub_nc_u32_e32 v2, v66, v2
	v_and_b32_e32 v3, 8, v30
	s_mov_b32 s17, exec_lo
	v_min_i32_e32 v10, v67, v2
	s_delay_alu instid0(VALU_DEP_2)
	v_cmpx_ne_u32_e32 0, v3
	s_cbranch_execz .LBB10_1807
; %bb.1786:                             ;   in Loop: Header=BB10_1311 Depth=1
	s_wait_loadcnt 0x0
	v_add_nc_u64_e32 v[2:3], 8, v[48:49]
	v_add_nc_u64_e32 v[12:13], 1, v[8:9]
	s_mov_b32 s19, exec_lo
	s_delay_alu instid0(VALU_DEP_1)
	v_cmpx_lt_u64_e64 v[2:3], v[12:13]
	s_cbranch_execz .LBB10_1798
; %bb.1787:                             ;   in Loop: Header=BB10_1311 Depth=1
	v_and_b32_e32 v2, 64, v30
	s_mov_b32 s20, 0
	s_mov_b32 s24, 0
                                        ; implicit-def: $sgpr21
                                        ; implicit-def: $sgpr22
                                        ; implicit-def: $sgpr23
	s_delay_alu instid0(VALU_DEP_1)
	v_cmp_eq_u32_e32 vcc_lo, 0, v2
	s_branch .LBB10_1791
.LBB10_1788:                            ;   in Loop: Header=BB10_1791 Depth=2
	s_wait_loadcnt_dscnt 0x0
	v_add_nc_u64_e32 v[66:67], 8, v[48:49]
	s_or_b32 s27, s27, exec_lo
	s_delay_alu instid0(VALU_DEP_1)
	v_cmp_ge_u64_e64 s10, v[66:67], v[12:13]
	s_or_not1_b32 s26, s10, exec_lo
.LBB10_1789:                            ;   in Loop: Header=BB10_1791 Depth=2
	s_or_b32 exec_lo, exec_lo, s29
	s_delay_alu instid0(SALU_CYCLE_1)
	s_and_not1_b32 s10, s23, exec_lo
	s_and_b32 s23, s27, exec_lo
	s_and_not1_b32 s22, s22, exec_lo
	s_and_b32 s26, s26, exec_lo
	s_or_b32 s23, s10, s23
	s_or_b32 s22, s22, s26
.LBB10_1790:                            ;   in Loop: Header=BB10_1791 Depth=2
	s_or_b32 exec_lo, exec_lo, s25
	s_delay_alu instid0(SALU_CYCLE_1) | instskip(NEXT) | instid1(SALU_CYCLE_1)
	s_and_b32 s10, exec_lo, s22
	s_or_b32 s20, s10, s20
	s_and_not1_b32 s10, s21, exec_lo
	s_and_b32 s21, s23, exec_lo
	s_delay_alu instid0(SALU_CYCLE_1)
	s_or_b32 s21, s10, s21
	s_and_not1_b32 exec_lo, exec_lo, s20
	s_cbranch_execz .LBB10_1795
.LBB10_1791:                            ;   Parent Loop BB10_1311 Depth=1
                                        ; =>  This Inner Loop Header: Depth=2
	s_sleep 1
	s_wait_loadcnt_dscnt 0x0
	flat_load_b64 v[48:49], v[32:33] scope:SCOPE_SYS
	s_or_b32 s23, s23, exec_lo
	s_or_b32 s22, s22, exec_lo
                                        ; implicit-def: $vgpr2
	s_wait_xcnt 0x0
	s_and_saveexec_b32 s25, vcc_lo
	s_cbranch_execz .LBB10_1790
; %bb.1792:                             ;   in Loop: Header=BB10_1791 Depth=2
	s_cmp_lt_i32 s24, 0x270f
	s_mov_b32 s26, -1
	s_cselect_b32 s28, -1, 0
	s_cmp_gt_i32 s24, 0x270e
	s_cbranch_scc0 .LBB10_1794
; %bb.1793:                             ;   in Loop: Header=BB10_1791 Depth=2
	s_trap 2
	ds_load_b64 v[2:3], v0
	s_and_not1_b32 s24, s28, exec_lo
	s_mov_b32 s27, 0
	s_wait_storecnt 0x0
	s_wait_loadcnt_dscnt 0x0
	flat_load_b32 v2, v[2:3] scope:SCOPE_SYS
	s_wait_loadcnt_dscnt 0x0
	global_inv scope:SCOPE_SYS
	v_cmp_eq_u32_e64 s10, 0, v2
	s_and_b32 s10, s10, exec_lo
	s_delay_alu instid0(SALU_CYCLE_1)
	s_or_b32 s28, s24, s10
	s_mov_b32 s24, 0
	s_and_saveexec_b32 s29, s28
	s_cbranch_execz .LBB10_1789
	s_branch .LBB10_1788
.LBB10_1794:                            ;   in Loop: Header=BB10_1791 Depth=2
	s_add_co_i32 s24, s24, 1
	s_mov_b32 s27, -1
                                        ; implicit-def: $vgpr2
	s_and_saveexec_b32 s29, s28
	s_cbranch_execz .LBB10_1789
	s_branch .LBB10_1788
.LBB10_1795:                            ;   in Loop: Header=BB10_1311 Depth=1
	s_or_b32 exec_lo, exec_lo, s20
	s_xor_b32 s10, s21, -1
	s_delay_alu instid0(SALU_CYCLE_1) | instskip(NEXT) | instid1(SALU_CYCLE_1)
	s_and_saveexec_b32 s20, s10
	s_xor_b32 s10, exec_lo, s20
	s_cbranch_execz .LBB10_1797
; %bb.1796:                             ;   in Loop: Header=BB10_1311 Depth=1
	v_or_b32_e32 v30, 64, v30
	s_wait_storecnt 0x0
	s_wait_loadcnt_dscnt 0x0
	ds_store_b32 v0, v2
	s_trap 2
.LBB10_1797:                            ;   in Loop: Header=BB10_1311 Depth=1
	s_or_b32 exec_lo, exec_lo, s10
.LBB10_1798:                            ;   in Loop: Header=BB10_1311 Depth=1
	s_delay_alu instid0(SALU_CYCLE_1)
	s_or_b32 exec_lo, exec_lo, s19
	v_and_b32_e32 v2, 0x100, v30
	v_and_b32_e32 v14, 7, v8
	s_mov_b32 s19, 0
	s_mov_b32 s10, exec_lo
	;;#ASMSTART
	s_wakeup
	;;#ASMEND
                                        ; implicit-def: $vgpr8_vgpr9
	v_cmpx_ne_u32_e32 0, v2
	s_xor_b32 s10, exec_lo, s10
	s_cbranch_execz .LBB10_1819
; %bb.1799:                             ;   in Loop: Header=BB10_1311 Depth=1
	v_mad_nc_u64_u32 v[66:67], v14, 24, v[6:7]
	v_ashrrev_i32_e32 v11, 31, v10
	s_mov_b32 s19, -1
	s_delay_alu instid0(VALU_DEP_1)
	v_lshlrev_b64_e32 v[2:3], 1, v[10:11]
	s_clause 0x1
	flat_load_b32 v8, v[66:67]
	flat_store_b64 v[66:67], v[2:3] offset:8
	s_wait_loadcnt_dscnt 0x1
	v_cmp_eq_u32_e32 vcc_lo, 1, v8
                                        ; implicit-def: $vgpr8_vgpr9
	s_wait_xcnt 0x0
	s_and_saveexec_b32 s20, vcc_lo
	s_cbranch_execz .LBB10_1801
; %bb.1800:                             ;   in Loop: Header=BB10_1311 Depth=1
	flat_load_b32 v2, v[66:67] offset:4 scope:SCOPE_SYS
	s_xor_b32 s19, exec_lo, -1
	s_wait_loadcnt_dscnt 0x0
	v_ashrrev_i32_e32 v3, 31, v2
	s_delay_alu instid0(VALU_DEP_1)
	v_lshrrev_b64 v[8:9], 1, v[2:3]
.LBB10_1801:                            ;   in Loop: Header=BB10_1311 Depth=1
	s_wait_xcnt 0x0
	s_or_b32 exec_lo, exec_lo, s20
	s_delay_alu instid0(SALU_CYCLE_1)
	s_and_b32 s19, s19, exec_lo
	s_and_not1_saveexec_b32 s10, s10
	s_cbranch_execnz .LBB10_1820
.LBB10_1802:                            ;   in Loop: Header=BB10_1311 Depth=1
	s_or_b32 exec_lo, exec_lo, s10
	s_and_saveexec_b32 s10, s19
.LBB10_1803:                            ;   in Loop: Header=BB10_1311 Depth=1
	v_mul_u64_e32 v[8:9], v[14:15], v[34:35]
.LBB10_1804:                            ;   in Loop: Header=BB10_1311 Depth=1
	s_or_b32 exec_lo, exec_lo, s10
	v_and_b32_e32 v11, 0x2000, v30
	s_delay_alu instid0(VALU_DEP_2)
	v_lshl_add_u64 v[2:3], v[8:9], 1, v[36:37]
	s_mov_b32 s10, exec_lo
	ds_store_b64 v0, v[2:3] offset:784
	v_cmpx_ne_u32_e32 0, v11
	s_cbranch_execz .LBB10_1806
; %bb.1805:                             ;   in Loop: Header=BB10_1311 Depth=1
	ds_load_b64 v[2:3], v0 offset:872
	s_wait_dscnt 0x0
	v_add_nc_u64_e32 v[2:3], 1, v[2:3]
	ds_store_b64 v0, v[2:3] offset:872
.LBB10_1806:                            ;   in Loop: Header=BB10_1311 Depth=1
	s_or_b32 exec_lo, exec_lo, s10
	v_mov_b64_e32 v[8:9], v[12:13]
.LBB10_1807:                            ;   in Loop: Header=BB10_1311 Depth=1
	s_or_b32 exec_lo, exec_lo, s17
	s_and_saveexec_b32 s10, s2
	s_cbranch_execz .LBB10_1828
; %bb.1808:                             ;   in Loop: Header=BB10_1311 Depth=1
	s_and_saveexec_b32 s17, s3
	s_delay_alu instid0(SALU_CYCLE_1)
	s_xor_b32 s17, exec_lo, s17
	s_cbranch_execz .LBB10_1825
; %bb.1809:                             ;   in Loop: Header=BB10_1311 Depth=1
	s_and_saveexec_b32 s19, s4
	s_cbranch_execz .LBB10_1824
; %bb.1810:                             ;   in Loop: Header=BB10_1311 Depth=1
	s_mov_b32 s21, exec_lo
	s_mov_b32 s20, exec_lo
	v_mbcnt_lo_u32_b32 v2, s21, 0
	global_wb scope:SCOPE_DEV
	s_wait_storecnt 0x0
	s_wait_loadcnt_dscnt 0x0
	global_inv scope:SCOPE_DEV
	v_cmpx_eq_u32_e32 0, v2
	s_cbranch_execz .LBB10_1812
; %bb.1811:                             ;   in Loop: Header=BB10_1311 Depth=1
	s_bcnt1_i32_b32 s21, s21
	s_delay_alu instid0(SALU_CYCLE_1)
	v_mov_b32_e32 v14, s21
	s_wait_loadcnt 0x0
	ds_add_u64 v0, v[14:15]
	s_trap 2
.LBB10_1812:                            ;   in Loop: Header=BB10_1311 Depth=1
	s_or_b32 exec_lo, exec_lo, s20
	s_trap 2
	ds_load_b64 v[2:3], v0
	s_wait_dscnt 0x0
	v_add_nc_u64_e32 v[38:39], v[38:39], v[16:17]
	s_mov_b32 s20, exec_lo
	s_delay_alu instid0(VALU_DEP_1)
	v_cmpx_lt_u64_e64 v[2:3], v[38:39]
	s_cbranch_execz .LBB10_1823
; %bb.1813:                             ;   in Loop: Header=BB10_1311 Depth=1
	s_mov_b32 s21, 0
	s_mov_b32 s24, 0
                                        ; implicit-def: $sgpr22
                                        ; implicit-def: $sgpr23
	s_branch .LBB10_1815
.LBB10_1814:                            ;   in Loop: Header=BB10_1815 Depth=2
	s_or_b32 exec_lo, exec_lo, s26
	s_delay_alu instid0(SALU_CYCLE_1) | instskip(NEXT) | instid1(SALU_CYCLE_1)
	s_and_b32 s25, exec_lo, s27
	s_or_b32 s21, s25, s21
	s_and_not1_b32 s22, s22, exec_lo
	s_and_b32 s25, s23, exec_lo
	s_delay_alu instid0(SALU_CYCLE_1)
	s_or_b32 s22, s22, s25
	s_and_not1_b32 exec_lo, exec_lo, s21
	s_cbranch_execz .LBB10_1821
.LBB10_1815:                            ;   Parent Loop BB10_1311 Depth=1
                                        ; =>  This Inner Loop Header: Depth=2
	s_add_co_i32 s24, s24, 1
	s_delay_alu instid0(SALU_CYCLE_1) | instskip(SKIP_1) | instid1(SALU_CYCLE_1)
	s_cmp_lg_u32 s24, 0x2710
	s_cselect_b32 s25, -1, 0
	s_and_b32 vcc_lo, exec_lo, s25
	s_cbranch_vccz .LBB10_1817
; %bb.1816:                             ;   in Loop: Header=BB10_1815 Depth=2
	s_mov_b32 s27, -1
	s_or_b32 s23, s23, exec_lo
	s_and_saveexec_b32 s26, s25
	s_cbranch_execz .LBB10_1814
	s_branch .LBB10_1818
.LBB10_1817:                            ;   in Loop: Header=BB10_1815 Depth=2
	s_trap 2
	ds_load_b64 v[2:3], v0
	s_and_not1_b32 s25, s25, exec_lo
	s_mov_b32 s24, 0
	s_wait_loadcnt_dscnt 0x0
	flat_load_b32 v2, v[2:3] scope:SCOPE_SYS
	s_wait_loadcnt_dscnt 0x0
	global_inv scope:SCOPE_SYS
	v_cmp_eq_u32_e32 vcc_lo, 0, v2
	s_and_b32 s26, vcc_lo, exec_lo
	s_delay_alu instid0(SALU_CYCLE_1)
	s_or_b32 s25, s25, s26
	s_mov_b32 s27, -1
	s_or_b32 s23, s23, exec_lo
	s_and_saveexec_b32 s26, s25
	s_cbranch_execz .LBB10_1814
.LBB10_1818:                            ;   in Loop: Header=BB10_1815 Depth=2
	s_sleep 1
	s_trap 2
	ds_load_b64 v[2:3], v0
	s_wait_dscnt 0x0
	s_and_not1_b32 s23, s23, exec_lo
	v_cmp_ge_u64_e32 vcc_lo, v[2:3], v[38:39]
	s_or_not1_b32 s27, vcc_lo, exec_lo
	s_branch .LBB10_1814
.LBB10_1819:                            ;   in Loop: Header=BB10_1311 Depth=1
	s_and_not1_saveexec_b32 s10, s10
	s_cbranch_execz .LBB10_1802
.LBB10_1820:                            ;   in Loop: Header=BB10_1311 Depth=1
	s_or_b32 s19, s19, exec_lo
	s_or_b32 exec_lo, exec_lo, s10
	s_and_saveexec_b32 s10, s19
	s_cbranch_execnz .LBB10_1803
	s_branch .LBB10_1804
.LBB10_1821:                            ;   in Loop: Header=BB10_1311 Depth=1
	s_or_b32 exec_lo, exec_lo, s21
	s_and_saveexec_b32 s21, s22
	s_delay_alu instid0(SALU_CYCLE_1)
	s_xor_b32 s21, exec_lo, s21
	s_cbranch_execz .LBB10_1823
; %bb.1822:                             ;   in Loop: Header=BB10_1311 Depth=1
	ds_store_b32 v0, v96
	s_trap 2
.LBB10_1823:                            ;   in Loop: Header=BB10_1311 Depth=1
	s_or_b32 exec_lo, exec_lo, s20
	;;#ASMSTART
	s_wakeup
	;;#ASMEND
.LBB10_1824:                            ;   in Loop: Header=BB10_1311 Depth=1
	s_or_b32 exec_lo, exec_lo, s19
.LBB10_1825:                            ;   in Loop: Header=BB10_1311 Depth=1
	s_and_not1_saveexec_b32 s17, s17
	s_cbranch_execz .LBB10_1827
; %bb.1826:                             ;   in Loop: Header=BB10_1311 Depth=1
	global_wb scope:SCOPE_DEV
	s_wait_storecnt 0x0
	s_wait_loadcnt_dscnt 0x0
	global_inv scope:SCOPE_DEV
	s_barrier_signal -1
	s_barrier_wait -1
.LBB10_1827:                            ;   in Loop: Header=BB10_1311 Depth=1
	s_or_b32 exec_lo, exec_lo, s17
.LBB10_1828:                            ;   in Loop: Header=BB10_1311 Depth=1
	s_delay_alu instid0(SALU_CYCLE_1)
	s_or_b32 exec_lo, exec_lo, s10
	s_trap 2
	ds_load_b32 v2, v0
	v_cmp_lt_i32_e32 vcc_lo, 0, v10
	s_wait_dscnt 0x0
	v_readfirstlane_b32 s10, v2
	v_and_b32_e32 v2, 16, v30
	s_cmp_eq_u32 s10, 0
	s_delay_alu instid0(VALU_DEP_1) | instskip(SKIP_1) | instid1(SALU_CYCLE_1)
	v_cmp_ne_u32_e64 s10, 0, v2
	s_cselect_b32 s17, -1, 0
	s_and_b32 s17, vcc_lo, s17
	s_delay_alu instid0(SALU_CYCLE_1) | instskip(NEXT) | instid1(SALU_CYCLE_1)
	s_and_b32 s17, s10, s17
	s_and_saveexec_b32 s10, s17
	s_cbranch_execz .LBB10_1830
; %bb.1829:                             ;   in Loop: Header=BB10_1311 Depth=1
	global_wb scope:SCOPE_SYS
	s_wait_loadcnt 0x0
	s_wait_storecnt 0x0
	global_inv scope:SCOPE_SYS
.LBB10_1830:                            ;   in Loop: Header=BB10_1311 Depth=1
	s_or_b32 exec_lo, exec_lo, s10
	s_delay_alu instid0(SALU_CYCLE_1)
	s_mov_b32 s10, exec_lo
	v_cmpx_ne_u32_e32 0, v2
	s_cbranch_execz .LBB10_1309
; %bb.1831:                             ;   in Loop: Header=BB10_1311 Depth=1
	s_and_saveexec_b32 s17, s7
	s_cbranch_execz .LBB10_1308
; %bb.1832:                             ;   in Loop: Header=BB10_1311 Depth=1
	global_wb scope:SCOPE_SYS
	s_wait_loadcnt 0x0
	s_wait_storecnt 0x0
	flat_store_b32 v[52:53], v96 scope:SCOPE_SYS
	s_branch .LBB10_1308
.LBB10_1833:
	s_or_b32 exec_lo, exec_lo, s14
	scratch_load_b32 v10, off, s33 offset:196 ; 4-byte Folded Reload
.LBB10_1834:
	s_wait_xcnt 0x0
	s_or_b32 exec_lo, exec_lo, s13
.LBB10_1835:
	s_delay_alu instid0(SALU_CYCLE_1) | instskip(SKIP_2) | instid1(VALU_DEP_1)
	s_or_b32 exec_lo, exec_lo, s12
	v_and_b32_e32 v0, 0x800, v30
	s_mov_b32 s1, exec_lo
	v_cmpx_eq_u32_e32 0, v0
	s_cbranch_execz .LBB10_1868
; %bb.1836:
	v_and_b32_e32 v0, 48, v30
	s_mov_b32 s0, exec_lo
	s_delay_alu instid0(VALU_DEP_1)
	v_cmpx_ne_u32_e32 0, v0
	s_cbranch_execz .LBB10_1838
; %bb.1837:
	flat_store_b64 v[28:29], v[8:9] offset:104
.LBB10_1838:
	s_wait_xcnt 0x0
	s_or_b32 exec_lo, exec_lo, s0
	v_and_b32_e32 v0, 0x88, v30
	s_mov_b32 s2, exec_lo
	s_delay_alu instid0(VALU_DEP_1)
	v_cmpx_eq_u32_e32 0x88, v0
	s_cbranch_execz .LBB10_1848
; %bb.1839:
	v_add_nc_u32_e32 v0, -1, v8
	s_mov_b32 s3, 0
	s_delay_alu instid0(VALU_DEP_1) | instskip(NEXT) | instid1(VALU_DEP_1)
	v_and_b32_e32 v0, 7, v0
	v_mad_nc_u64_u32 v[4:5], v0, 24, v[6:7]
	v_and_b32_e32 v0, 64, v30
	s_delay_alu instid0(VALU_DEP_1)
	v_cmp_eq_u32_e64 s0, 0, v0
	flat_load_b64 v[2:3], v[4:5] offset:8 scope:SCOPE_SYS
	s_wait_loadcnt_dscnt 0x0
	v_cmp_ne_u64_e32 vcc_lo, -1, v[2:3]
	s_and_b32 s0, vcc_lo, s0
	s_wait_xcnt 0x0
	s_and_b32 exec_lo, exec_lo, s0
	s_cbranch_execz .LBB10_1848
; %bb.1840:
	s_mov_b32 s5, 0
                                        ; implicit-def: $sgpr0
                                        ; implicit-def: $sgpr4
	s_branch .LBB10_1843
.LBB10_1841:                            ;   in Loop: Header=BB10_1843 Depth=1
	flat_load_b64 v[2:3], v[4:5] offset:8 scope:SCOPE_SYS
	s_wait_loadcnt 0x0
	s_and_not1_b32 s4, s4, exec_lo
	s_wait_dscnt 0x0
	v_cmp_eq_u64_e32 vcc_lo, -1, v[2:3]
	s_or_not1_b32 s7, vcc_lo, exec_lo
.LBB10_1842:                            ;   in Loop: Header=BB10_1843 Depth=1
	s_wait_xcnt 0x0
	s_or_b32 exec_lo, exec_lo, s10
	s_delay_alu instid0(SALU_CYCLE_1) | instskip(NEXT) | instid1(SALU_CYCLE_1)
	s_and_b32 s6, exec_lo, s7
	s_or_b32 s3, s6, s3
	s_and_not1_b32 s0, s0, exec_lo
	s_and_b32 s6, s4, exec_lo
	s_delay_alu instid0(SALU_CYCLE_1)
	s_or_b32 s0, s0, s6
	s_and_not1_b32 exec_lo, exec_lo, s3
	s_cbranch_execz .LBB10_1846
.LBB10_1843:                            ; =>This Inner Loop Header: Depth=1
	s_cmp_lt_i32 s5, 0x270f
	s_cselect_b32 s6, -1, 0
	s_delay_alu instid0(SALU_CYCLE_1)
	s_and_b32 vcc_lo, exec_lo, s6
	s_cbranch_vccnz .LBB10_1845
; %bb.1844:                             ;   in Loop: Header=BB10_1843 Depth=1
	s_trap 2
	ds_load_b64 v[2:3], v0
	s_and_not1_b32 s6, s6, exec_lo
	s_mov_b32 s5, 0
	s_wait_storecnt_dscnt 0x0
	flat_load_b32 v0, v[2:3] scope:SCOPE_SYS
	s_wait_loadcnt_dscnt 0x0
	global_inv scope:SCOPE_SYS
	v_cmp_eq_u32_e32 vcc_lo, 0, v0
	s_and_b32 s7, vcc_lo, exec_lo
	s_delay_alu instid0(SALU_CYCLE_1)
	s_or_b32 s6, s6, s7
	s_mov_b32 s7, -1
	s_or_b32 s4, s4, exec_lo
	s_wait_xcnt 0x0
	s_and_saveexec_b32 s10, s6
	s_cbranch_execz .LBB10_1842
	s_branch .LBB10_1841
.LBB10_1845:                            ;   in Loop: Header=BB10_1843 Depth=1
	s_add_co_i32 s5, s5, 1
                                        ; implicit-def: $vgpr0
	s_mov_b32 s7, -1
	s_or_b32 s4, s4, exec_lo
	s_and_saveexec_b32 s10, s6
	s_cbranch_execz .LBB10_1842
	s_branch .LBB10_1841
.LBB10_1846:
	s_or_b32 exec_lo, exec_lo, s3
	s_and_saveexec_b32 s3, s0
	s_delay_alu instid0(SALU_CYCLE_1)
	s_xor_b32 s3, exec_lo, s3
	s_cbranch_execz .LBB10_1848
; %bb.1847:
	s_wait_loadcnt 0x0
	s_wait_storecnt 0x0
	ds_store_b32 v0, v0
	s_trap 2
.LBB10_1848:
	s_or_b32 exec_lo, exec_lo, s2
	v_and_b32_e32 v0, 0x2000, v30
	s_mov_b32 s0, exec_lo
	s_delay_alu instid0(VALU_DEP_1)
	v_cmpx_ne_u32_e32 0, v0
	s_cbranch_execz .LBB10_1850
; %bb.1849:
	s_trap 2
	scratch_load_b64 v[4:5], off, s33 offset:188 th:TH_LOAD_LU ; 8-byte Folded Reload
	ds_load_b64 v[2:3], v0
	s_wait_loadcnt_dscnt 0x0
	flat_store_b64 v[4:5], v[2:3] offset:16
.LBB10_1850:
	s_wait_xcnt 0x0
	s_or_b32 exec_lo, exec_lo, s0
	v_cmp_ne_u32_e32 vcc_lo, 32, v1
	s_and_b32 exec_lo, exec_lo, vcc_lo
	s_cbranch_execz .LBB10_1868
; %bb.1851:
	s_mov_b32 s0, exec_lo
	s_wait_loadcnt 0x0
	v_cmpx_ne_u32_e64 v1, v10
	s_xor_b32 s0, exec_lo, s0
	s_cbranch_execz .LBB10_1866
; %bb.1852:
	v_and_b32_e32 v0, 31, v31
	s_mov_b32 s2, exec_lo
	s_delay_alu instid0(VALU_DEP_1)
	v_cmpx_eq_u32_e32 0, v0
	s_cbranch_execz .LBB10_1865
; %bb.1853:
	s_mov_b32 s4, exec_lo
	s_mov_b32 s3, exec_lo
	v_mbcnt_lo_u32_b32 v0, s4, 0
	global_wb scope:SCOPE_DEV
	s_wait_storecnt_dscnt 0x0
	global_inv scope:SCOPE_DEV
	v_cmpx_eq_u32_e32 0, v0
	s_cbranch_execz .LBB10_1855
; %bb.1854:
	s_bcnt1_i32_b32 s4, s4
	s_delay_alu instid0(SALU_CYCLE_1)
	v_dual_mov_b32 v3, 0 :: v_dual_mov_b32 v2, s4
	s_wait_loadcnt 0x0
	ds_add_u64 v0, v[2:3]
	s_trap 2
.LBB10_1855:
	s_or_b32 exec_lo, exec_lo, s3
	s_trap 2
	ds_load_b64 v[2:3], v0
	s_wait_dscnt 0x0
	v_dual_mov_b32 v1, 0 :: v_dual_lshrrev_b32 v0, 5, v1
	s_mov_b32 s3, exec_lo
	s_delay_alu instid0(VALU_DEP_1) | instskip(NEXT) | instid1(VALU_DEP_1)
	v_add_nc_u64_e32 v[0:1], v[38:39], v[0:1]
	v_cmpx_lt_u64_e64 v[2:3], v[0:1]
	s_cbranch_execz .LBB10_1864
; %bb.1856:
	s_mov_b32 s4, 0
	s_mov_b32 s7, 0
                                        ; implicit-def: $sgpr5
                                        ; implicit-def: $sgpr6
	s_branch .LBB10_1858
.LBB10_1857:                            ;   in Loop: Header=BB10_1858 Depth=1
	s_or_b32 exec_lo, exec_lo, s12
	s_delay_alu instid0(SALU_CYCLE_1) | instskip(NEXT) | instid1(SALU_CYCLE_1)
	s_and_b32 s10, exec_lo, s13
	s_or_b32 s4, s10, s4
	s_and_not1_b32 s5, s5, exec_lo
	s_and_b32 s10, s6, exec_lo
	s_delay_alu instid0(SALU_CYCLE_1)
	s_or_b32 s5, s5, s10
	s_and_not1_b32 exec_lo, exec_lo, s4
	s_cbranch_execz .LBB10_1862
.LBB10_1858:                            ; =>This Inner Loop Header: Depth=1
	s_add_co_i32 s7, s7, 1
	s_delay_alu instid0(SALU_CYCLE_1) | instskip(SKIP_1) | instid1(SALU_CYCLE_1)
	s_cmp_lg_u32 s7, 0x2710
	s_cselect_b32 s10, -1, 0
	s_and_b32 vcc_lo, exec_lo, s10
	s_cbranch_vccz .LBB10_1860
; %bb.1859:                             ;   in Loop: Header=BB10_1858 Depth=1
	s_mov_b32 s13, -1
	s_or_b32 s6, s6, exec_lo
	s_and_saveexec_b32 s12, s10
	s_cbranch_execz .LBB10_1857
	s_branch .LBB10_1861
.LBB10_1860:                            ;   in Loop: Header=BB10_1858 Depth=1
	s_trap 2
	ds_load_b64 v[2:3], v0
	s_and_not1_b32 s10, s10, exec_lo
	s_mov_b32 s7, 0
	s_wait_loadcnt_dscnt 0x0
	flat_load_b32 v2, v[2:3] scope:SCOPE_SYS
	s_wait_loadcnt_dscnt 0x0
	global_inv scope:SCOPE_SYS
	v_cmp_eq_u32_e32 vcc_lo, 0, v2
	s_and_b32 s12, vcc_lo, exec_lo
	s_delay_alu instid0(SALU_CYCLE_1)
	s_or_b32 s10, s10, s12
	s_mov_b32 s13, -1
	s_or_b32 s6, s6, exec_lo
	s_and_saveexec_b32 s12, s10
	s_cbranch_execz .LBB10_1857
.LBB10_1861:                            ;   in Loop: Header=BB10_1858 Depth=1
	s_sleep 1
	s_trap 2
	ds_load_b64 v[2:3], v0
	s_wait_dscnt 0x0
	s_and_not1_b32 s6, s6, exec_lo
	v_cmp_ge_u64_e32 vcc_lo, v[2:3], v[0:1]
	s_or_not1_b32 s13, vcc_lo, exec_lo
	s_branch .LBB10_1857
.LBB10_1862:
	s_or_b32 exec_lo, exec_lo, s4
	s_and_saveexec_b32 s4, s5
	s_delay_alu instid0(SALU_CYCLE_1)
	s_xor_b32 s4, exec_lo, s4
	s_cbranch_execz .LBB10_1864
; %bb.1863:
	v_mov_b32_e32 v0, 1
	ds_store_b32 v0, v0
	s_trap 2
.LBB10_1864:
	s_or_b32 exec_lo, exec_lo, s3
	;;#ASMSTART
	s_wakeup
	;;#ASMEND
.LBB10_1865:
	s_or_b32 exec_lo, exec_lo, s2
.LBB10_1866:
	s_and_not1_saveexec_b32 s0, s0
	s_cbranch_execz .LBB10_1868
; %bb.1867:
	global_wb scope:SCOPE_DEV
	s_wait_storecnt 0x0
	s_wait_loadcnt_dscnt 0x0
	global_inv scope:SCOPE_DEV
	s_barrier_signal -1
	s_barrier_wait -1
.LBB10_1868:
	s_or_b32 exec_lo, exec_lo, s1
.LBB10_1869:
	s_and_not1_saveexec_b32 s21, s11
	s_cbranch_execz .LBB10_1871
; %bb.1870:
	s_get_pc_i64 s[0:1]
	s_add_nc_u64 s[0:1], s[0:1], __PRETTY_FUNCTION__._ZN10PrimitivesI12hip_bfloat1613FuncPreMulSumIS0_E12FanSymmetricILi1EELi0E11ProtoSimpleILi1ELi1ELi0ELi4ELi0ELi0EELi0ELb0ELi0ELi0ELi0EEC2EiiPKiS9_PKvPvmhhhP15ncclDevWorkCollP14ncclDevWorkP2pii@rel64+4
	s_get_pc_i64 s[2:3]
	s_add_nc_u64 s[2:3], s[2:3], __assert_fail@rel64+4
	v_dual_mov_b32 v0, s0 :: v_dual_mov_b32 v1, s1
	s_swap_pc_i64 s[30:31], s[2:3]
	; divergent unreachable
.LBB10_1871:
	s_or_b32 exec_lo, exec_lo, s21
	s_clause 0x2e
	scratch_load_b32 v126, off, s33
	scratch_load_b32 v125, off, s33 offset:4
	scratch_load_b32 v124, off, s33 offset:8
	;; [unrolled: 1-line block ×46, first 2 shown]
	v_readlane_b32 s30, v127, 0
	v_readlane_b32 s31, v127, 1
	s_mov_b32 s32, s33
	s_wait_xcnt 0x0
	s_or_saveexec_b32 s0, -1
	scratch_load_b32 v127, off, s33 offset:200 ; 4-byte Folded Reload
	s_wait_xcnt 0x0
	s_mov_b32 exec_lo, s0
	s_mov_b32 s33, s43
	s_wait_loadcnt_dscnt 0x0
	s_set_pc_i64 s[30:31]
.Lfunc_end10:
	.size	_ZN12_GLOBAL__N_17runRingI12hip_bfloat1613FuncPreMulSumIS1_E11ProtoSimpleILi1ELi1ELi0ELi4ELi0ELi0EELi0ELi4ELi0EEEviiP15ncclDevWorkColl, .Lfunc_end10-_ZN12_GLOBAL__N_17runRingI12hip_bfloat1613FuncPreMulSumIS1_E11ProtoSimpleILi1ELi1ELi0ELi4ELi0ELi0EELi0ELi4ELi0EEEviiP15ncclDevWorkColl
                                        ; -- End function
	.set .L_ZN12_GLOBAL__N_17runRingI12hip_bfloat1613FuncPreMulSumIS1_E11ProtoSimpleILi1ELi1ELi0ELi4ELi0ELi0EELi0ELi4ELi0EEEviiP15ncclDevWorkColl.num_vgpr, max(128, .L__assert_fail.num_vgpr)
	.set .L_ZN12_GLOBAL__N_17runRingI12hip_bfloat1613FuncPreMulSumIS1_E11ProtoSimpleILi1ELi1ELi0ELi4ELi0ELi0EELi0ELi4ELi0EEEviiP15ncclDevWorkColl.num_agpr, max(0, .L__assert_fail.num_agpr)
	.set .L_ZN12_GLOBAL__N_17runRingI12hip_bfloat1613FuncPreMulSumIS1_E11ProtoSimpleILi1ELi1ELi0ELi4ELi0ELi0EELi0ELi4ELi0EEEviiP15ncclDevWorkColl.numbered_sgpr, max(44, .L__assert_fail.numbered_sgpr)
	.set .L_ZN12_GLOBAL__N_17runRingI12hip_bfloat1613FuncPreMulSumIS1_E11ProtoSimpleILi1ELi1ELi0ELi4ELi0ELi0EELi0ELi4ELi0EEEviiP15ncclDevWorkColl.num_named_barrier, max(0, .L__assert_fail.num_named_barrier)
	.set .L_ZN12_GLOBAL__N_17runRingI12hip_bfloat1613FuncPreMulSumIS1_E11ProtoSimpleILi1ELi1ELi0ELi4ELi0ELi0EELi0ELi4ELi0EEEviiP15ncclDevWorkColl.private_seg_size, 208+max(.L__assert_fail.private_seg_size)
	.set .L_ZN12_GLOBAL__N_17runRingI12hip_bfloat1613FuncPreMulSumIS1_E11ProtoSimpleILi1ELi1ELi0ELi4ELi0ELi0EELi0ELi4ELi0EEEviiP15ncclDevWorkColl.uses_vcc, or(1, .L__assert_fail.uses_vcc)
	.set .L_ZN12_GLOBAL__N_17runRingI12hip_bfloat1613FuncPreMulSumIS1_E11ProtoSimpleILi1ELi1ELi0ELi4ELi0ELi0EELi0ELi4ELi0EEEviiP15ncclDevWorkColl.uses_flat_scratch, or(1, .L__assert_fail.uses_flat_scratch)
	.set .L_ZN12_GLOBAL__N_17runRingI12hip_bfloat1613FuncPreMulSumIS1_E11ProtoSimpleILi1ELi1ELi0ELi4ELi0ELi0EELi0ELi4ELi0EEEviiP15ncclDevWorkColl.has_dyn_sized_stack, or(0, .L__assert_fail.has_dyn_sized_stack)
	.set .L_ZN12_GLOBAL__N_17runRingI12hip_bfloat1613FuncPreMulSumIS1_E11ProtoSimpleILi1ELi1ELi0ELi4ELi0ELi0EELi0ELi4ELi0EEEviiP15ncclDevWorkColl.has_recursion, or(1, .L__assert_fail.has_recursion)
	.set .L_ZN12_GLOBAL__N_17runRingI12hip_bfloat1613FuncPreMulSumIS1_E11ProtoSimpleILi1ELi1ELi0ELi4ELi0ELi0EELi0ELi4ELi0EEEviiP15ncclDevWorkColl.has_indirect_call, or(0, .L__assert_fail.has_indirect_call)
	.section	.AMDGPU.csdata,"",@progbits
; Function info:
; codeLenInByte = 58540
; TotalNumSgprs: 46
; NumVgprs: 128
; ScratchSize: 272
; MemoryBound: 1
	.text
	.p2align	2                               ; -- Begin function _Z51ncclDevFunc_Reduce_RING_SIMPLE_PreMulSum_bf16_0_0_4v
	.type	_Z51ncclDevFunc_Reduce_RING_SIMPLE_PreMulSum_bf16_0_0_4v,@function
_Z51ncclDevFunc_Reduce_RING_SIMPLE_PreMulSum_bf16_0_0_4v: ; @_Z51ncclDevFunc_Reduce_RING_SIMPLE_PreMulSum_bf16_0_0_4v
; %bb.0:
	s_wait_loadcnt_dscnt 0x0
	s_wait_kmcnt 0x0
	s_mov_b32 s59, s33
	s_mov_b32 s33, s32
	s_or_saveexec_b32 s0, -1
	scratch_store_b32 off, v42, s33 offset:12 ; 4-byte Folded Spill
	s_wait_xcnt 0x0
	s_mov_b32 exec_lo, s0
	s_add_co_i32 s32, s32, 32
	s_clause 0x2
	scratch_store_b32 off, v40, s33 offset:8
	; meta instruction
	scratch_store_b32 off, v41, s33 offset:4
	; meta instruction
	scratch_store_b32 off, v127, s33
	v_writelane_b32 v42, s30, 0
	v_writelane_b32 v42, s31, 1
	s_trap 2
	ds_load_b32 v0, v0
	s_wait_xcnt 0x2
	v_mov_b32_e32 v40, v31
	s_mov_b32 s46, s12
	s_mov_b64 s[44:45], s[8:9]
	s_mov_b32 s2, exec_lo
	s_wait_xcnt 0x1
	v_and_b32_e32 v41, 0x3ff, v40
	s_wait_dscnt 0x0
	s_wait_xcnt 0x0
	s_delay_alu instid0(VALU_DEP_1)
	v_cmpx_lt_i32_e64 v41, v0
	s_cbranch_execz .LBB11_5
; %bb.1:
	s_load_b32 s0, s[44:45], 0x0
	s_bfe_u32 s1, ttmp6, 0x4000c
	s_and_b32 s3, ttmp6, 15
	s_add_co_i32 s1, s1, 1
	s_getreg_b32 s4, hwreg(HW_REG_IB_STS2, 6, 4)
	s_mul_i32 s1, ttmp9, s1
	v_mov_b32_e32 v2, v41
	s_add_co_i32 s3, s3, s1
	s_cmp_eq_u32 s4, 0
                                        ; implicit-def: $vgpr3
	s_cselect_b32 s1, ttmp9, s3
	s_mov_b32 s3, 0
	s_wait_kmcnt 0x0
	s_cmp_lt_u32 s1, s0
	s_mov_b32 s1, 0
	s_cselect_b32 s0, 12, 18
	s_delay_alu instid0(SALU_CYCLE_1)
	s_add_nc_u64 s[4:5], s[44:45], s[0:1]
	s_load_u16 s0, s[4:5], 0x0
	s_trap 2
	ds_load_b32 v1, v0
	s_wait_dscnt 0x0
	s_wait_kmcnt 0x0
	v_mul_lo_u32 v1, v1, s0
	s_branch .LBB11_3
.LBB11_2:                               ;   in Loop: Header=BB11_3 Depth=1
	s_or_b32 exec_lo, exec_lo, s4
	v_dual_add_nc_u32 v2, s0, v2 :: v_dual_add_nc_u32 v3, v3, v1
	s_delay_alu instid0(VALU_DEP_1) | instskip(SKIP_1) | instid1(SALU_CYCLE_1)
	v_cmp_ge_i32_e32 vcc_lo, v2, v0
	s_or_b32 s3, vcc_lo, s3
	s_and_not1_b32 exec_lo, exec_lo, s3
	s_cbranch_execz .LBB11_5
.LBB11_3:                               ; =>This Inner Loop Header: Depth=1
	ds_load_b32 v4, v3
	s_mov_b32 s4, exec_lo
	s_wait_dscnt 0x0
	v_and_b32_e32 v4, 0x1000000, v4
	s_delay_alu instid0(VALU_DEP_1)
	v_cmpx_ne_u32_e32 0, v4
	s_cbranch_execz .LBB11_2
; %bb.4:                                ;   in Loop: Header=BB11_3 Depth=1
	ds_load_b64 v[4:5], v3 offset:104
	s_wait_dscnt 0x0
	flat_load_u16 v4, v[4:5]
	s_wait_xcnt 0x0
	v_mov_b32_e32 v5, s1
	s_wait_loadcnt_dscnt 0x0
	v_and_b32_e32 v4, 0xffff, v4
	ds_store_b64 v3, v[4:5] offset:104
	s_branch .LBB11_2
.LBB11_5:
	s_or_b32 exec_lo, exec_lo, s2
	s_wait_storecnt_dscnt 0x0
	s_barrier_signal -1
	s_barrier_wait -1
	s_trap 2
	ds_load_b32 v0, v0
	s_wait_dscnt 0x0
	v_cmp_gt_i32_e32 vcc_lo, 1, v0
	s_cbranch_vccnz .LBB11_13
; %bb.6:
	s_mov_b32 s47, 0
	s_get_pc_i64 s[56:57]
	s_add_nc_u64 s[56:57], s[56:57], _ZN12_GLOBAL__N_17runRingI12hip_bfloat1613FuncPreMulSumIS1_E11ProtoSimpleILi1ELi1ELi0ELi4ELi0ELi0EELi0ELi4ELi0EEEviiP15ncclDevWorkColl@rel64+4
	s_branch .LBB11_8
.LBB11_7:                               ;   in Loop: Header=BB11_8 Depth=1
	s_or_b32 exec_lo, exec_lo, s58
	s_trap 2
	ds_load_b32 v0, v0
	s_add_co_i32 s47, s47, 1
	s_wait_dscnt 0x0
	v_cmp_lt_i32_e32 vcc_lo, s47, v0
	s_cbranch_vccz .LBB11_13
.LBB11_8:                               ; =>This Inner Loop Header: Depth=1
	s_trap 2
	ds_load_b32 v0, v0
	s_cmp_eq_u32 s47, 0
	s_cbranch_scc1 .LBB11_11
; %bb.9:                                ;   in Loop: Header=BB11_8 Depth=1
	s_trap 2
	s_wait_dscnt 0x0
	ds_load_b32 v1, v0
	s_wait_dscnt 0x0
	v_xor_b32_e32 v1, v1, v0
	s_delay_alu instid0(VALU_DEP_1) | instskip(NEXT) | instid1(VALU_DEP_1)
	v_and_b32_e32 v1, 0xff0000, v1
	v_cmp_eq_u32_e32 vcc_lo, 0, v1
	s_cbranch_vccnz .LBB11_11
; %bb.10:                               ;   in Loop: Header=BB11_8 Depth=1
	s_barrier_signal -1
	s_barrier_wait -1
	ds_load_b32 v0, v0
.LBB11_11:                              ;   in Loop: Header=BB11_8 Depth=1
	s_wait_dscnt 0x0
	v_lshrrev_b32_e32 v0, 11, v0
	s_mov_b32 s58, exec_lo
	s_delay_alu instid0(VALU_DEP_1) | instskip(NEXT) | instid1(VALU_DEP_1)
	v_and_b32_e32 v1, 0x1fe0, v0
	v_cmpx_lt_u32_e64 v41, v1
	s_cbranch_execz .LBB11_7
; %bb.12:                               ;   in Loop: Header=BB11_8 Depth=1
	s_mov_b64 s[0:1], src_shared_base
	v_dual_mov_b32 v31, v40 :: v_dual_mov_b32 v0, v41
	v_mov_b32_e32 v3, s1
	s_mov_b64 s[8:9], s[44:45]
	s_mov_b32 s12, s46
	s_swap_pc_i64 s[30:31], s[56:57]
	s_branch .LBB11_7
.LBB11_13:
	s_clause 0x2
	scratch_load_b32 v127, off, s33
	scratch_load_b32 v41, off, s33 offset:4
	scratch_load_b32 v40, off, s33 offset:8
	v_readlane_b32 s30, v42, 0
	v_readlane_b32 s31, v42, 1
	s_mov_b32 s32, s33
	s_wait_xcnt 0x0
	s_or_saveexec_b32 s0, -1
	scratch_load_b32 v42, off, s33 offset:12 ; 4-byte Folded Reload
	s_wait_xcnt 0x0
	s_mov_b32 exec_lo, s0
	s_mov_b32 s33, s59
	s_wait_loadcnt 0x0
	s_set_pc_i64 s[30:31]
.Lfunc_end11:
	.size	_Z51ncclDevFunc_Reduce_RING_SIMPLE_PreMulSum_bf16_0_0_4v, .Lfunc_end11-_Z51ncclDevFunc_Reduce_RING_SIMPLE_PreMulSum_bf16_0_0_4v
                                        ; -- End function
	.set .L_Z51ncclDevFunc_Reduce_RING_SIMPLE_PreMulSum_bf16_0_0_4v.num_vgpr, max(128, .L_ZN12_GLOBAL__N_17runRingI12hip_bfloat1613FuncPreMulSumIS1_E11ProtoSimpleILi1ELi1ELi0ELi4ELi0ELi0EELi0ELi4ELi0EEEviiP15ncclDevWorkColl.num_vgpr)
	.set .L_Z51ncclDevFunc_Reduce_RING_SIMPLE_PreMulSum_bf16_0_0_4v.num_agpr, max(0, .L_ZN12_GLOBAL__N_17runRingI12hip_bfloat1613FuncPreMulSumIS1_E11ProtoSimpleILi1ELi1ELi0ELi4ELi0ELi0EELi0ELi4ELi0EEEviiP15ncclDevWorkColl.num_agpr)
	.set .L_Z51ncclDevFunc_Reduce_RING_SIMPLE_PreMulSum_bf16_0_0_4v.numbered_sgpr, max(60, .L_ZN12_GLOBAL__N_17runRingI12hip_bfloat1613FuncPreMulSumIS1_E11ProtoSimpleILi1ELi1ELi0ELi4ELi0ELi0EELi0ELi4ELi0EEEviiP15ncclDevWorkColl.numbered_sgpr)
	.set .L_Z51ncclDevFunc_Reduce_RING_SIMPLE_PreMulSum_bf16_0_0_4v.num_named_barrier, max(0, .L_ZN12_GLOBAL__N_17runRingI12hip_bfloat1613FuncPreMulSumIS1_E11ProtoSimpleILi1ELi1ELi0ELi4ELi0ELi0EELi0ELi4ELi0EEEviiP15ncclDevWorkColl.num_named_barrier)
	.set .L_Z51ncclDevFunc_Reduce_RING_SIMPLE_PreMulSum_bf16_0_0_4v.private_seg_size, 32+max(.L_ZN12_GLOBAL__N_17runRingI12hip_bfloat1613FuncPreMulSumIS1_E11ProtoSimpleILi1ELi1ELi0ELi4ELi0ELi0EELi0ELi4ELi0EEEviiP15ncclDevWorkColl.private_seg_size)
	.set .L_Z51ncclDevFunc_Reduce_RING_SIMPLE_PreMulSum_bf16_0_0_4v.uses_vcc, or(1, .L_ZN12_GLOBAL__N_17runRingI12hip_bfloat1613FuncPreMulSumIS1_E11ProtoSimpleILi1ELi1ELi0ELi4ELi0ELi0EELi0ELi4ELi0EEEviiP15ncclDevWorkColl.uses_vcc)
	.set .L_Z51ncclDevFunc_Reduce_RING_SIMPLE_PreMulSum_bf16_0_0_4v.uses_flat_scratch, or(1, .L_ZN12_GLOBAL__N_17runRingI12hip_bfloat1613FuncPreMulSumIS1_E11ProtoSimpleILi1ELi1ELi0ELi4ELi0ELi0EELi0ELi4ELi0EEEviiP15ncclDevWorkColl.uses_flat_scratch)
	.set .L_Z51ncclDevFunc_Reduce_RING_SIMPLE_PreMulSum_bf16_0_0_4v.has_dyn_sized_stack, or(0, .L_ZN12_GLOBAL__N_17runRingI12hip_bfloat1613FuncPreMulSumIS1_E11ProtoSimpleILi1ELi1ELi0ELi4ELi0ELi0EELi0ELi4ELi0EEEviiP15ncclDevWorkColl.has_dyn_sized_stack)
	.set .L_Z51ncclDevFunc_Reduce_RING_SIMPLE_PreMulSum_bf16_0_0_4v.has_recursion, or(1, .L_ZN12_GLOBAL__N_17runRingI12hip_bfloat1613FuncPreMulSumIS1_E11ProtoSimpleILi1ELi1ELi0ELi4ELi0ELi0EELi0ELi4ELi0EEEviiP15ncclDevWorkColl.has_recursion)
	.set .L_Z51ncclDevFunc_Reduce_RING_SIMPLE_PreMulSum_bf16_0_0_4v.has_indirect_call, or(0, .L_ZN12_GLOBAL__N_17runRingI12hip_bfloat1613FuncPreMulSumIS1_E11ProtoSimpleILi1ELi1ELi0ELi4ELi0ELi0EELi0ELi4ELi0EEEviiP15ncclDevWorkColl.has_indirect_call)
	.section	.AMDGPU.csdata,"",@progbits
; Function info:
; codeLenInByte = 756
; TotalNumSgprs: 62
; NumVgprs: 128
; ScratchSize: 304
; MemoryBound: 0
	.text
	.p2align	2                               ; -- Begin function _ZN12_GLOBAL__N_17runRingI12hip_bfloat1613FuncPreMulSumIS1_E11ProtoSimpleILi1ELi1ELi0ELi4ELi0ELi0EELi0ELi4ELi1EEEviiP15ncclDevWorkColl
	.type	_ZN12_GLOBAL__N_17runRingI12hip_bfloat1613FuncPreMulSumIS1_E11ProtoSimpleILi1ELi1ELi0ELi4ELi0ELi0EELi0ELi4ELi1EEEviiP15ncclDevWorkColl,@function
_ZN12_GLOBAL__N_17runRingI12hip_bfloat1613FuncPreMulSumIS1_E11ProtoSimpleILi1ELi1ELi0ELi4ELi0ELi0EELi0ELi4ELi1EEEviiP15ncclDevWorkColl: ; @_ZN12_GLOBAL__N_17runRingI12hip_bfloat1613FuncPreMulSumIS1_E11ProtoSimpleILi1ELi1ELi0ELi4ELi0ELi0EELi0ELi4ELi1EEEviiP15ncclDevWorkColl
; %bb.0:
	s_wait_loadcnt_dscnt 0x0
	s_wait_kmcnt 0x0
	s_mov_b32 s46, s33
	s_mov_b32 s33, s32
	s_or_saveexec_b32 s0, -1
	scratch_store_b32 off, v127, s33 offset:452 ; 4-byte Folded Spill
	s_wait_xcnt 0x0
	s_mov_b32 exec_lo, s0
	s_addk_co_i32 s32, 0x1d0
	s_clause 0x2e
	scratch_store_b32 off, v40, s33 offset:184
	; meta instruction
	scratch_store_b32 off, v41, s33 offset:180
	; meta instruction
	;; [unrolled: 2-line block ×46, first 2 shown]
	scratch_store_b32 off, v126, s33
	v_writelane_b32 v127, s30, 0
	v_writelane_b32 v127, s31, 1
	s_trap 2
	ds_load_b64 v[14:15], v0
	ds_load_b32 v4, v0
	flat_load_b64 v[6:7], v[2:3]
	v_mov_b32_e32 v100, v0
                                        ; implicit-def: $vgpr18_vgpr19
                                        ; implicit-def: $vgpr24_vgpr25
                                        ; implicit-def: $vgpr8_vgpr9
                                        ; kill: killed $vgpr8_vgpr9
	s_wait_dscnt 0x2
	v_readfirstlane_b32 s0, v14
	v_readfirstlane_b32 s1, v15
	flat_load_u16 v17, v[2:3] offset:8
	flat_load_b32 v22, v15, s[0:1] offset:-4 scale_offset
	s_wait_xcnt 0x0
	s_mov_b32 s0, exec_lo
	s_wait_loadcnt_dscnt 0x202
	v_and_b32_e32 v0, 0xff, v6
	v_mov_b32_e32 v16, v7
	s_delay_alu instid0(VALU_DEP_2)
	v_cmpx_ne_u32_e64 v4, v0
	s_xor_b32 s0, exec_lo, s0
	s_cbranch_execz .LBB12_6
; %bb.1:
	v_bfe_u32 v5, v6, 8, 8
	v_not_b32_e32 v0, v0
	s_mov_b32 s1, exec_lo
                                        ; implicit-def: $vgpr18_vgpr19
                                        ; implicit-def: $vgpr24_vgpr25
                                        ; implicit-def: $vgpr6_vgpr7
                                        ; kill: killed $vgpr6_vgpr7
	s_delay_alu instid0(VALU_DEP_2)
	v_cmpx_ne_u32_e64 v4, v5
	s_xor_b32 s1, exec_lo, s1
	s_cbranch_execz .LBB12_3
; %bb.2:
	s_clause 0x1
	flat_load_b128 v[6:9], v[2:3] offset:72
	flat_load_b64 v[10:11], v[2:3] offset:96
	v_add_nc_u32_e32 v0, v4, v0
                                        ; implicit-def: $vgpr5
	s_wait_loadcnt_dscnt 0x101
	s_delay_alu instid0(VALU_DEP_1) | instskip(SKIP_3) | instid1(VALU_DEP_3)
	v_mad_nc_u64_u32 v[6:7], v8, v0, v[6:7]
	s_wait_loadcnt_dscnt 0x0
	v_lshrrev_b64 v[18:19], 13, v[10:11]
	v_mov_b64_e32 v[24:25], v[8:9]
	v_mad_u32 v4, v9, v0, v7
	v_ashrrev_i32_e32 v0, 31, v0
	s_delay_alu instid0(VALU_DEP_1)
	v_mad_u32 v7, v8, v0, v4
                                        ; implicit-def: $vgpr0
	scratch_store_b64 off, v[6:7], s33 offset:320 ; 8-byte Folded Spill
.LBB12_3:
	s_wait_xcnt 0x0
	s_and_not1_saveexec_b32 s1, s1
	s_cbranch_execz .LBB12_5
; %bb.4:
	s_clause 0x1
	flat_load_b128 v[6:9], v[2:3] offset:72
	flat_load_b128 v[24:27], v[2:3] offset:88
	s_wait_loadcnt_dscnt 0x0
	v_dual_add_nc_u32 v0, v5, v0 :: v_dual_lshrrev_b32 v18, 2, v27
	s_delay_alu instid0(VALU_DEP_1) | instskip(NEXT) | instid1(VALU_DEP_1)
	v_mad_nc_u64_u32 v[6:7], v8, v0, v[6:7]
	v_mad_u32 v4, v9, v0, v7
	v_ashrrev_i32_e32 v0, 31, v0
	s_delay_alu instid0(VALU_DEP_1)
	v_mad_u32 v7, v8, v0, v4
	scratch_store_b64 off, v[6:7], s33 offset:320 ; 8-byte Folded Spill
.LBB12_5:
	s_wait_xcnt 0x0
	s_or_b32 exec_lo, exec_lo, s1
.LBB12_6:
	s_and_not1_saveexec_b32 s0, s0
	s_cbranch_execz .LBB12_8
; %bb.7:
	s_clause 0x1
	flat_load_b64 v[4:5], v[2:3] offset:96
	flat_load_b64 v[24:25], v[2:3] offset:72
	s_wait_loadcnt_dscnt 0x101
	v_lshlrev_b64_e32 v[18:19], 8, v[4:5]
	v_mov_b64_e32 v[4:5], 0
	scratch_store_b64 off, v[4:5], s33 offset:320 ; 8-byte Folded Spill
.LBB12_8:
	s_wait_xcnt 0x0
	s_or_b32 exec_lo, exec_lo, s0
	s_trap 2
	ds_load_b64 v[4:5], v0
	s_mov_b32 s1, 0
	s_mov_b32 s2, exec_lo
	s_wait_dscnt 0x0
	v_cmp_ne_u32_e32 vcc_lo, -1, v4
	v_cndmask_b32_e64 v0, 0, 1, vcc_lo
	v_cmp_ne_u32_e32 vcc_lo, -1, v5
	s_delay_alu instid0(VALU_DEP_2) | instskip(NEXT) | instid1(VALU_DEP_1)
	v_add_co_ci_u32_e64 v5, null, 0, v0, vcc_lo
	v_lshlrev_b32_e32 v4, 1, v5
	s_delay_alu instid0(VALU_DEP_1)
	v_cmpx_le_u32_e64 v4, v1
	s_xor_b32 s16, exec_lo, s2
	s_cbranch_execnz .LBB12_9
; %bb.4513:
	s_add_pc_i64 .LBB12_4510-.Lpost_addpc0
.Lpost_addpc0:
.LBB12_9:
	s_clause 0x1
	flat_load_b128 v[10:13], v[2:3] offset:16
	flat_load_b64 v[20:21], v[2:3] offset:104
	s_trap 2
	s_load_b32 s0, s[8:9], 0x0
	s_bfe_u32 s2, ttmp6, 0x4000c
	s_and_b32 s3, ttmp6, 15
	s_add_co_i32 s2, s2, 1
	s_getreg_b32 s4, hwreg(HW_REG_IB_STS2, 6, 4)
	s_mul_i32 s2, ttmp9, s2
	v_dual_mov_b32 v2, 0 :: v_dual_mov_b32 v30, 4
	s_add_co_i32 s3, s3, s2
	s_cmp_eq_u32 s4, 0
	s_cselect_b32 s2, ttmp9, s3
	s_wait_kmcnt 0x0
	s_cmp_lt_u32 s2, s0
	s_mov_b32 s2, exec_lo
	s_cselect_b32 s0, 12, 18
	s_delay_alu instid0(SALU_CYCLE_1)
	s_add_nc_u64 s[0:1], s[8:9], s[0:1]
	global_load_u16 v4, v2, s[0:1]
	s_wait_xcnt 0x0
	ds_load_b32 v2, v0
	s_wait_dscnt 0x0
	v_readfirstlane_b32 s1, v2
	v_cmpx_ge_u32_e64 v100, v0
	s_cbranch_execz .LBB12_19
; %bb.10:
	v_cmp_ge_u32_e64 s0, v100, v5
                                        ; implicit-def: $vgpr30
	s_and_saveexec_b32 s3, s0
	s_delay_alu instid0(SALU_CYCLE_1)
	s_xor_b32 s0, exec_lo, s3
	s_cbranch_execz .LBB12_16
; %bb.11:
	v_cndmask_b32_e64 v2, 0, 1, vcc_lo
	s_mov_b32 s3, exec_lo
	s_delay_alu instid0(VALU_DEP_1) | instskip(NEXT) | instid1(VALU_DEP_1)
	v_sub_nc_u32_e32 v2, v1, v2
	v_cmpx_ge_u32_e64 v100, v2
	s_xor_b32 s3, exec_lo, s3
; %bb.12:
                                        ; implicit-def: $vgpr5
; %bb.13:
	s_delay_alu instid0(SALU_CYCLE_1)
	s_or_saveexec_b32 s3, s3
	v_mov_b32_e32 v30, 16
	s_xor_b32 exec_lo, exec_lo, s3
; %bb.14:
	v_sub_nc_u32_e32 v2, v1, v5
	s_delay_alu instid0(VALU_DEP_1)
	v_cmp_lt_i32_e32 vcc_lo, v100, v2
	v_cndmask_b32_e64 v30, 32, 0, vcc_lo
; %bb.15:
	s_or_b32 exec_lo, exec_lo, s3
.LBB12_16:
	s_and_not1_saveexec_b32 s0, s0
; %bb.17:
	v_mov_b32_e32 v30, 8
; %bb.18:
	s_or_b32 exec_lo, exec_lo, s0
.LBB12_19:
	s_delay_alu instid0(SALU_CYCLE_1) | instskip(NEXT) | instid1(VALU_DEP_1)
	s_or_b32 exec_lo, exec_lo, s2
	v_dual_mov_b32 v5, -1 :: v_dual_bitop2_b32 v2, 36, v30 bitop3:0x40
	s_delay_alu instid0(VALU_DEP_1)
	v_cmp_ne_u32_e32 vcc_lo, 0, v2
	s_and_saveexec_b32 s0, vcc_lo
	s_cbranch_execz .LBB12_21
; %bb.20:
	s_trap 2
	ds_load_b32 v5, v0
.LBB12_21:
	s_or_b32 exec_lo, exec_lo, s0
	v_and_b32_e32 v2, 24, v30
	s_mov_b32 s2, exec_lo
	s_delay_alu instid0(VALU_DEP_1)
	v_cmpx_ne_u32_e32 0, v2
	s_cbranch_execz .LBB12_23
; %bb.22:
	s_trap 2
	s_wait_dscnt 0x0
	ds_load_b32 v5, v0
.LBB12_23:
	s_or_b32 exec_lo, exec_lo, s2
	s_wait_loadcnt 0x4
	v_lshrrev_b64 v[2:3], 31, v[16:17]
	v_mov_b64_e32 v[26:27], 0
	v_mov_b64_e32 v[74:75], 0
                                        ; implicit-def: $vgpr46_vgpr47
                                        ; implicit-def: $vgpr40_vgpr41
	s_delay_alu instid0(VALU_DEP_3)
	v_and_b32_e32 v15, 3, v2
                                        ; implicit-def: $vgpr2_vgpr3
                                        ; kill: killed $vgpr2_vgpr3
                                        ; implicit-def: $vgpr2
	scratch_store_b64 off, v[2:3], s33 offset:312 ; 8-byte Folded Spill
                                        ; implicit-def: $vgpr2_vgpr3
                                        ; kill: killed $vgpr2_vgpr3
	s_wait_xcnt 0x0
	s_and_saveexec_b32 s0, vcc_lo
	s_cbranch_execz .LBB12_33
; %bb.24:
	s_trap 2
	ds_load_b64 v[2:3], v0
	v_and_b32_e32 v6, 0xffff, v15
	s_wait_dscnt 0x0
	v_readfirstlane_b32 s2, v2
	v_readfirstlane_b32 s3, v3
	flat_load_b64 v[2:3], v5, s[2:3] scale_offset
	s_wait_loadcnt_dscnt 0x0
	v_mad_nc_u64_u32 v[2:3], 0xa8, v6, v[2:3]
	flat_load_b32 v6, v[2:3] offset:640
	s_wait_loadcnt_dscnt 0x0
	v_cmp_eq_u32_e32 vcc_lo, 1, v6
                                        ; implicit-def: $vgpr6_vgpr7
                                        ; kill: killed $vgpr6_vgpr7
	s_wait_xcnt 0x0
	s_and_saveexec_b32 s2, vcc_lo
	s_cbranch_execz .LBB12_26
; %bb.25:
	flat_load_b64 v[8:9], v[2:3] offset:648
	v_or_b32_e32 v30, 0x2000, v30
	s_wait_loadcnt_dscnt 0x0
	flat_load_b64 v[6:7], v[8:9]
	s_trap 2
	scratch_store_b64 off, v[8:9], s33 offset:444 ; 8-byte Folded Spill
	s_wait_loadcnt_dscnt 0x0
	ds_store_b64 v0, v[6:7]
	flat_load_b64 v[6:7], v[8:9] offset:8
	s_wait_loadcnt_dscnt 0x0
	ds_store_b64 v0, v[6:7]
	flat_load_b64 v[6:7], v[8:9] offset:16
	s_wait_loadcnt_dscnt 0x0
	ds_store_b64 v0, v[6:7]
.LBB12_26:
	s_wait_xcnt 0x0
	s_or_b32 exec_lo, exec_lo, s2
	flat_load_b64 v[76:77], v[2:3] offset:608
	v_and_b32_e32 v6, 32, v30
	s_mov_b32 s2, exec_lo
                                        ; implicit-def: $vgpr40_vgpr41
	s_wait_xcnt 0x0
	s_delay_alu instid0(VALU_DEP_1)
	v_cmpx_ne_u32_e32 0, v6
	s_cbranch_execz .LBB12_28
; %bb.27:
	flat_load_b64 v[40:41], v[2:3] offset:560
	global_wb scope:SCOPE_SYS
	s_wait_storecnt 0x0
	s_wait_xcnt 0x0
	s_wait_loadcnt_dscnt 0x0
	flat_store_b64 v[40:41], v[76:77] scope:SCOPE_SYS
.LBB12_28:
	s_wait_xcnt 0x0
	s_or_b32 exec_lo, exec_lo, s2
	v_and_b32_e32 v6, 4, v30
	v_add_nc_u64_e32 v[26:27], 0x1f8, v[2:3]
	v_mov_b64_e32 v[74:75], 0
                                        ; implicit-def: $vgpr46_vgpr47
	s_delay_alu instid0(VALU_DEP_3)
	v_cmp_ne_u32_e32 vcc_lo, 0, v6
                                        ; implicit-def: $vgpr6
	scratch_store_b64 off, v[6:7], s33 offset:312 ; 8-byte Folded Spill
                                        ; implicit-def: $vgpr6_vgpr7
                                        ; kill: killed $vgpr6_vgpr7
	s_wait_xcnt 0x0
	s_and_saveexec_b32 s2, vcc_lo
	s_cbranch_execz .LBB12_32
; %bb.29:
	v_and_b32_e32 v6, 0x800, v30
	s_mov_b32 s3, exec_lo
	s_delay_alu instid0(VALU_DEP_1)
	v_cmpx_eq_u32_e32 0, v6
	s_cbranch_execz .LBB12_31
; %bb.30:
	s_trap 2
	ds_store_b64 v0, v[26:27]
.LBB12_31:
	s_or_b32 exec_lo, exec_lo, s3
	flat_load_b64 v[40:41], v[2:3] offset:552
                                        ; kill: killed $vgpr2_vgpr3
	s_wait_loadcnt_dscnt 0x0
	flat_load_b64 v[46:47], v[40:41] scope:SCOPE_SYS
	s_clause 0x2
	flat_load_b32 v6, v[2:3] offset:576
	flat_load_b64 v[74:75], v[2:3] offset:600
	flat_load_b64 v[8:9], v[2:3] offset:520
	s_wait_xcnt 0x0
	v_or_b32_e32 v2, 0x100, v30
	s_wait_loadcnt_dscnt 0x202
	v_ashrrev_i32_e32 v6, 1, v6
	s_wait_loadcnt_dscnt 0x101
	v_cmp_eq_u64_e32 vcc_lo, 0, v[74:75]
	s_wait_loadcnt_dscnt 0x0
	s_clause 0x1
	scratch_store_b64 off, v[8:9], s33 offset:304
	scratch_store_b64 off, v[6:7], s33 offset:312
	v_cndmask_b32_e32 v30, v2, v30, vcc_lo
.LBB12_32:
	s_wait_xcnt 0x0
	s_or_b32 exec_lo, exec_lo, s2
.LBB12_33:
	s_delay_alu instid0(SALU_CYCLE_1) | instskip(NEXT) | instid1(VALU_DEP_1)
	s_or_b32 exec_lo, exec_lo, s0
	v_and_b32_e32 v2, 24, v30
	s_delay_alu instid0(VALU_DEP_1)
	v_cmp_ne_u32_e32 vcc_lo, 0, v2
                                        ; implicit-def: $vgpr2_vgpr3
                                        ; kill: killed $vgpr2_vgpr3
	s_and_saveexec_b32 s0, vcc_lo
	s_cbranch_execz .LBB12_41
; %bb.34:
	s_trap 2
	ds_load_b64 v[2:3], v0
	s_wait_dscnt 0x0
	v_readfirstlane_b32 s2, v2
	v_readfirstlane_b32 s3, v3
	flat_load_b64 v[2:3], v5, s[2:3] scale_offset
	s_wait_xcnt 0x0
	v_and_b32_e32 v5, 0xffff, v15
	s_wait_loadcnt_dscnt 0x0
	s_delay_alu instid0(VALU_DEP_1)
	v_mad_nc_u64_u32 v[26:27], 0xa8, v5, v[2:3]
	v_or_b32_e32 v2, 0x100, v30
	flat_load_b128 v[74:77], v[26:27] offset:96
	s_wait_loadcnt_dscnt 0x0
	v_cmp_eq_u64_e32 vcc_lo, 0, v[74:75]
	v_cndmask_b32_e32 v30, v2, v30, vcc_lo
	s_delay_alu instid0(VALU_DEP_1) | instskip(NEXT) | instid1(VALU_DEP_1)
	v_and_b32_e32 v2, 16, v30
	v_cmp_ne_u32_e32 vcc_lo, 0, v2
                                        ; implicit-def: $vgpr2_vgpr3
                                        ; kill: killed $vgpr2_vgpr3
	s_wait_xcnt 0x0
	s_and_saveexec_b32 s2, vcc_lo
	s_cbranch_execz .LBB12_36
; %bb.35:
	s_clause 0x1
	flat_load_b64 v[40:41], v[26:27] offset:48
	flat_load_b64 v[2:3], v[26:27] offset:120
	s_wait_loadcnt_dscnt 0x0
	scratch_store_b64 off, v[2:3], s33 offset:328 ; 8-byte Folded Spill
	flat_load_b64 v[2:3], v[26:27] offset:16
	s_wait_loadcnt_dscnt 0x0
	scratch_store_b64 off, v[2:3], s33 offset:304 ; 8-byte Folded Spill
.LBB12_36:
	s_wait_xcnt 0x0
	s_or_b32 exec_lo, exec_lo, s2
	v_and_b32_e32 v2, 8, v30
	s_mov_b32 s2, exec_lo
	s_delay_alu instid0(VALU_DEP_1)
	v_cmpx_ne_u32_e32 0, v2
	s_cbranch_execz .LBB12_40
; %bb.37:
	v_and_b32_e32 v2, 0x800, v30
	s_mov_b32 s3, exec_lo
	s_delay_alu instid0(VALU_DEP_1)
	v_cmpx_eq_u32_e32 0, v2
	s_cbranch_execz .LBB12_39
; %bb.38:
	s_trap 2
	ds_store_b64 v0, v[26:27]
.LBB12_39:
	s_or_b32 exec_lo, exec_lo, s3
	flat_load_b64 v[40:41], v[26:27] offset:56
	s_wait_loadcnt_dscnt 0x0
	flat_load_b64 v[46:47], v[40:41] scope:SCOPE_SYS
	s_clause 0x1
	flat_load_b32 v2, v[26:27] offset:72
	flat_load_b64 v[6:7], v[26:27] offset:16
	s_wait_loadcnt_dscnt 0x101
	v_ashrrev_i32_e32 v2, 1, v2
	s_wait_loadcnt_dscnt 0x0
	s_clause 0x1
	scratch_store_b64 off, v[6:7], s33 offset:304
	scratch_store_b64 off, v[2:3], s33 offset:312
.LBB12_40:
	s_wait_xcnt 0x0
	s_or_b32 exec_lo, exec_lo, s2
.LBB12_41:
	s_delay_alu instid0(SALU_CYCLE_1)
	s_or_b32 exec_lo, exec_lo, s0
	v_cmp_eq_u32_e64 s0, 0, v100
	s_and_saveexec_b32 s2, s0
	s_cbranch_execz .LBB12_43
; %bb.42:
	v_mov_b64_e32 v[8:9], 0
	s_wait_loadcnt 0x2
	v_dual_mov_b32 v2, v12 :: v_dual_mov_b32 v3, v13
	v_dual_mov_b32 v6, v10 :: v_dual_mov_b32 v7, v11
	ds_store_2addr_b64 v0, v[2:3], v[6:7] offset1:1
	s_trap 2
	ds_store_b64 v0, v[8:9]
	s_wait_loadcnt 0x1
	ds_store_b64 v0, v[20:21]
.LBB12_43:
	s_or_b32 exec_lo, exec_lo, s2
	s_ashr_i32 s2, s1, 31
	v_and_b32_e32 v6, 0x1fffff00, v18
	s_lshr_b32 s2, s2, 29
	v_bfe_u32 v2, v16, 1, 30
	v_mov_b32_e32 v7, 0
	s_wait_loadcnt 0x0
	v_and_b32_e32 v8, 0xffff, v4
	s_add_co_i32 s1, s1, s2
                                        ; implicit-def: $vgpr4_vgpr5
                                        ; kill: killed $vgpr4_vgpr5
	s_delay_alu instid0(SALU_CYCLE_1)
	s_ashr_i32 s17, s1, 4
	s_mov_b32 s1, exec_lo
	v_cmpx_ne_u32_e64 v22, v2
	s_xor_b32 s18, exec_lo, s1
	s_cbranch_execz .LBB12_3203
; %bb.44:
	v_cmp_ne_u32_e32 vcc_lo, v14, v2
                                        ; implicit-def: $vgpr2_vgpr3
                                        ; kill: killed $vgpr2_vgpr3
	s_and_saveexec_b32 s1, vcc_lo
	s_delay_alu instid0(SALU_CYCLE_1)
	s_xor_b32 s19, exec_lo, s1
	s_cbranch_execz .LBB12_1629
; %bb.45:
	v_mov_b64_e32 v[2:3], 0
	s_mov_b32 s20, exec_lo
	scratch_store_b64 off, v[2:3], s33 offset:256 ; 8-byte Folded Spill
	s_wait_xcnt 0x0
	v_cmpx_ne_u64_e32 0, v[24:25]
	s_cbranch_execz .LBB12_1628
; %bb.46:
	v_dual_mov_b32 v63, 0 :: v_dual_bitop2_b32 v121, 31, v100 bitop3:0x40
	s_lshr_b32 s2, s17, 27
	s_clause 0x1
	scratch_store_b64 off, v[26:27], s33 offset:416
	scratch_store_b32 off, v1, s33 offset:408
	s_add_co_i32 s2, s17, s2
	v_cmp_ge_u32_e64 s1, v100, v1
	scratch_load_b64 v[2:3], off, s33 offset:312 ; 8-byte Folded Reload
	s_ashr_i32 s21, s2, 5
	v_cmp_eq_u32_e32 vcc_lo, 32, v1
	v_cmp_ne_u32_e64 s2, 32, v1
	v_cmp_ne_u32_e64 s3, v1, v8
	v_dual_mov_b32 v73, v63 :: v_dual_lshrrev_b32 v72, 5, v1
	s_wait_xcnt 0x1
	v_dual_lshrrev_b32 v57, 5, v100 :: v_dual_lshlrev_b32 v1, 4, v121
	v_cmp_le_u32_e64 s5, v121, v0
	v_cmp_lt_u32_e64 s6, v121, v0
	v_dual_lshlrev_b32 v59, 9, v72 :: v_dual_lshlrev_b32 v90, 6, v72
	s_delay_alu instid0(VALU_DEP_4)
	v_lshl_or_b32 v124, v57, 11, v1
	scratch_load_b64 v[0:1], off, s33 offset:328 ; 8-byte Folded Reload
	v_lshl_add_u32 v110, v72, 11, 0xfffff800
	v_lshl_add_u32 v78, v72, 10, 0xfffffc00
	v_dual_mov_b32 v125, v63 :: v_dual_add_nc_u32 v104, 0xfffffe00, v59
	v_subrev_nc_u32_e32 v88, 64, v90
	s_delay_alu instid0(VALU_DEP_4) | instskip(NEXT) | instid1(VALU_DEP_3)
	v_ashrrev_i32_e32 v111, 31, v110
	v_dual_ashrrev_i32 v79, 31, v78 :: v_dual_ashrrev_i32 v105, 31, v104
	v_mov_b64_e32 v[106:107], 0
	s_delay_alu instid0(VALU_DEP_4) | instskip(NEXT) | instid1(VALU_DEP_4)
	v_ashrrev_i32_e32 v89, 31, v88
	v_add_nc_u64_e32 v[92:93], 0x800, v[110:111]
	s_delay_alu instid0(VALU_DEP_4)
	v_add_nc_u64_e32 v[94:95], 0x400, v[78:79]
	v_dual_mov_b32 v101, 1 :: v_dual_mov_b32 v102, 0x90
	s_mov_b32 s22, 0
	s_add_co_i32 s23, s33, 0xf0
	s_add_co_i32 s24, s33, 0xd0
	s_xor_b32 s25, vcc_lo, -1
	scratch_store_b32 off, v31, s33 offset:412 ; 4-byte Folded Spill
	s_wait_loadcnt 0x1
	v_ashrrev_i32_e32 v3, 31, v2
	s_wait_loadcnt 0x0
	v_cmp_eq_u64_e64 s7, 0, v[0:1]
	v_mov_b64_e32 v[0:1], 0
	s_clause 0x1
	scratch_store_b64 off, v[2:3], s33 offset:312
	scratch_store_b32 off, v8, s33 offset:424
	s_wait_xcnt 0x1
	v_and_b32_e32 v2, 31, v31
	scratch_store_b64 off, v[0:1], s33 offset:256 ; 8-byte Folded Spill
	v_cmp_eq_u32_e64 s4, 0, v2
	s_trap 2
	s_clause 0x5
	scratch_store_b32 off, v100, s33 offset:344
	scratch_store_b128 off, v[24:27], s33 offset:280
	scratch_store_b64 off, v[6:7], s33 offset:296
	scratch_store_b32 off, v57, s33 offset:368
	scratch_store_b64 off, v[104:105], s33 offset:376
	scratch_store_b64 off, v[124:125], s33 offset:384
	s_branch .LBB12_49
.LBB12_47:                              ;   in Loop: Header=BB12_49 Depth=1
	s_wait_xcnt 0x0
	s_or_b32 exec_lo, exec_lo, s10
.LBB12_48:                              ;   in Loop: Header=BB12_49 Depth=1
	s_delay_alu instid0(SALU_CYCLE_1)
	s_or_b32 exec_lo, exec_lo, s11
	s_clause 0x1
	scratch_load_b64 v[6:7], off, s33 offset:296
	scratch_load_b128 v[24:27], off, s33 offset:280
	s_wait_loadcnt 0x1
	v_add_nc_u64_e32 v[106:107], v[106:107], v[6:7]
	s_wait_loadcnt 0x0
	s_delay_alu instid0(VALU_DEP_1)
	v_cmp_ge_u64_e32 vcc_lo, v[106:107], v[24:25]
	s_or_b32 s22, vcc_lo, s22
	s_wait_xcnt 0x0
	s_and_not1_b32 exec_lo, exec_lo, s22
	s_cbranch_execz .LBB12_1627
.LBB12_49:                              ; =>This Loop Header: Depth=1
                                        ;     Child Loop BB12_58 Depth 2
                                        ;     Child Loop BB12_86 Depth 2
	;; [unrolled: 1-line block ×5, first 2 shown]
                                        ;       Child Loop BB12_911 Depth 3
                                        ;       Child Loop BB12_980 Depth 3
                                        ;     Child Loop BB12_1121 Depth 2
                                        ;     Child Loop BB12_1516 Depth 2
                                        ;       Child Loop BB12_1517 Depth 3
                                        ;       Child Loop BB12_1530 Depth 3
                                        ;     Child Loop BB12_1557 Depth 2
                                        ;     Child Loop BB12_1582 Depth 2
	;; [unrolled: 1-line block ×3, first 2 shown]
	s_wait_xcnt 0x6
	v_sub_nc_u64_e32 v[0:1], v[24:25], v[106:107]
	s_delay_alu instid0(VALU_DEP_1) | instskip(NEXT) | instid1(VALU_DEP_1)
	v_min_u64 v[108:109], v[6:7], v[0:1]
	v_add_nc_u32_e32 v0, 15, v108
	s_delay_alu instid0(VALU_DEP_2) | instskip(NEXT) | instid1(VALU_DEP_2)
	v_cmp_eq_u64_e32 vcc_lo, 0, v[108:109]
	v_and_b32_e32 v0, 0x3ffffff0, v0
	s_or_b32 s26, s1, vcc_lo
	s_delay_alu instid0(SALU_CYCLE_1) | instskip(NEXT) | instid1(VALU_DEP_1)
	s_xor_b32 s10, s26, -1
	v_dual_mov_b32 v0, 0 :: v_dual_max_i32 v109, s21, v0
	s_wait_xcnt 0x0
	s_and_saveexec_b32 s27, s10
	s_cbranch_execz .LBB12_1575
; %bb.50:                               ;   in Loop: Header=BB12_49 Depth=1
	s_and_saveexec_b32 s10, s0
	s_cbranch_execz .LBB12_52
; %bb.51:                               ;   in Loop: Header=BB12_49 Depth=1
	s_trap 2
	scratch_load_b64 v[2:3], off, s33 offset:320 ; 8-byte Folded Reload
	ds_load_b64 v[0:1], v0
	s_wait_loadcnt_dscnt 0x0
	v_lshl_add_u64 v[0:1], v[2:3], 1, v[0:1]
	v_mov_b64_e32 v[2:3], 0
	s_delay_alu instid0(VALU_DEP_2)
	v_lshl_add_u64 v[0:1], v[106:107], 1, v[0:1]
	ds_store_b64 v0, v[0:1]
	ds_store_b64 v0, v[2:3]
.LBB12_52:                              ;   in Loop: Header=BB12_49 Depth=1
	s_wait_xcnt 0x0
	s_or_b32 exec_lo, exec_lo, s10
	v_and_b32_e32 v0, 12, v30
	v_min_u32_e32 v109, v109, v108
	s_mov_b32 s11, exec_lo
	s_delay_alu instid0(VALU_DEP_2)
	v_cmpx_ne_u32_e32 0, v0
	s_cbranch_execz .LBB12_78
; %bb.53:                               ;   in Loop: Header=BB12_49 Depth=1
	v_and_b32_e32 v62, 8, v30
	s_wait_dscnt 0x0
	v_add_nc_u64_e32 v[2:3], 1, v[76:77]
	s_mov_b32 s12, exec_lo
	s_delay_alu instid0(VALU_DEP_2) | instskip(NEXT) | instid1(VALU_DEP_1)
	v_add_nc_u64_e32 v[0:1], v[46:47], v[62:63]
	v_cmpx_lt_u64_e64 v[0:1], v[2:3]
	s_cbranch_execz .LBB12_65
; %bb.54:                               ;   in Loop: Header=BB12_49 Depth=1
	v_and_b32_e32 v0, 64, v30
	s_mov_b32 s13, 0
	s_mov_b32 s29, 0
                                        ; implicit-def: $sgpr14
                                        ; implicit-def: $sgpr15
                                        ; implicit-def: $sgpr28
	s_delay_alu instid0(VALU_DEP_1)
	v_cmp_eq_u32_e32 vcc_lo, 0, v0
	s_branch .LBB12_58
.LBB12_55:                              ;   in Loop: Header=BB12_58 Depth=2
	s_wait_loadcnt_dscnt 0x0
	v_add_nc_u64_e32 v[4:5], v[46:47], v[62:63]
	s_or_b32 s42, s42, exec_lo
	s_delay_alu instid0(VALU_DEP_1)
	v_cmp_ge_u64_e64 s10, v[4:5], v[2:3]
	s_or_not1_b32 s41, s10, exec_lo
.LBB12_56:                              ;   in Loop: Header=BB12_58 Depth=2
	s_or_b32 exec_lo, exec_lo, s44
	s_delay_alu instid0(SALU_CYCLE_1)
	s_and_not1_b32 s10, s28, exec_lo
	s_and_b32 s28, s42, exec_lo
	s_and_not1_b32 s15, s15, exec_lo
	s_and_b32 s41, s41, exec_lo
	s_or_b32 s28, s10, s28
	s_or_b32 s15, s15, s41
.LBB12_57:                              ;   in Loop: Header=BB12_58 Depth=2
	s_or_b32 exec_lo, exec_lo, s40
	s_delay_alu instid0(SALU_CYCLE_1) | instskip(NEXT) | instid1(SALU_CYCLE_1)
	s_and_b32 s10, exec_lo, s15
	s_or_b32 s13, s10, s13
	s_and_not1_b32 s10, s14, exec_lo
	s_and_b32 s14, s28, exec_lo
	s_delay_alu instid0(SALU_CYCLE_1)
	s_or_b32 s14, s10, s14
	s_and_not1_b32 exec_lo, exec_lo, s13
	s_cbranch_execz .LBB12_62
.LBB12_58:                              ;   Parent Loop BB12_49 Depth=1
                                        ; =>  This Inner Loop Header: Depth=2
	s_sleep 1
	s_wait_loadcnt_dscnt 0x0
	flat_load_b64 v[46:47], v[40:41] scope:SCOPE_SYS
	s_or_b32 s28, s28, exec_lo
	s_or_b32 s15, s15, exec_lo
                                        ; implicit-def: $vgpr0
	s_wait_xcnt 0x0
	s_and_saveexec_b32 s40, vcc_lo
	s_cbranch_execz .LBB12_57
; %bb.59:                               ;   in Loop: Header=BB12_58 Depth=2
	s_cmp_lt_i32 s29, 0x270f
	s_mov_b32 s41, -1
	s_cselect_b32 s43, -1, 0
	s_cmp_gt_i32 s29, 0x270e
	s_cbranch_scc0 .LBB12_61
; %bb.60:                               ;   in Loop: Header=BB12_58 Depth=2
	s_trap 2
	ds_load_b64 v[0:1], v0
	s_and_not1_b32 s29, s43, exec_lo
	s_mov_b32 s42, 0
	s_wait_storecnt 0x0
	s_wait_loadcnt_dscnt 0x0
	flat_load_b32 v0, v[0:1] scope:SCOPE_SYS
	s_wait_loadcnt_dscnt 0x0
	global_inv scope:SCOPE_SYS
	v_cmp_eq_u32_e64 s10, 0, v0
	s_and_b32 s10, s10, exec_lo
	s_delay_alu instid0(SALU_CYCLE_1)
	s_or_b32 s43, s29, s10
	s_mov_b32 s29, 0
	s_wait_xcnt 0x0
	s_and_saveexec_b32 s44, s43
	s_cbranch_execz .LBB12_56
	s_branch .LBB12_55
.LBB12_61:                              ;   in Loop: Header=BB12_58 Depth=2
	s_add_co_i32 s29, s29, 1
	s_mov_b32 s42, -1
                                        ; implicit-def: $vgpr0
	s_and_saveexec_b32 s44, s43
	s_cbranch_execz .LBB12_56
	s_branch .LBB12_55
.LBB12_62:                              ;   in Loop: Header=BB12_49 Depth=1
	s_or_b32 exec_lo, exec_lo, s13
	s_xor_b32 s10, s14, -1
	s_delay_alu instid0(SALU_CYCLE_1) | instskip(NEXT) | instid1(SALU_CYCLE_1)
	s_and_saveexec_b32 s13, s10
	s_xor_b32 s10, exec_lo, s13
	s_cbranch_execz .LBB12_64
; %bb.63:                               ;   in Loop: Header=BB12_49 Depth=1
	v_or_b32_e32 v30, 64, v30
	s_wait_storecnt 0x0
	s_wait_loadcnt_dscnt 0x0
	ds_store_b32 v0, v0
	s_trap 2
.LBB12_64:                              ;   in Loop: Header=BB12_49 Depth=1
	s_or_b32 exec_lo, exec_lo, s10
.LBB12_65:                              ;   in Loop: Header=BB12_49 Depth=1
	s_delay_alu instid0(SALU_CYCLE_1) | instskip(SKIP_3) | instid1(VALU_DEP_1)
	s_or_b32 exec_lo, exec_lo, s12
	v_and_b32_e32 v0, 0x108, v30
	s_mov_b32 s10, exec_lo
	;;#ASMSTART
	s_wakeup
	;;#ASMEND
                                        ; implicit-def: $vgpr10_vgpr11
	v_cmpx_ne_u32_e32 0x108, v0
	s_xor_b32 s10, exec_lo, s10
; %bb.66:                               ;   in Loop: Header=BB12_49 Depth=1
	v_dual_mov_b32 v11, v63 :: v_dual_bitop2_b32 v10, 7, v76 bitop3:0x40
; %bb.67:                               ;   in Loop: Header=BB12_49 Depth=1
	s_and_not1_saveexec_b32 s10, s10
	s_cbranch_execz .LBB12_69
; %bb.68:                               ;   in Loop: Header=BB12_49 Depth=1
	v_dual_mov_b32 v4, v74 :: v_dual_mov_b32 v5, v75
	v_dual_mov_b32 v6, v76 :: v_dual_mov_b32 v11, v63
	s_delay_alu instid0(VALU_DEP_1) | instskip(NEXT) | instid1(VALU_DEP_1)
	v_and_b32_e32 v10, 7, v6
	v_mad_nc_u64_u32 v[0:1], v10, 24, v[4:5]
	v_dual_mov_b32 v5, v63 :: v_dual_lshlrev_b32 v4, 1, v109
	flat_store_b64 v[0:1], v[4:5] offset:8
.LBB12_69:                              ;   in Loop: Header=BB12_49 Depth=1
	s_wait_xcnt 0x0
	s_or_b32 exec_lo, exec_lo, s10
	v_and_b32_e32 v0, 0x100, v30
	s_mov_b32 s10, -1
	s_mov_b32 s12, exec_lo
                                        ; implicit-def: $vgpr8_vgpr9
	s_delay_alu instid0(VALU_DEP_1)
	v_cmpx_ne_u32_e32 0, v0
	s_cbranch_execz .LBB12_73
; %bb.70:                               ;   in Loop: Header=BB12_49 Depth=1
	v_mad_nc_u64_u32 v[12:13], v10, 24, v[74:75]
	s_mov_b32 s13, exec_lo
                                        ; implicit-def: $vgpr8_vgpr9
	s_delay_alu instid0(VALU_DEP_1)
	v_mad_u32 v13, v11, 24, v13
	flat_load_b32 v0, v[12:13]
	s_wait_loadcnt_dscnt 0x0
	v_cmp_ne_u32_e32 vcc_lo, 1, v0
	s_wait_xcnt 0x0
	v_cmpx_eq_u32_e32 1, v0
	s_cbranch_execz .LBB12_72
; %bb.71:                               ;   in Loop: Header=BB12_49 Depth=1
	flat_load_b32 v0, v[12:13] offset:4 scope:SCOPE_SYS
	s_wait_loadcnt_dscnt 0x0
	v_ashrrev_i32_e32 v1, 31, v0
	s_delay_alu instid0(VALU_DEP_1)
	v_lshrrev_b64 v[8:9], 1, v[0:1]
.LBB12_72:                              ;   in Loop: Header=BB12_49 Depth=1
	s_wait_xcnt 0x0
	s_or_b32 exec_lo, exec_lo, s13
	s_delay_alu instid0(SALU_CYCLE_1)
	s_or_not1_b32 s10, vcc_lo, exec_lo
.LBB12_73:                              ;   in Loop: Header=BB12_49 Depth=1
	s_or_b32 exec_lo, exec_lo, s12
	s_and_saveexec_b32 s12, s10
	s_cbranch_execz .LBB12_75
; %bb.74:                               ;   in Loop: Header=BB12_49 Depth=1
	scratch_load_b64 v[0:1], off, s33 offset:312 ; 8-byte Folded Reload
	s_wait_loadcnt 0x0
	v_mul_u64_e32 v[8:9], v[10:11], v[0:1]
.LBB12_75:                              ;   in Loop: Header=BB12_49 Depth=1
	s_wait_xcnt 0x0
	s_or_b32 exec_lo, exec_lo, s12
	scratch_load_b64 v[0:1], off, s33 offset:304 ; 8-byte Folded Reload
	v_cmp_eq_u32_e32 vcc_lo, 0, v62
	v_and_b32_e32 v5, 0x2000, v30
	s_mov_b32 s10, exec_lo
	v_cndmask_b32_e32 v4, 0xc8, v102, vcc_lo
	s_wait_loadcnt 0x0
	v_lshl_add_u64 v[0:1], v[8:9], 1, v[0:1]
	s_delay_alu instid0(VALU_DEP_1)
	v_add_nc_u32_e32 v4, v0, v4
	ds_store_b64 v4, v[0:1] offset:584
	s_wait_xcnt 0x0
	v_cmpx_ne_u32_e32 0, v5
	s_cbranch_execz .LBB12_77
; %bb.76:                               ;   in Loop: Header=BB12_49 Depth=1
	ds_load_b64 v[0:1], v0 offset:872
	s_wait_dscnt 0x0
	v_add_nc_u64_e32 v[0:1], 1, v[0:1]
	ds_store_b64 v0, v[0:1] offset:872
.LBB12_77:                              ;   in Loop: Header=BB12_49 Depth=1
	s_or_b32 exec_lo, exec_lo, s10
	v_mov_b64_e32 v[76:77], v[2:3]
.LBB12_78:                              ;   in Loop: Header=BB12_49 Depth=1
	s_or_b32 exec_lo, exec_lo, s11
	s_and_saveexec_b32 s10, s2
	s_cbranch_execz .LBB12_97
; %bb.79:                               ;   in Loop: Header=BB12_49 Depth=1
	s_and_saveexec_b32 s11, s3
	s_delay_alu instid0(SALU_CYCLE_1)
	s_xor_b32 s11, exec_lo, s11
	s_cbranch_execz .LBB12_94
; %bb.80:                               ;   in Loop: Header=BB12_49 Depth=1
	s_and_saveexec_b32 s12, s4
	s_cbranch_execz .LBB12_93
; %bb.81:                               ;   in Loop: Header=BB12_49 Depth=1
	s_mov_b32 s14, exec_lo
	s_mov_b32 s13, exec_lo
	v_mbcnt_lo_u32_b32 v0, s14, 0
	global_wb scope:SCOPE_DEV
	s_wait_storecnt_dscnt 0x0
	global_inv scope:SCOPE_DEV
	v_cmpx_eq_u32_e32 0, v0
	s_cbranch_execz .LBB12_83
; %bb.82:                               ;   in Loop: Header=BB12_49 Depth=1
	s_bcnt1_i32_b32 s14, s14
	s_delay_alu instid0(SALU_CYCLE_1)
	v_mov_b32_e32 v62, s14
	s_wait_loadcnt 0x0
	ds_add_u64 v0, v[62:63]
	s_trap 2
.LBB12_83:                              ;   in Loop: Header=BB12_49 Depth=1
	s_or_b32 exec_lo, exec_lo, s13
	s_trap 2
	ds_load_b64 v[0:1], v0
	s_wait_dscnt 0x0
	scratch_load_b64 v[2:3], off, s33 offset:256 th:TH_LOAD_LU ; 8-byte Folded Reload
	s_mov_b32 s13, exec_lo
	s_wait_loadcnt 0x0
	v_add_nc_u64_e32 v[2:3], v[2:3], v[72:73]
	scratch_store_b64 off, v[2:3], s33 offset:256 ; 8-byte Folded Spill
	s_wait_xcnt 0x0
	v_cmpx_lt_u64_e64 v[0:1], v[2:3]
	s_cbranch_execz .LBB12_92
; %bb.84:                               ;   in Loop: Header=BB12_49 Depth=1
	s_mov_b32 s14, 0
	s_mov_b32 s29, 0
                                        ; implicit-def: $sgpr15
                                        ; implicit-def: $sgpr28
	s_branch .LBB12_86
.LBB12_85:                              ;   in Loop: Header=BB12_86 Depth=2
	s_wait_xcnt 0x0
	s_or_b32 exec_lo, exec_lo, s41
	s_delay_alu instid0(SALU_CYCLE_1) | instskip(NEXT) | instid1(SALU_CYCLE_1)
	s_and_b32 s40, exec_lo, s42
	s_or_b32 s14, s40, s14
	s_and_not1_b32 s15, s15, exec_lo
	s_and_b32 s40, s28, exec_lo
	s_delay_alu instid0(SALU_CYCLE_1)
	s_or_b32 s15, s15, s40
	s_and_not1_b32 exec_lo, exec_lo, s14
	s_cbranch_execz .LBB12_90
.LBB12_86:                              ;   Parent Loop BB12_49 Depth=1
                                        ; =>  This Inner Loop Header: Depth=2
	s_add_co_i32 s29, s29, 1
	s_delay_alu instid0(SALU_CYCLE_1) | instskip(SKIP_1) | instid1(SALU_CYCLE_1)
	s_cmp_lg_u32 s29, 0x2710
	s_cselect_b32 s40, -1, 0
	s_and_b32 vcc_lo, exec_lo, s40
	s_cbranch_vccz .LBB12_88
; %bb.87:                               ;   in Loop: Header=BB12_86 Depth=2
	s_mov_b32 s42, -1
	s_or_b32 s28, s28, exec_lo
	s_and_saveexec_b32 s41, s40
	s_cbranch_execz .LBB12_85
	s_branch .LBB12_89
.LBB12_88:                              ;   in Loop: Header=BB12_86 Depth=2
	s_trap 2
	ds_load_b64 v[0:1], v0
	s_and_not1_b32 s40, s40, exec_lo
	s_mov_b32 s29, 0
	s_wait_storecnt_dscnt 0x0
	flat_load_b32 v0, v[0:1] scope:SCOPE_SYS
	s_wait_loadcnt_dscnt 0x0
	global_inv scope:SCOPE_SYS
	v_cmp_eq_u32_e32 vcc_lo, 0, v0
	s_and_b32 s41, vcc_lo, exec_lo
	s_delay_alu instid0(SALU_CYCLE_1)
	s_or_b32 s40, s40, s41
	s_mov_b32 s42, -1
	s_or_b32 s28, s28, exec_lo
	s_wait_xcnt 0x0
	s_and_saveexec_b32 s41, s40
	s_cbranch_execz .LBB12_85
.LBB12_89:                              ;   in Loop: Header=BB12_86 Depth=2
	s_sleep 1
	s_trap 2
	ds_load_b64 v[0:1], v0
	s_wait_dscnt 0x0
	scratch_load_b64 v[2:3], off, s33 offset:256 ; 8-byte Folded Reload
	s_and_not1_b32 s28, s28, exec_lo
	s_wait_loadcnt 0x0
	v_cmp_ge_u64_e32 vcc_lo, v[0:1], v[2:3]
	s_or_not1_b32 s42, vcc_lo, exec_lo
	s_branch .LBB12_85
.LBB12_90:                              ;   in Loop: Header=BB12_49 Depth=1
	s_or_b32 exec_lo, exec_lo, s14
	s_and_saveexec_b32 s14, s15
	s_delay_alu instid0(SALU_CYCLE_1)
	s_xor_b32 s14, exec_lo, s14
	s_cbranch_execz .LBB12_92
; %bb.91:                               ;   in Loop: Header=BB12_49 Depth=1
	ds_store_b32 v0, v101
	s_trap 2
.LBB12_92:                              ;   in Loop: Header=BB12_49 Depth=1
	s_or_b32 exec_lo, exec_lo, s13
	;;#ASMSTART
	s_wakeup
	;;#ASMEND
.LBB12_93:                              ;   in Loop: Header=BB12_49 Depth=1
	s_or_b32 exec_lo, exec_lo, s12
.LBB12_94:                              ;   in Loop: Header=BB12_49 Depth=1
	s_and_not1_saveexec_b32 s11, s11
	s_cbranch_execz .LBB12_96
; %bb.95:                               ;   in Loop: Header=BB12_49 Depth=1
	global_wb scope:SCOPE_DEV
	s_wait_storecnt 0x0
	s_wait_loadcnt_dscnt 0x0
	global_inv scope:SCOPE_DEV
	s_barrier_signal -1
	s_barrier_wait -1
.LBB12_96:                              ;   in Loop: Header=BB12_49 Depth=1
	s_or_b32 exec_lo, exec_lo, s11
.LBB12_97:                              ;   in Loop: Header=BB12_49 Depth=1
	s_delay_alu instid0(SALU_CYCLE_1) | instskip(SKIP_3) | instid1(VALU_DEP_1)
	s_or_b32 exec_lo, exec_lo, s10
	s_trap 2
	ds_load_b32 v0, v0
	v_and_b32_e32 v1, 0x4000, v30
	v_cmp_ne_u32_e32 vcc_lo, 0, v1
	s_and_b32 s11, s25, vcc_lo
	s_delay_alu instid0(SALU_CYCLE_1)
	s_and_saveexec_b32 s10, s11
	s_cbranch_execz .LBB12_116
; %bb.98:                               ;   in Loop: Header=BB12_49 Depth=1
	s_and_saveexec_b32 s11, s3
	s_delay_alu instid0(SALU_CYCLE_1)
	s_xor_b32 s11, exec_lo, s11
	s_cbranch_execz .LBB12_113
; %bb.99:                               ;   in Loop: Header=BB12_49 Depth=1
	s_and_saveexec_b32 s12, s4
	s_cbranch_execz .LBB12_112
; %bb.100:                              ;   in Loop: Header=BB12_49 Depth=1
	s_mov_b32 s14, exec_lo
	s_mov_b32 s13, exec_lo
	v_mbcnt_lo_u32_b32 v1, s14, 0
	global_wb scope:SCOPE_DEV
	s_wait_storecnt 0x0
	s_wait_loadcnt_dscnt 0x0
	global_inv scope:SCOPE_DEV
	v_cmpx_eq_u32_e32 0, v1
	s_cbranch_execz .LBB12_102
; %bb.101:                              ;   in Loop: Header=BB12_49 Depth=1
	s_bcnt1_i32_b32 s14, s14
	s_delay_alu instid0(SALU_CYCLE_1)
	v_mov_b32_e32 v62, s14
	s_wait_loadcnt 0x0
	ds_add_u64 v0, v[62:63]
	s_trap 2
.LBB12_102:                             ;   in Loop: Header=BB12_49 Depth=1
	s_or_b32 exec_lo, exec_lo, s13
	s_trap 2
	ds_load_b64 v[2:3], v0
	s_wait_dscnt 0x0
	scratch_load_b64 v[4:5], off, s33 offset:256 th:TH_LOAD_LU ; 8-byte Folded Reload
	s_mov_b32 s13, exec_lo
	s_wait_loadcnt 0x0
	v_add_nc_u64_e32 v[4:5], v[4:5], v[72:73]
	scratch_store_b64 off, v[4:5], s33 offset:256 ; 8-byte Folded Spill
	s_wait_xcnt 0x0
	v_cmpx_lt_u64_e64 v[2:3], v[4:5]
	s_cbranch_execz .LBB12_111
; %bb.103:                              ;   in Loop: Header=BB12_49 Depth=1
	s_mov_b32 s14, 0
	s_mov_b32 s29, 0
                                        ; implicit-def: $sgpr15
                                        ; implicit-def: $sgpr28
	s_branch .LBB12_105
.LBB12_104:                             ;   in Loop: Header=BB12_105 Depth=2
	s_wait_xcnt 0x0
	s_or_b32 exec_lo, exec_lo, s41
	s_delay_alu instid0(SALU_CYCLE_1) | instskip(NEXT) | instid1(SALU_CYCLE_1)
	s_and_b32 s40, exec_lo, s42
	s_or_b32 s14, s40, s14
	s_and_not1_b32 s15, s15, exec_lo
	s_and_b32 s40, s28, exec_lo
	s_delay_alu instid0(SALU_CYCLE_1)
	s_or_b32 s15, s15, s40
	s_and_not1_b32 exec_lo, exec_lo, s14
	s_cbranch_execz .LBB12_109
.LBB12_105:                             ;   Parent Loop BB12_49 Depth=1
                                        ; =>  This Inner Loop Header: Depth=2
	s_add_co_i32 s29, s29, 1
	s_delay_alu instid0(SALU_CYCLE_1) | instskip(SKIP_1) | instid1(SALU_CYCLE_1)
	s_cmp_lg_u32 s29, 0x2710
	s_cselect_b32 s40, -1, 0
	s_and_b32 vcc_lo, exec_lo, s40
	s_cbranch_vccz .LBB12_107
; %bb.106:                              ;   in Loop: Header=BB12_105 Depth=2
	s_mov_b32 s42, -1
	s_or_b32 s28, s28, exec_lo
	s_and_saveexec_b32 s41, s40
	s_cbranch_execz .LBB12_104
	s_branch .LBB12_108
.LBB12_107:                             ;   in Loop: Header=BB12_105 Depth=2
	s_trap 2
	ds_load_b64 v[2:3], v0
	s_and_not1_b32 s40, s40, exec_lo
	s_mov_b32 s29, 0
	s_wait_storecnt_dscnt 0x0
	flat_load_b32 v1, v[2:3] scope:SCOPE_SYS
	s_wait_loadcnt_dscnt 0x0
	global_inv scope:SCOPE_SYS
	v_cmp_eq_u32_e32 vcc_lo, 0, v1
	s_and_b32 s41, vcc_lo, exec_lo
	s_delay_alu instid0(SALU_CYCLE_1)
	s_or_b32 s40, s40, s41
	s_mov_b32 s42, -1
	s_or_b32 s28, s28, exec_lo
	s_wait_xcnt 0x0
	s_and_saveexec_b32 s41, s40
	s_cbranch_execz .LBB12_104
.LBB12_108:                             ;   in Loop: Header=BB12_105 Depth=2
	s_sleep 1
	s_trap 2
	ds_load_b64 v[2:3], v0
	s_wait_dscnt 0x0
	scratch_load_b64 v[4:5], off, s33 offset:256 ; 8-byte Folded Reload
	s_and_not1_b32 s28, s28, exec_lo
	s_wait_loadcnt 0x0
	v_cmp_ge_u64_e32 vcc_lo, v[2:3], v[4:5]
	s_or_not1_b32 s42, vcc_lo, exec_lo
	s_branch .LBB12_104
.LBB12_109:                             ;   in Loop: Header=BB12_49 Depth=1
	s_or_b32 exec_lo, exec_lo, s14
	s_and_saveexec_b32 s14, s15
	s_delay_alu instid0(SALU_CYCLE_1)
	s_xor_b32 s14, exec_lo, s14
	s_cbranch_execz .LBB12_111
; %bb.110:                              ;   in Loop: Header=BB12_49 Depth=1
	ds_store_b32 v0, v101
	s_trap 2
.LBB12_111:                             ;   in Loop: Header=BB12_49 Depth=1
	s_or_b32 exec_lo, exec_lo, s13
	;;#ASMSTART
	s_wakeup
	;;#ASMEND
.LBB12_112:                             ;   in Loop: Header=BB12_49 Depth=1
	s_or_b32 exec_lo, exec_lo, s12
.LBB12_113:                             ;   in Loop: Header=BB12_49 Depth=1
	s_and_not1_saveexec_b32 s11, s11
	s_cbranch_execz .LBB12_115
; %bb.114:                              ;   in Loop: Header=BB12_49 Depth=1
	global_wb scope:SCOPE_DEV
	s_wait_storecnt 0x0
	s_wait_loadcnt_dscnt 0x0
	global_inv scope:SCOPE_DEV
	s_barrier_signal -1
	s_barrier_wait -1
.LBB12_115:                             ;   in Loop: Header=BB12_49 Depth=1
	s_or_b32 exec_lo, exec_lo, s11
.LBB12_116:                             ;   in Loop: Header=BB12_49 Depth=1
	s_delay_alu instid0(SALU_CYCLE_1)
	s_or_b32 exec_lo, exec_lo, s10
	s_trap 2
	s_wait_dscnt 0x0
	ds_load_b64 v[2:3], v0
	s_wait_dscnt 0x0
	v_cmp_eq_u64_e32 vcc_lo, 0, v[2:3]
	scratch_store_b64 off, v[2:3], s33 offset:264 ; 8-byte Folded Spill
	s_cbranch_vccnz .LBB12_124
; %bb.117:                              ;   in Loop: Header=BB12_49 Depth=1
	s_trap 2
	s_wait_xcnt 0x0
	ds_load_b64 v[2:3], v0
	s_wait_dscnt 0x0
	v_cmp_eq_u64_e32 vcc_lo, 0, v[2:3]
	scratch_store_b64 off, v[2:3], s33 offset:336 ; 8-byte Folded Spill
	s_cbranch_vccnz .LBB12_124
; %bb.118:                              ;   in Loop: Header=BB12_49 Depth=1
	s_mov_b32 s10, -1
	s_wait_xcnt 0x0
	s_and_saveexec_b32 s11, s5
	s_cbranch_execz .LBB12_120
; %bb.119:                              ;   in Loop: Header=BB12_49 Depth=1
	ds_load_b32 v1, v0 offset:720
	s_wait_dscnt 0x0
	v_and_b32_e32 v1, 15, v1
	s_delay_alu instid0(VALU_DEP_1)
	v_cmp_eq_u32_e32 vcc_lo, 0, v1
	s_or_not1_b32 s10, vcc_lo, exec_lo
.LBB12_120:                             ;   in Loop: Header=BB12_49 Depth=1
	s_or_b32 exec_lo, exec_lo, s11
	s_and_saveexec_b32 s11, s6
	s_cbranch_execz .LBB12_122
; %bb.121:                              ;   in Loop: Header=BB12_49 Depth=1
	ds_load_b32 v1, v0 offset:784
	s_wait_dscnt 0x0
	v_and_b32_e32 v1, 15, v1
	s_delay_alu instid0(VALU_DEP_1) | instskip(SKIP_3) | instid1(SALU_CYCLE_1)
	v_cmp_eq_u32_e32 vcc_lo, 0, v1
	s_and_b32 s12, s10, vcc_lo
	s_and_not1_b32 s10, s10, exec_lo
	s_and_b32 s12, s12, exec_lo
	s_or_b32 s10, s10, s12
.LBB12_122:                             ;   in Loop: Header=BB12_49 Depth=1
	s_or_b32 exec_lo, exec_lo, s11
	s_xor_b32 s10, s10, -1
	s_mov_b32 s11, -1
	v_cndmask_b32_e64 v1, 0, 1, s10
	v_cmp_eq_u32_e64 s10, 0, v0
	s_delay_alu instid0(VALU_DEP_2)
	v_cmp_ne_u32_e32 vcc_lo, 0, v1
	s_cbranch_vccz .LBB12_125
; %bb.123:                              ;   in Loop: Header=BB12_49 Depth=1
	s_mov_b32 s11, 0
	s_mov_b32 s13, -1
	s_branch .LBB12_126
.LBB12_124:                             ;   in Loop: Header=BB12_49 Depth=1
	s_mov_b32 s10, 0
	s_wait_xcnt 0x0
	s_and_saveexec_b32 s11, s2
	s_cbranch_execnz .LBB12_1550
	s_branch .LBB12_1568
.LBB12_125:                             ;   in Loop: Header=BB12_49 Depth=1
	s_mov_b32 s13, 0
.LBB12_126:                             ;   in Loop: Header=BB12_49 Depth=1
	v_dual_cndmask_b32 v103, 0, v109, s10 :: v_dual_mov_b32 v18, 0
	s_and_not1_b32 vcc_lo, exec_lo, s11
	s_delay_alu instid0(VALU_DEP_1)
	v_lshlrev_b32_e32 v112, 1, v103
	s_cbranch_vccnz .LBB12_646
; %bb.127:                              ;   in Loop: Header=BB12_49 Depth=1
	scratch_load_b64 v[0:1], off, s33 offset:336 ; 8-byte Folded Reload
	v_lshrrev_b32_e32 v113, 10, v103
	s_mov_b32 s11, 0
	s_mov_b32 s10, exec_lo
                                        ; implicit-def: $vgpr96_vgpr97
                                        ; implicit-def: $vgpr68_vgpr69
                                        ; implicit-def: $vgpr48_vgpr49
                                        ; implicit-def: $vgpr26_vgpr27
                                        ; implicit-def: $vgpr22_vgpr23
                                        ; implicit-def: $vgpr18_vgpr19
                                        ; implicit-def: $vgpr14_vgpr15
                                        ; implicit-def: $vgpr10_vgpr11
	s_delay_alu instid0(VALU_DEP_1) | instskip(SKIP_3) | instid1(VALU_DEP_2)
	v_sub_nc_u32_e32 v42, v113, v57
	s_wait_loadcnt 0x0
	v_add_nc_u64_e32 v[122:123], v[0:1], v[124:125]
	s_wait_xcnt 0x0
	v_cmpx_lt_i32_e32 0, v42
	s_cbranch_execz .LBB12_648
; %bb.128:                              ;   in Loop: Header=BB12_49 Depth=1
	s_clause 0x2
	scratch_store_b32 off, v113, s33 offset:364
	scratch_store_b32 off, v112, s33 offset:356
	;; [unrolled: 1-line block ×3, first 2 shown]
	s_trap 2
	scratch_load_b64 v[2:3], off, s33 offset:264 ; 8-byte Folded Reload
	ds_load_b64 v[0:1], v0
	s_mov_b32 s14, 0
                                        ; implicit-def: $sgpr12
                                        ; implicit-def: $vgpr96_vgpr97
                                        ; implicit-def: $vgpr68_vgpr69
                                        ; implicit-def: $vgpr48_vgpr49
                                        ; implicit-def: $vgpr26_vgpr27
                                        ; implicit-def: $vgpr22_vgpr23
                                        ; implicit-def: $vgpr18_vgpr19
                                        ; implicit-def: $vgpr14_vgpr15
                                        ; implicit-def: $vgpr10_vgpr11
	s_wait_dscnt 0x0
	ds_load_b32 v4, v0
	s_wait_dscnt 0x0
	v_lshlrev_b32_e32 v119, 16, v4
	s_wait_loadcnt 0x0
	v_add_nc_u64_e32 v[2:3], v[2:3], v[124:125]
	v_add_nc_u64_e32 v[124:125], v[0:1], v[124:125]
	s_branch .LBB12_130
.LBB12_129:                             ;   in Loop: Header=BB12_130 Depth=2
	s_or_b32 exec_lo, exec_lo, s15
	v_dual_lshrrev_b32 v8, 16, v55 :: v_dual_lshrrev_b32 v5, 16, v5
	v_dual_lshrrev_b32 v9, 16, v112 :: v_dual_lshrrev_b32 v55, 16, v102
	v_lshrrev_b32_e32 v80, 16, v61
	s_delay_alu instid0(VALU_DEP_3) | instskip(SKIP_4) | instid1(VALU_DEP_4)
	v_and_or_b32 v35, 0xffff0000, v37, v8
	v_lshrrev_b32_e32 v8, 16, v118
	v_and_or_b32 v34, 0xffff0000, v36, v5
	v_and_or_b32 v36, 0xffff0000, v38, v9
	v_dual_lshrrev_b32 v9, 16, v82 :: v_dual_lshrrev_b32 v0, 16, v0
	v_and_or_b32 v52, 0xffff0000, v52, v8
	v_dual_lshrrev_b32 v5, 16, v45 :: v_dual_lshrrev_b32 v8, 16, v43
	v_lshrrev_b32_e32 v38, 16, v65
	s_delay_alu instid0(VALU_DEP_4)
	v_and_or_b32 v65, 0xffff0000, v31, v9
	v_and_or_b32 v64, 0xffff0000, v64, v0
	v_dual_lshrrev_b32 v0, 16, v83 :: v_dual_lshrrev_b32 v9, 16, v84
	v_dual_lshrrev_b32 v7, 16, v7 :: v_dual_cndmask_b32 v31, 0, v72, s14
	v_and_or_b32 v37, 0xffff0000, v39, v55
	v_and_or_b32 v55, 0xffff0000, v4, v8
	v_dual_lshrrev_b32 v4, 16, v86 :: v_dual_lshrrev_b32 v8, 16, v100
	v_and_or_b32 v67, 0xffff0000, v67, v0
	v_and_or_b32 v7, 0xffff0000, v1, v7
	v_add_nc_u64_e32 v[0:1], v[2:3], v[110:111]
	v_and_or_b32 v6, 0xffff0000, v6, v9
	v_dual_cndmask_b32 v9, 0, v93, s14 :: v_dual_sub_nc_u32 v42, v42, v31
	v_and_or_b32 v54, 0xffff0000, v54, v5
	v_and_or_b32 v66, 0xffff0000, v66, v38
	;; [unrolled: 1-line block ×4, first 2 shown]
	v_cndmask_b32_e64 v8, 0x800, v92, s14
	v_add_nc_u64_e32 v[32:33], v[124:125], v[110:111]
	v_and_or_b32 v53, 0xffff0000, v53, v80
	v_cndmask_b32_e64 v3, v3, v1, s14
	v_cmp_gt_i32_e32 vcc_lo, 1, v42
	s_clause 0x3
	global_store_b128 v[122:123], v[64:67], off th:TH_STORE_NT
	global_store_b128 v[122:123], v[52:55], off offset:512 th:TH_STORE_NT
	global_store_b128 v[122:123], v[34:37], off offset:1024 th:TH_STORE_NT
	;; [unrolled: 1-line block ×3, first 2 shown]
	s_wait_xcnt 0x0
	v_add_nc_u64_e32 v[122:123], v[122:123], v[8:9]
	v_dual_cndmask_b32 v2, v2, v0, s14 :: v_dual_cndmask_b32 v125, v125, v33, s14
	v_cndmask_b32_e64 v124, v124, v32, s14
	s_or_b32 s11, vcc_lo, s11
	s_and_not1_b32 s12, s12, exec_lo
	s_and_b32 s15, s14, exec_lo
	s_delay_alu instid0(SALU_CYCLE_1)
	s_or_b32 s12, s12, s15
	s_and_not1_b32 exec_lo, exec_lo, s11
	s_cbranch_execz .LBB12_647
.LBB12_130:                             ;   Parent Loop BB12_49 Depth=1
                                        ; =>  This Inner Loop Header: Depth=2
	s_clause 0x3
	global_load_b128 v[112:115], v[2:3], off th:TH_LOAD_NT
	global_load_b128 v[100:103], v[2:3], off offset:512 th:TH_LOAD_NT
	global_load_b128 v[84:87], v[2:3], off offset:1024 th:TH_LOAD_NT
	;; [unrolled: 1-line block ×3, first 2 shown]
	s_clause 0x3
	global_load_b128 v[64:67], v[124:125], off th:TH_LOAD_NT
	global_load_b128 v[52:55], v[124:125], off offset:512 th:TH_LOAD_NT
	global_load_b128 v[36:39], v[124:125], off offset:1024 th:TH_LOAD_NT
	;; [unrolled: 1-line block ×3, first 2 shown]
	s_wait_xcnt 0x0
	s_and_saveexec_b32 s15, s14
	s_cbranch_execz .LBB12_388
; %bb.131:                              ;   in Loop: Header=BB12_130 Depth=2
	v_lshlrev_b32_e32 v0, 16, v96
	s_delay_alu instid0(VALU_DEP_1) | instskip(NEXT) | instid1(VALU_DEP_1)
	v_mul_f32_e32 v1, v119, v0
	v_and_b32_e32 v0, 0x7f800000, v1
	s_delay_alu instid0(VALU_DEP_1) | instskip(SKIP_1) | instid1(SALU_CYCLE_1)
	v_cmp_ne_u32_e32 vcc_lo, 0x7f800000, v0
                                        ; implicit-def: $vgpr0
	s_and_saveexec_b32 s14, vcc_lo
	s_xor_b32 s14, exec_lo, s14
; %bb.132:                              ;   in Loop: Header=BB12_130 Depth=2
	v_bfe_u32 v0, v1, 16, 1
	s_delay_alu instid0(VALU_DEP_1)
	v_add3_u32 v0, v1, v0, 0x7fff
                                        ; implicit-def: $vgpr1
; %bb.133:                              ;   in Loop: Header=BB12_130 Depth=2
	s_and_not1_saveexec_b32 s14, s14
; %bb.134:                              ;   in Loop: Header=BB12_130 Depth=2
	v_and_b32_e32 v0, 0xffff, v1
	v_or_b32_e32 v4, 0x10000, v1
	s_delay_alu instid0(VALU_DEP_2) | instskip(NEXT) | instid1(VALU_DEP_2)
	v_cmp_eq_u32_e32 vcc_lo, 0, v0
	v_cndmask_b32_e32 v0, v4, v1, vcc_lo
; %bb.135:                              ;   in Loop: Header=BB12_130 Depth=2
	s_or_b32 exec_lo, exec_lo, s14
	v_and_b32_e32 v1, 0xffff0000, v96
	s_delay_alu instid0(VALU_DEP_1) | instskip(NEXT) | instid1(VALU_DEP_1)
	v_mul_f32_e32 v4, v119, v1
	v_and_b32_e32 v1, 0x7f800000, v4
	s_delay_alu instid0(VALU_DEP_1) | instskip(SKIP_1) | instid1(SALU_CYCLE_1)
	v_cmp_ne_u32_e32 vcc_lo, 0x7f800000, v1
                                        ; implicit-def: $vgpr1
	s_and_saveexec_b32 s14, vcc_lo
	s_xor_b32 s14, exec_lo, s14
; %bb.136:                              ;   in Loop: Header=BB12_130 Depth=2
	v_bfe_u32 v1, v4, 16, 1
	s_delay_alu instid0(VALU_DEP_1)
	v_add3_u32 v1, v4, v1, 0x7fff
                                        ; implicit-def: $vgpr4
; %bb.137:                              ;   in Loop: Header=BB12_130 Depth=2
	s_and_not1_saveexec_b32 s14, s14
; %bb.138:                              ;   in Loop: Header=BB12_130 Depth=2
	v_and_b32_e32 v1, 0xffff, v4
	v_or_b32_e32 v5, 0x10000, v4
	s_delay_alu instid0(VALU_DEP_2) | instskip(NEXT) | instid1(VALU_DEP_2)
	v_cmp_eq_u32_e32 vcc_lo, 0, v1
	v_cndmask_b32_e32 v1, v5, v4, vcc_lo
; %bb.139:                              ;   in Loop: Header=BB12_130 Depth=2
	s_or_b32 exec_lo, exec_lo, s14
	v_lshlrev_b32_e32 v4, 16, v97
	s_mov_b32 s14, exec_lo
                                        ; implicit-def: $vgpr105
	s_delay_alu instid0(VALU_DEP_1) | instskip(NEXT) | instid1(VALU_DEP_1)
	v_mul_f32_e32 v4, v119, v4
	v_and_b32_e32 v5, 0x7f800000, v4
	s_delay_alu instid0(VALU_DEP_1)
	v_cmpx_ne_u32_e32 0x7f800000, v5
	s_xor_b32 s14, exec_lo, s14
; %bb.140:                              ;   in Loop: Header=BB12_130 Depth=2
	v_bfe_u32 v5, v4, 16, 1
	s_delay_alu instid0(VALU_DEP_1)
	v_add3_u32 v105, v4, v5, 0x7fff
                                        ; implicit-def: $vgpr4
; %bb.141:                              ;   in Loop: Header=BB12_130 Depth=2
	s_and_not1_saveexec_b32 s14, s14
; %bb.142:                              ;   in Loop: Header=BB12_130 Depth=2
	v_and_b32_e32 v5, 0xffff, v4
	v_or_b32_e32 v6, 0x10000, v4
	s_delay_alu instid0(VALU_DEP_2) | instskip(NEXT) | instid1(VALU_DEP_2)
	v_cmp_eq_u32_e32 vcc_lo, 0, v5
	v_cndmask_b32_e32 v105, v6, v4, vcc_lo
; %bb.143:                              ;   in Loop: Header=BB12_130 Depth=2
	s_or_b32 exec_lo, exec_lo, s14
	v_and_b32_e32 v4, 0xffff0000, v97
	s_mov_b32 s14, exec_lo
                                        ; implicit-def: $vgpr31
	s_delay_alu instid0(VALU_DEP_1) | instskip(NEXT) | instid1(VALU_DEP_1)
	v_mul_f32_e32 v4, v119, v4
	v_and_b32_e32 v5, 0x7f800000, v4
	s_delay_alu instid0(VALU_DEP_1)
	v_cmpx_ne_u32_e32 0x7f800000, v5
	s_xor_b32 s14, exec_lo, s14
; %bb.144:                              ;   in Loop: Header=BB12_130 Depth=2
	v_bfe_u32 v5, v4, 16, 1
	s_delay_alu instid0(VALU_DEP_1)
	v_add3_u32 v31, v4, v5, 0x7fff
                                        ; implicit-def: $vgpr4
; %bb.145:                              ;   in Loop: Header=BB12_130 Depth=2
	s_and_not1_saveexec_b32 s14, s14
; %bb.146:                              ;   in Loop: Header=BB12_130 Depth=2
	v_and_b32_e32 v5, 0xffff, v4
	v_or_b32_e32 v6, 0x10000, v4
	s_delay_alu instid0(VALU_DEP_2) | instskip(NEXT) | instid1(VALU_DEP_2)
	v_cmp_eq_u32_e32 vcc_lo, 0, v5
	v_cndmask_b32_e32 v31, v6, v4, vcc_lo
; %bb.147:                              ;   in Loop: Header=BB12_130 Depth=2
	s_or_b32 exec_lo, exec_lo, s14
	v_lshlrev_b32_e32 v4, 16, v98
	s_mov_b32 s14, exec_lo
                                        ; implicit-def: $vgpr104
	s_delay_alu instid0(VALU_DEP_1) | instskip(NEXT) | instid1(VALU_DEP_1)
	v_mul_f32_e32 v4, v119, v4
	v_and_b32_e32 v5, 0x7f800000, v4
	s_delay_alu instid0(VALU_DEP_1)
	v_cmpx_ne_u32_e32 0x7f800000, v5
	s_xor_b32 s14, exec_lo, s14
; %bb.148:                              ;   in Loop: Header=BB12_130 Depth=2
	v_bfe_u32 v5, v4, 16, 1
	s_delay_alu instid0(VALU_DEP_1)
	v_add3_u32 v104, v4, v5, 0x7fff
                                        ; implicit-def: $vgpr4
; %bb.149:                              ;   in Loop: Header=BB12_130 Depth=2
	s_and_not1_saveexec_b32 s14, s14
; %bb.150:                              ;   in Loop: Header=BB12_130 Depth=2
	v_and_b32_e32 v5, 0xffff, v4
	v_or_b32_e32 v6, 0x10000, v4
	s_delay_alu instid0(VALU_DEP_2) | instskip(NEXT) | instid1(VALU_DEP_2)
	v_cmp_eq_u32_e32 vcc_lo, 0, v5
	v_cndmask_b32_e32 v104, v6, v4, vcc_lo
; %bb.151:                              ;   in Loop: Header=BB12_130 Depth=2
	s_or_b32 exec_lo, exec_lo, s14
	v_and_b32_e32 v4, 0xffff0000, v98
	s_mov_b32 s14, exec_lo
                                        ; implicit-def: $vgpr62
	s_delay_alu instid0(VALU_DEP_1) | instskip(NEXT) | instid1(VALU_DEP_1)
	v_mul_f32_e32 v4, v119, v4
	v_and_b32_e32 v5, 0x7f800000, v4
	s_delay_alu instid0(VALU_DEP_1)
	v_cmpx_ne_u32_e32 0x7f800000, v5
	s_xor_b32 s14, exec_lo, s14
; %bb.152:                              ;   in Loop: Header=BB12_130 Depth=2
	v_bfe_u32 v5, v4, 16, 1
	s_delay_alu instid0(VALU_DEP_1)
	v_add3_u32 v62, v4, v5, 0x7fff
                                        ; implicit-def: $vgpr4
; %bb.153:                              ;   in Loop: Header=BB12_130 Depth=2
	s_and_not1_saveexec_b32 s14, s14
; %bb.154:                              ;   in Loop: Header=BB12_130 Depth=2
	v_and_b32_e32 v5, 0xffff, v4
	v_or_b32_e32 v6, 0x10000, v4
	s_delay_alu instid0(VALU_DEP_2) | instskip(NEXT) | instid1(VALU_DEP_2)
	v_cmp_eq_u32_e32 vcc_lo, 0, v5
	v_cndmask_b32_e32 v62, v6, v4, vcc_lo
; %bb.155:                              ;   in Loop: Header=BB12_130 Depth=2
	s_or_b32 exec_lo, exec_lo, s14
	v_lshlrev_b32_e32 v4, 16, v99
	s_mov_b32 s14, exec_lo
                                        ; implicit-def: $vgpr90
	s_delay_alu instid0(VALU_DEP_1) | instskip(NEXT) | instid1(VALU_DEP_1)
	v_mul_f32_e32 v4, v119, v4
	v_and_b32_e32 v5, 0x7f800000, v4
	s_delay_alu instid0(VALU_DEP_1)
	v_cmpx_ne_u32_e32 0x7f800000, v5
	s_xor_b32 s14, exec_lo, s14
; %bb.156:                              ;   in Loop: Header=BB12_130 Depth=2
	v_bfe_u32 v5, v4, 16, 1
	s_delay_alu instid0(VALU_DEP_1)
	v_add3_u32 v90, v4, v5, 0x7fff
                                        ; implicit-def: $vgpr4
; %bb.157:                              ;   in Loop: Header=BB12_130 Depth=2
	s_and_not1_saveexec_b32 s14, s14
; %bb.158:                              ;   in Loop: Header=BB12_130 Depth=2
	v_and_b32_e32 v5, 0xffff, v4
	v_or_b32_e32 v6, 0x10000, v4
	s_delay_alu instid0(VALU_DEP_2) | instskip(NEXT) | instid1(VALU_DEP_2)
	v_cmp_eq_u32_e32 vcc_lo, 0, v5
	v_cndmask_b32_e32 v90, v6, v4, vcc_lo
; %bb.159:                              ;   in Loop: Header=BB12_130 Depth=2
	s_or_b32 exec_lo, exec_lo, s14
	v_and_b32_e32 v4, 0xffff0000, v99
	s_mov_b32 s14, exec_lo
                                        ; implicit-def: $vgpr118
	s_delay_alu instid0(VALU_DEP_1) | instskip(NEXT) | instid1(VALU_DEP_1)
	v_mul_f32_e32 v4, v119, v4
	v_and_b32_e32 v5, 0x7f800000, v4
	s_delay_alu instid0(VALU_DEP_1)
	v_cmpx_ne_u32_e32 0x7f800000, v5
	s_xor_b32 s14, exec_lo, s14
; %bb.160:                              ;   in Loop: Header=BB12_130 Depth=2
	v_bfe_u32 v5, v4, 16, 1
	s_delay_alu instid0(VALU_DEP_1)
	v_add3_u32 v118, v4, v5, 0x7fff
                                        ; implicit-def: $vgpr4
; %bb.161:                              ;   in Loop: Header=BB12_130 Depth=2
	s_and_not1_saveexec_b32 s14, s14
; %bb.162:                              ;   in Loop: Header=BB12_130 Depth=2
	v_and_b32_e32 v5, 0xffff, v4
	v_or_b32_e32 v6, 0x10000, v4
	s_delay_alu instid0(VALU_DEP_2) | instskip(NEXT) | instid1(VALU_DEP_2)
	v_cmp_eq_u32_e32 vcc_lo, 0, v5
	v_cndmask_b32_e32 v118, v6, v4, vcc_lo
; %bb.163:                              ;   in Loop: Header=BB12_130 Depth=2
	s_or_b32 exec_lo, exec_lo, s14
	v_lshlrev_b32_e32 v4, 16, v68
	s_mov_b32 s14, exec_lo
                                        ; implicit-def: $vgpr126
	s_delay_alu instid0(VALU_DEP_1) | instskip(NEXT) | instid1(VALU_DEP_1)
	v_mul_f32_e32 v4, v119, v4
	v_and_b32_e32 v5, 0x7f800000, v4
	s_delay_alu instid0(VALU_DEP_1)
	v_cmpx_ne_u32_e32 0x7f800000, v5
	s_xor_b32 s14, exec_lo, s14
; %bb.164:                              ;   in Loop: Header=BB12_130 Depth=2
	v_bfe_u32 v5, v4, 16, 1
	s_delay_alu instid0(VALU_DEP_1)
	v_add3_u32 v126, v4, v5, 0x7fff
                                        ; implicit-def: $vgpr4
; %bb.165:                              ;   in Loop: Header=BB12_130 Depth=2
	s_and_not1_saveexec_b32 s14, s14
; %bb.166:                              ;   in Loop: Header=BB12_130 Depth=2
	v_and_b32_e32 v5, 0xffff, v4
	v_or_b32_e32 v6, 0x10000, v4
	s_delay_alu instid0(VALU_DEP_2) | instskip(NEXT) | instid1(VALU_DEP_2)
	v_cmp_eq_u32_e32 vcc_lo, 0, v5
	v_cndmask_b32_e32 v126, v6, v4, vcc_lo
; %bb.167:                              ;   in Loop: Header=BB12_130 Depth=2
	s_or_b32 exec_lo, exec_lo, s14
	v_and_b32_e32 v4, 0xffff0000, v68
	s_mov_b32 s14, exec_lo
                                        ; implicit-def: $vgpr61
	s_delay_alu instid0(VALU_DEP_1) | instskip(NEXT) | instid1(VALU_DEP_1)
	v_mul_f32_e32 v4, v119, v4
	v_and_b32_e32 v5, 0x7f800000, v4
	s_delay_alu instid0(VALU_DEP_1)
	v_cmpx_ne_u32_e32 0x7f800000, v5
	s_xor_b32 s14, exec_lo, s14
; %bb.168:                              ;   in Loop: Header=BB12_130 Depth=2
	v_bfe_u32 v5, v4, 16, 1
	s_delay_alu instid0(VALU_DEP_1)
	v_add3_u32 v61, v4, v5, 0x7fff
                                        ; implicit-def: $vgpr4
; %bb.169:                              ;   in Loop: Header=BB12_130 Depth=2
	s_and_not1_saveexec_b32 s14, s14
; %bb.170:                              ;   in Loop: Header=BB12_130 Depth=2
	v_and_b32_e32 v5, 0xffff, v4
	v_or_b32_e32 v6, 0x10000, v4
	s_delay_alu instid0(VALU_DEP_2) | instskip(NEXT) | instid1(VALU_DEP_2)
	v_cmp_eq_u32_e32 vcc_lo, 0, v5
	v_cndmask_b32_e32 v61, v6, v4, vcc_lo
; %bb.171:                              ;   in Loop: Header=BB12_130 Depth=2
	s_or_b32 exec_lo, exec_lo, s14
	v_lshlrev_b32_e32 v4, 16, v69
	s_mov_b32 s14, exec_lo
                                        ; implicit-def: $vgpr91
	s_delay_alu instid0(VALU_DEP_1) | instskip(NEXT) | instid1(VALU_DEP_1)
	v_mul_f32_e32 v4, v119, v4
	v_and_b32_e32 v5, 0x7f800000, v4
	s_delay_alu instid0(VALU_DEP_1)
	v_cmpx_ne_u32_e32 0x7f800000, v5
	s_xor_b32 s14, exec_lo, s14
; %bb.172:                              ;   in Loop: Header=BB12_130 Depth=2
	v_bfe_u32 v5, v4, 16, 1
	s_delay_alu instid0(VALU_DEP_1)
	v_add3_u32 v91, v4, v5, 0x7fff
                                        ; implicit-def: $vgpr4
; %bb.173:                              ;   in Loop: Header=BB12_130 Depth=2
	s_and_not1_saveexec_b32 s14, s14
; %bb.174:                              ;   in Loop: Header=BB12_130 Depth=2
	v_and_b32_e32 v5, 0xffff, v4
	v_or_b32_e32 v6, 0x10000, v4
	s_delay_alu instid0(VALU_DEP_2) | instskip(NEXT) | instid1(VALU_DEP_2)
	v_cmp_eq_u32_e32 vcc_lo, 0, v5
	v_cndmask_b32_e32 v91, v6, v4, vcc_lo
; %bb.175:                              ;   in Loop: Header=BB12_130 Depth=2
	s_or_b32 exec_lo, exec_lo, s14
	v_and_b32_e32 v4, 0xffff0000, v69
	s_mov_b32 s14, exec_lo
                                        ; implicit-def: $vgpr45
	s_delay_alu instid0(VALU_DEP_1) | instskip(NEXT) | instid1(VALU_DEP_1)
	v_mul_f32_e32 v4, v119, v4
	v_and_b32_e32 v5, 0x7f800000, v4
	s_delay_alu instid0(VALU_DEP_1)
	v_cmpx_ne_u32_e32 0x7f800000, v5
	s_xor_b32 s14, exec_lo, s14
; %bb.176:                              ;   in Loop: Header=BB12_130 Depth=2
	v_bfe_u32 v5, v4, 16, 1
	s_delay_alu instid0(VALU_DEP_1)
	v_add3_u32 v45, v4, v5, 0x7fff
                                        ; implicit-def: $vgpr4
; %bb.177:                              ;   in Loop: Header=BB12_130 Depth=2
	s_and_not1_saveexec_b32 s14, s14
; %bb.178:                              ;   in Loop: Header=BB12_130 Depth=2
	v_and_b32_e32 v5, 0xffff, v4
	v_or_b32_e32 v6, 0x10000, v4
	s_delay_alu instid0(VALU_DEP_2) | instskip(NEXT) | instid1(VALU_DEP_2)
	v_cmp_eq_u32_e32 vcc_lo, 0, v5
	v_cndmask_b32_e32 v45, v6, v4, vcc_lo
; %bb.179:                              ;   in Loop: Header=BB12_130 Depth=2
	s_or_b32 exec_lo, exec_lo, s14
	v_lshlrev_b32_e32 v4, 16, v70
	s_mov_b32 s14, exec_lo
                                        ; implicit-def: $vgpr60
	s_delay_alu instid0(VALU_DEP_1) | instskip(NEXT) | instid1(VALU_DEP_1)
	v_mul_f32_e32 v4, v119, v4
	v_and_b32_e32 v5, 0x7f800000, v4
	s_delay_alu instid0(VALU_DEP_1)
	v_cmpx_ne_u32_e32 0x7f800000, v5
	s_xor_b32 s14, exec_lo, s14
; %bb.180:                              ;   in Loop: Header=BB12_130 Depth=2
	v_bfe_u32 v5, v4, 16, 1
	s_delay_alu instid0(VALU_DEP_1)
	v_add3_u32 v60, v4, v5, 0x7fff
                                        ; implicit-def: $vgpr4
; %bb.181:                              ;   in Loop: Header=BB12_130 Depth=2
	s_and_not1_saveexec_b32 s14, s14
; %bb.182:                              ;   in Loop: Header=BB12_130 Depth=2
	v_and_b32_e32 v5, 0xffff, v4
	v_or_b32_e32 v6, 0x10000, v4
	s_delay_alu instid0(VALU_DEP_2) | instskip(NEXT) | instid1(VALU_DEP_2)
	v_cmp_eq_u32_e32 vcc_lo, 0, v5
	v_cndmask_b32_e32 v60, v6, v4, vcc_lo
; %bb.183:                              ;   in Loop: Header=BB12_130 Depth=2
	s_or_b32 exec_lo, exec_lo, s14
	v_and_b32_e32 v4, 0xffff0000, v70
	s_mov_b32 s14, exec_lo
                                        ; implicit-def: $vgpr43
	s_delay_alu instid0(VALU_DEP_1) | instskip(NEXT) | instid1(VALU_DEP_1)
	v_mul_f32_e32 v4, v119, v4
	v_and_b32_e32 v5, 0x7f800000, v4
	s_delay_alu instid0(VALU_DEP_1)
	v_cmpx_ne_u32_e32 0x7f800000, v5
	s_xor_b32 s14, exec_lo, s14
; %bb.184:                              ;   in Loop: Header=BB12_130 Depth=2
	v_bfe_u32 v5, v4, 16, 1
	s_delay_alu instid0(VALU_DEP_1)
	v_add3_u32 v43, v4, v5, 0x7fff
                                        ; implicit-def: $vgpr4
; %bb.185:                              ;   in Loop: Header=BB12_130 Depth=2
	s_and_not1_saveexec_b32 s14, s14
; %bb.186:                              ;   in Loop: Header=BB12_130 Depth=2
	v_and_b32_e32 v5, 0xffff, v4
	v_or_b32_e32 v6, 0x10000, v4
	s_delay_alu instid0(VALU_DEP_2) | instskip(NEXT) | instid1(VALU_DEP_2)
	v_cmp_eq_u32_e32 vcc_lo, 0, v5
	v_cndmask_b32_e32 v43, v6, v4, vcc_lo
; %bb.187:                              ;   in Loop: Header=BB12_130 Depth=2
	s_or_b32 exec_lo, exec_lo, s14
	v_lshlrev_b32_e32 v4, 16, v71
	s_mov_b32 s14, exec_lo
                                        ; implicit-def: $vgpr44
	s_delay_alu instid0(VALU_DEP_1) | instskip(NEXT) | instid1(VALU_DEP_1)
	v_mul_f32_e32 v4, v119, v4
	v_and_b32_e32 v5, 0x7f800000, v4
	s_delay_alu instid0(VALU_DEP_1)
	v_cmpx_ne_u32_e32 0x7f800000, v5
	s_xor_b32 s14, exec_lo, s14
; %bb.188:                              ;   in Loop: Header=BB12_130 Depth=2
	v_bfe_u32 v5, v4, 16, 1
	s_delay_alu instid0(VALU_DEP_1)
	v_add3_u32 v44, v4, v5, 0x7fff
                                        ; implicit-def: $vgpr4
; %bb.189:                              ;   in Loop: Header=BB12_130 Depth=2
	s_and_not1_saveexec_b32 s14, s14
; %bb.190:                              ;   in Loop: Header=BB12_130 Depth=2
	v_and_b32_e32 v5, 0xffff, v4
	v_or_b32_e32 v6, 0x10000, v4
	s_delay_alu instid0(VALU_DEP_2) | instskip(NEXT) | instid1(VALU_DEP_2)
	v_cmp_eq_u32_e32 vcc_lo, 0, v5
	v_cndmask_b32_e32 v44, v6, v4, vcc_lo
; %bb.191:                              ;   in Loop: Header=BB12_130 Depth=2
	s_or_b32 exec_lo, exec_lo, s14
	v_and_b32_e32 v4, 0xffff0000, v71
	s_mov_b32 s14, exec_lo
                                        ; implicit-def: $vgpr116
	s_delay_alu instid0(VALU_DEP_1) | instskip(NEXT) | instid1(VALU_DEP_1)
	v_mul_f32_e32 v4, v119, v4
	v_and_b32_e32 v5, 0x7f800000, v4
	s_delay_alu instid0(VALU_DEP_1)
	v_cmpx_ne_u32_e32 0x7f800000, v5
	s_xor_b32 s14, exec_lo, s14
; %bb.192:                              ;   in Loop: Header=BB12_130 Depth=2
	v_bfe_u32 v5, v4, 16, 1
	s_delay_alu instid0(VALU_DEP_1)
	v_add3_u32 v116, v4, v5, 0x7fff
                                        ; implicit-def: $vgpr4
; %bb.193:                              ;   in Loop: Header=BB12_130 Depth=2
	s_and_not1_saveexec_b32 s14, s14
; %bb.194:                              ;   in Loop: Header=BB12_130 Depth=2
	v_and_b32_e32 v5, 0xffff, v4
	v_or_b32_e32 v6, 0x10000, v4
	s_delay_alu instid0(VALU_DEP_2) | instskip(NEXT) | instid1(VALU_DEP_2)
	v_cmp_eq_u32_e32 vcc_lo, 0, v5
	v_cndmask_b32_e32 v116, v6, v4, vcc_lo
; %bb.195:                              ;   in Loop: Header=BB12_130 Depth=2
	s_or_b32 exec_lo, exec_lo, s14
	v_lshlrev_b32_e32 v4, 16, v48
	s_mov_b32 s14, exec_lo
                                        ; implicit-def: $vgpr117
	s_delay_alu instid0(VALU_DEP_1) | instskip(NEXT) | instid1(VALU_DEP_1)
	v_mul_f32_e32 v4, v119, v4
	v_and_b32_e32 v5, 0x7f800000, v4
	s_delay_alu instid0(VALU_DEP_1)
	v_cmpx_ne_u32_e32 0x7f800000, v5
	s_xor_b32 s14, exec_lo, s14
; %bb.196:                              ;   in Loop: Header=BB12_130 Depth=2
	v_bfe_u32 v5, v4, 16, 1
	s_delay_alu instid0(VALU_DEP_1)
	v_add3_u32 v117, v4, v5, 0x7fff
                                        ; implicit-def: $vgpr4
; %bb.197:                              ;   in Loop: Header=BB12_130 Depth=2
	s_and_not1_saveexec_b32 s14, s14
; %bb.198:                              ;   in Loop: Header=BB12_130 Depth=2
	v_and_b32_e32 v5, 0xffff, v4
	v_or_b32_e32 v6, 0x10000, v4
	s_delay_alu instid0(VALU_DEP_2) | instskip(NEXT) | instid1(VALU_DEP_2)
	v_cmp_eq_u32_e32 vcc_lo, 0, v5
	v_cndmask_b32_e32 v117, v6, v4, vcc_lo
; %bb.199:                              ;   in Loop: Header=BB12_130 Depth=2
	s_or_b32 exec_lo, exec_lo, s14
	v_and_b32_e32 v4, 0xffff0000, v48
	s_mov_b32 s14, exec_lo
                                        ; implicit-def: $vgpr98
	s_delay_alu instid0(VALU_DEP_1) | instskip(NEXT) | instid1(VALU_DEP_1)
	v_mul_f32_e32 v4, v119, v4
	v_and_b32_e32 v5, 0x7f800000, v4
	s_delay_alu instid0(VALU_DEP_1)
	v_cmpx_ne_u32_e32 0x7f800000, v5
	s_xor_b32 s14, exec_lo, s14
; %bb.200:                              ;   in Loop: Header=BB12_130 Depth=2
	v_bfe_u32 v5, v4, 16, 1
	s_delay_alu instid0(VALU_DEP_1)
	v_add3_u32 v98, v4, v5, 0x7fff
                                        ; implicit-def: $vgpr4
; %bb.201:                              ;   in Loop: Header=BB12_130 Depth=2
	s_and_not1_saveexec_b32 s14, s14
; %bb.202:                              ;   in Loop: Header=BB12_130 Depth=2
	v_and_b32_e32 v5, 0xffff, v4
	v_or_b32_e32 v6, 0x10000, v4
	s_delay_alu instid0(VALU_DEP_2) | instskip(NEXT) | instid1(VALU_DEP_2)
	v_cmp_eq_u32_e32 vcc_lo, 0, v5
	v_cndmask_b32_e32 v98, v6, v4, vcc_lo
; %bb.203:                              ;   in Loop: Header=BB12_130 Depth=2
	s_or_b32 exec_lo, exec_lo, s14
	v_lshlrev_b32_e32 v4, 16, v49
	s_mov_b32 s14, exec_lo
                                        ; implicit-def: $vgpr99
	s_delay_alu instid0(VALU_DEP_1) | instskip(NEXT) | instid1(VALU_DEP_1)
	v_mul_f32_e32 v4, v119, v4
	v_and_b32_e32 v5, 0x7f800000, v4
	s_delay_alu instid0(VALU_DEP_1)
	v_cmpx_ne_u32_e32 0x7f800000, v5
	s_xor_b32 s14, exec_lo, s14
; %bb.204:                              ;   in Loop: Header=BB12_130 Depth=2
	v_bfe_u32 v5, v4, 16, 1
	s_delay_alu instid0(VALU_DEP_1)
	v_add3_u32 v99, v4, v5, 0x7fff
                                        ; implicit-def: $vgpr4
; %bb.205:                              ;   in Loop: Header=BB12_130 Depth=2
	s_and_not1_saveexec_b32 s14, s14
; %bb.206:                              ;   in Loop: Header=BB12_130 Depth=2
	v_and_b32_e32 v5, 0xffff, v4
	v_or_b32_e32 v6, 0x10000, v4
	s_delay_alu instid0(VALU_DEP_2) | instskip(NEXT) | instid1(VALU_DEP_2)
	v_cmp_eq_u32_e32 vcc_lo, 0, v5
	v_cndmask_b32_e32 v99, v6, v4, vcc_lo
; %bb.207:                              ;   in Loop: Header=BB12_130 Depth=2
	s_or_b32 exec_lo, exec_lo, s14
	v_and_b32_e32 v4, 0xffff0000, v49
	s_mov_b32 s14, exec_lo
                                        ; implicit-def: $vgpr96
	s_delay_alu instid0(VALU_DEP_1) | instskip(NEXT) | instid1(VALU_DEP_1)
	v_mul_f32_e32 v4, v119, v4
	v_and_b32_e32 v5, 0x7f800000, v4
	s_delay_alu instid0(VALU_DEP_1)
	v_cmpx_ne_u32_e32 0x7f800000, v5
	s_xor_b32 s14, exec_lo, s14
; %bb.208:                              ;   in Loop: Header=BB12_130 Depth=2
	v_bfe_u32 v5, v4, 16, 1
	s_delay_alu instid0(VALU_DEP_1)
	v_add3_u32 v96, v4, v5, 0x7fff
                                        ; implicit-def: $vgpr4
; %bb.209:                              ;   in Loop: Header=BB12_130 Depth=2
	s_and_not1_saveexec_b32 s14, s14
; %bb.210:                              ;   in Loop: Header=BB12_130 Depth=2
	v_and_b32_e32 v5, 0xffff, v4
	v_or_b32_e32 v6, 0x10000, v4
	s_delay_alu instid0(VALU_DEP_2) | instskip(NEXT) | instid1(VALU_DEP_2)
	v_cmp_eq_u32_e32 vcc_lo, 0, v5
	v_cndmask_b32_e32 v96, v6, v4, vcc_lo
; %bb.211:                              ;   in Loop: Header=BB12_130 Depth=2
	s_or_b32 exec_lo, exec_lo, s14
	v_lshlrev_b32_e32 v4, 16, v50
	s_mov_b32 s14, exec_lo
                                        ; implicit-def: $vgpr97
	s_delay_alu instid0(VALU_DEP_1) | instskip(NEXT) | instid1(VALU_DEP_1)
	v_mul_f32_e32 v4, v119, v4
	v_and_b32_e32 v5, 0x7f800000, v4
	s_delay_alu instid0(VALU_DEP_1)
	v_cmpx_ne_u32_e32 0x7f800000, v5
	s_xor_b32 s14, exec_lo, s14
; %bb.212:                              ;   in Loop: Header=BB12_130 Depth=2
	v_bfe_u32 v5, v4, 16, 1
	s_delay_alu instid0(VALU_DEP_1)
	v_add3_u32 v97, v4, v5, 0x7fff
                                        ; implicit-def: $vgpr4
; %bb.213:                              ;   in Loop: Header=BB12_130 Depth=2
	s_and_not1_saveexec_b32 s14, s14
; %bb.214:                              ;   in Loop: Header=BB12_130 Depth=2
	v_and_b32_e32 v5, 0xffff, v4
	v_or_b32_e32 v6, 0x10000, v4
	s_delay_alu instid0(VALU_DEP_2) | instskip(NEXT) | instid1(VALU_DEP_2)
	v_cmp_eq_u32_e32 vcc_lo, 0, v5
	v_cndmask_b32_e32 v97, v6, v4, vcc_lo
; %bb.215:                              ;   in Loop: Header=BB12_130 Depth=2
	s_or_b32 exec_lo, exec_lo, s14
	v_and_b32_e32 v4, 0xffff0000, v50
	s_mov_b32 s14, exec_lo
                                        ; implicit-def: $vgpr70
	s_delay_alu instid0(VALU_DEP_1) | instskip(NEXT) | instid1(VALU_DEP_1)
	v_mul_f32_e32 v4, v119, v4
	v_and_b32_e32 v5, 0x7f800000, v4
	s_delay_alu instid0(VALU_DEP_1)
	v_cmpx_ne_u32_e32 0x7f800000, v5
	s_xor_b32 s14, exec_lo, s14
; %bb.216:                              ;   in Loop: Header=BB12_130 Depth=2
	v_bfe_u32 v5, v4, 16, 1
	s_delay_alu instid0(VALU_DEP_1)
	v_add3_u32 v70, v4, v5, 0x7fff
                                        ; implicit-def: $vgpr4
; %bb.217:                              ;   in Loop: Header=BB12_130 Depth=2
	s_and_not1_saveexec_b32 s14, s14
; %bb.218:                              ;   in Loop: Header=BB12_130 Depth=2
	v_and_b32_e32 v5, 0xffff, v4
	v_or_b32_e32 v6, 0x10000, v4
	s_delay_alu instid0(VALU_DEP_2) | instskip(NEXT) | instid1(VALU_DEP_2)
	v_cmp_eq_u32_e32 vcc_lo, 0, v5
	v_cndmask_b32_e32 v70, v6, v4, vcc_lo
; %bb.219:                              ;   in Loop: Header=BB12_130 Depth=2
	s_or_b32 exec_lo, exec_lo, s14
	v_lshlrev_b32_e32 v4, 16, v51
	s_mov_b32 s14, exec_lo
                                        ; implicit-def: $vgpr71
	s_delay_alu instid0(VALU_DEP_1) | instskip(NEXT) | instid1(VALU_DEP_1)
	v_mul_f32_e32 v4, v119, v4
	v_and_b32_e32 v5, 0x7f800000, v4
	s_delay_alu instid0(VALU_DEP_1)
	v_cmpx_ne_u32_e32 0x7f800000, v5
	s_xor_b32 s14, exec_lo, s14
; %bb.220:                              ;   in Loop: Header=BB12_130 Depth=2
	v_bfe_u32 v5, v4, 16, 1
	s_delay_alu instid0(VALU_DEP_1)
	v_add3_u32 v71, v4, v5, 0x7fff
                                        ; implicit-def: $vgpr4
; %bb.221:                              ;   in Loop: Header=BB12_130 Depth=2
	s_and_not1_saveexec_b32 s14, s14
; %bb.222:                              ;   in Loop: Header=BB12_130 Depth=2
	v_and_b32_e32 v5, 0xffff, v4
	v_or_b32_e32 v6, 0x10000, v4
	s_delay_alu instid0(VALU_DEP_2) | instskip(NEXT) | instid1(VALU_DEP_2)
	v_cmp_eq_u32_e32 vcc_lo, 0, v5
	v_cndmask_b32_e32 v71, v6, v4, vcc_lo
; %bb.223:                              ;   in Loop: Header=BB12_130 Depth=2
	s_or_b32 exec_lo, exec_lo, s14
	v_and_b32_e32 v4, 0xffff0000, v51
	s_mov_b32 s14, exec_lo
                                        ; implicit-def: $vgpr68
	s_delay_alu instid0(VALU_DEP_1) | instskip(NEXT) | instid1(VALU_DEP_1)
	v_mul_f32_e32 v4, v119, v4
	v_and_b32_e32 v5, 0x7f800000, v4
	s_delay_alu instid0(VALU_DEP_1)
	v_cmpx_ne_u32_e32 0x7f800000, v5
	s_xor_b32 s14, exec_lo, s14
; %bb.224:                              ;   in Loop: Header=BB12_130 Depth=2
	v_bfe_u32 v5, v4, 16, 1
	s_delay_alu instid0(VALU_DEP_1)
	v_add3_u32 v68, v4, v5, 0x7fff
                                        ; implicit-def: $vgpr4
; %bb.225:                              ;   in Loop: Header=BB12_130 Depth=2
	s_and_not1_saveexec_b32 s14, s14
; %bb.226:                              ;   in Loop: Header=BB12_130 Depth=2
	v_and_b32_e32 v5, 0xffff, v4
	v_or_b32_e32 v6, 0x10000, v4
	s_delay_alu instid0(VALU_DEP_2) | instskip(NEXT) | instid1(VALU_DEP_2)
	v_cmp_eq_u32_e32 vcc_lo, 0, v5
	v_cndmask_b32_e32 v68, v6, v4, vcc_lo
; %bb.227:                              ;   in Loop: Header=BB12_130 Depth=2
	s_or_b32 exec_lo, exec_lo, s14
	v_lshlrev_b32_e32 v4, 16, v26
	s_mov_b32 s14, exec_lo
                                        ; implicit-def: $vgpr69
	s_delay_alu instid0(VALU_DEP_1) | instskip(NEXT) | instid1(VALU_DEP_1)
	v_mul_f32_e32 v4, v119, v4
	v_and_b32_e32 v5, 0x7f800000, v4
	s_delay_alu instid0(VALU_DEP_1)
	v_cmpx_ne_u32_e32 0x7f800000, v5
	s_xor_b32 s14, exec_lo, s14
; %bb.228:                              ;   in Loop: Header=BB12_130 Depth=2
	v_bfe_u32 v5, v4, 16, 1
	s_delay_alu instid0(VALU_DEP_1)
	v_add3_u32 v69, v4, v5, 0x7fff
                                        ; implicit-def: $vgpr4
; %bb.229:                              ;   in Loop: Header=BB12_130 Depth=2
	s_and_not1_saveexec_b32 s14, s14
; %bb.230:                              ;   in Loop: Header=BB12_130 Depth=2
	v_and_b32_e32 v5, 0xffff, v4
	v_or_b32_e32 v6, 0x10000, v4
	s_delay_alu instid0(VALU_DEP_2) | instskip(NEXT) | instid1(VALU_DEP_2)
	v_cmp_eq_u32_e32 vcc_lo, 0, v5
	v_cndmask_b32_e32 v69, v6, v4, vcc_lo
; %bb.231:                              ;   in Loop: Header=BB12_130 Depth=2
	s_or_b32 exec_lo, exec_lo, s14
	v_and_b32_e32 v4, 0xffff0000, v26
	s_mov_b32 s14, exec_lo
                                        ; implicit-def: $vgpr50
	s_delay_alu instid0(VALU_DEP_1) | instskip(NEXT) | instid1(VALU_DEP_1)
	v_mul_f32_e32 v4, v119, v4
	v_and_b32_e32 v5, 0x7f800000, v4
	s_delay_alu instid0(VALU_DEP_1)
	v_cmpx_ne_u32_e32 0x7f800000, v5
	s_xor_b32 s14, exec_lo, s14
; %bb.232:                              ;   in Loop: Header=BB12_130 Depth=2
	v_bfe_u32 v5, v4, 16, 1
	s_delay_alu instid0(VALU_DEP_1)
	v_add3_u32 v50, v4, v5, 0x7fff
                                        ; implicit-def: $vgpr4
; %bb.233:                              ;   in Loop: Header=BB12_130 Depth=2
	s_and_not1_saveexec_b32 s14, s14
; %bb.234:                              ;   in Loop: Header=BB12_130 Depth=2
	v_and_b32_e32 v5, 0xffff, v4
	v_or_b32_e32 v6, 0x10000, v4
	s_delay_alu instid0(VALU_DEP_2) | instskip(NEXT) | instid1(VALU_DEP_2)
	v_cmp_eq_u32_e32 vcc_lo, 0, v5
	v_cndmask_b32_e32 v50, v6, v4, vcc_lo
; %bb.235:                              ;   in Loop: Header=BB12_130 Depth=2
	s_or_b32 exec_lo, exec_lo, s14
	v_lshlrev_b32_e32 v4, 16, v27
	s_mov_b32 s14, exec_lo
                                        ; implicit-def: $vgpr51
	s_delay_alu instid0(VALU_DEP_1) | instskip(NEXT) | instid1(VALU_DEP_1)
	v_mul_f32_e32 v4, v119, v4
	v_and_b32_e32 v5, 0x7f800000, v4
	s_delay_alu instid0(VALU_DEP_1)
	v_cmpx_ne_u32_e32 0x7f800000, v5
	s_xor_b32 s14, exec_lo, s14
; %bb.236:                              ;   in Loop: Header=BB12_130 Depth=2
	v_bfe_u32 v5, v4, 16, 1
	s_delay_alu instid0(VALU_DEP_1)
	v_add3_u32 v51, v4, v5, 0x7fff
                                        ; implicit-def: $vgpr4
; %bb.237:                              ;   in Loop: Header=BB12_130 Depth=2
	s_and_not1_saveexec_b32 s14, s14
; %bb.238:                              ;   in Loop: Header=BB12_130 Depth=2
	v_and_b32_e32 v5, 0xffff, v4
	v_or_b32_e32 v6, 0x10000, v4
	s_delay_alu instid0(VALU_DEP_2) | instskip(NEXT) | instid1(VALU_DEP_2)
	v_cmp_eq_u32_e32 vcc_lo, 0, v5
	v_cndmask_b32_e32 v51, v6, v4, vcc_lo
; %bb.239:                              ;   in Loop: Header=BB12_130 Depth=2
	s_or_b32 exec_lo, exec_lo, s14
	v_and_b32_e32 v4, 0xffff0000, v27
	s_mov_b32 s14, exec_lo
                                        ; implicit-def: $vgpr48
	s_delay_alu instid0(VALU_DEP_1) | instskip(NEXT) | instid1(VALU_DEP_1)
	v_mul_f32_e32 v4, v119, v4
	v_and_b32_e32 v5, 0x7f800000, v4
	s_delay_alu instid0(VALU_DEP_1)
	v_cmpx_ne_u32_e32 0x7f800000, v5
	s_xor_b32 s14, exec_lo, s14
; %bb.240:                              ;   in Loop: Header=BB12_130 Depth=2
	v_bfe_u32 v5, v4, 16, 1
	s_delay_alu instid0(VALU_DEP_1)
	v_add3_u32 v48, v4, v5, 0x7fff
                                        ; implicit-def: $vgpr4
; %bb.241:                              ;   in Loop: Header=BB12_130 Depth=2
	s_and_not1_saveexec_b32 s14, s14
; %bb.242:                              ;   in Loop: Header=BB12_130 Depth=2
	v_and_b32_e32 v5, 0xffff, v4
	v_or_b32_e32 v6, 0x10000, v4
	s_delay_alu instid0(VALU_DEP_2) | instskip(NEXT) | instid1(VALU_DEP_2)
	v_cmp_eq_u32_e32 vcc_lo, 0, v5
	v_cndmask_b32_e32 v48, v6, v4, vcc_lo
; %bb.243:                              ;   in Loop: Header=BB12_130 Depth=2
	s_or_b32 exec_lo, exec_lo, s14
	v_lshlrev_b32_e32 v4, 16, v28
	s_mov_b32 s14, exec_lo
                                        ; implicit-def: $vgpr49
	s_delay_alu instid0(VALU_DEP_1) | instskip(NEXT) | instid1(VALU_DEP_1)
	v_mul_f32_e32 v4, v119, v4
	v_and_b32_e32 v5, 0x7f800000, v4
	s_delay_alu instid0(VALU_DEP_1)
	v_cmpx_ne_u32_e32 0x7f800000, v5
	s_xor_b32 s14, exec_lo, s14
; %bb.244:                              ;   in Loop: Header=BB12_130 Depth=2
	v_bfe_u32 v5, v4, 16, 1
	s_delay_alu instid0(VALU_DEP_1)
	v_add3_u32 v49, v4, v5, 0x7fff
                                        ; implicit-def: $vgpr4
; %bb.245:                              ;   in Loop: Header=BB12_130 Depth=2
	s_and_not1_saveexec_b32 s14, s14
; %bb.246:                              ;   in Loop: Header=BB12_130 Depth=2
	v_and_b32_e32 v5, 0xffff, v4
	v_or_b32_e32 v6, 0x10000, v4
	s_delay_alu instid0(VALU_DEP_2) | instskip(NEXT) | instid1(VALU_DEP_2)
	v_cmp_eq_u32_e32 vcc_lo, 0, v5
	v_cndmask_b32_e32 v49, v6, v4, vcc_lo
; %bb.247:                              ;   in Loop: Header=BB12_130 Depth=2
	s_or_b32 exec_lo, exec_lo, s14
	v_and_b32_e32 v4, 0xffff0000, v28
	s_mov_b32 s14, exec_lo
                                        ; implicit-def: $vgpr27
	s_delay_alu instid0(VALU_DEP_1) | instskip(NEXT) | instid1(VALU_DEP_1)
	v_mul_f32_e32 v4, v119, v4
	v_and_b32_e32 v5, 0x7f800000, v4
	s_delay_alu instid0(VALU_DEP_1)
	v_cmpx_ne_u32_e32 0x7f800000, v5
	s_xor_b32 s14, exec_lo, s14
; %bb.248:                              ;   in Loop: Header=BB12_130 Depth=2
	v_bfe_u32 v5, v4, 16, 1
	s_delay_alu instid0(VALU_DEP_1)
	v_add3_u32 v27, v4, v5, 0x7fff
                                        ; implicit-def: $vgpr4
; %bb.249:                              ;   in Loop: Header=BB12_130 Depth=2
	s_and_not1_saveexec_b32 s14, s14
; %bb.250:                              ;   in Loop: Header=BB12_130 Depth=2
	v_and_b32_e32 v5, 0xffff, v4
	v_or_b32_e32 v6, 0x10000, v4
	s_delay_alu instid0(VALU_DEP_2) | instskip(NEXT) | instid1(VALU_DEP_2)
	v_cmp_eq_u32_e32 vcc_lo, 0, v5
	v_cndmask_b32_e32 v27, v6, v4, vcc_lo
; %bb.251:                              ;   in Loop: Header=BB12_130 Depth=2
	s_or_b32 exec_lo, exec_lo, s14
	v_lshlrev_b32_e32 v4, 16, v29
	s_mov_b32 s14, exec_lo
                                        ; implicit-def: $vgpr28
	s_delay_alu instid0(VALU_DEP_1) | instskip(NEXT) | instid1(VALU_DEP_1)
	v_mul_f32_e32 v4, v119, v4
	v_and_b32_e32 v5, 0x7f800000, v4
	s_delay_alu instid0(VALU_DEP_1)
	v_cmpx_ne_u32_e32 0x7f800000, v5
	s_xor_b32 s14, exec_lo, s14
; %bb.252:                              ;   in Loop: Header=BB12_130 Depth=2
	v_bfe_u32 v5, v4, 16, 1
	s_delay_alu instid0(VALU_DEP_1)
	v_add3_u32 v28, v4, v5, 0x7fff
                                        ; implicit-def: $vgpr4
; %bb.253:                              ;   in Loop: Header=BB12_130 Depth=2
	s_and_not1_saveexec_b32 s14, s14
; %bb.254:                              ;   in Loop: Header=BB12_130 Depth=2
	v_and_b32_e32 v5, 0xffff, v4
	v_or_b32_e32 v6, 0x10000, v4
	s_delay_alu instid0(VALU_DEP_2) | instskip(NEXT) | instid1(VALU_DEP_2)
	v_cmp_eq_u32_e32 vcc_lo, 0, v5
	v_cndmask_b32_e32 v28, v6, v4, vcc_lo
; %bb.255:                              ;   in Loop: Header=BB12_130 Depth=2
	s_or_b32 exec_lo, exec_lo, s14
	v_and_b32_e32 v4, 0xffff0000, v29
	s_mov_b32 s14, exec_lo
                                        ; implicit-def: $vgpr26
	s_delay_alu instid0(VALU_DEP_1) | instskip(NEXT) | instid1(VALU_DEP_1)
	v_mul_f32_e32 v4, v119, v4
	v_and_b32_e32 v5, 0x7f800000, v4
	s_delay_alu instid0(VALU_DEP_1)
	v_cmpx_ne_u32_e32 0x7f800000, v5
	s_xor_b32 s14, exec_lo, s14
; %bb.256:                              ;   in Loop: Header=BB12_130 Depth=2
	v_bfe_u32 v5, v4, 16, 1
	s_delay_alu instid0(VALU_DEP_1)
	v_add3_u32 v26, v4, v5, 0x7fff
                                        ; implicit-def: $vgpr4
; %bb.257:                              ;   in Loop: Header=BB12_130 Depth=2
	s_and_not1_saveexec_b32 s14, s14
; %bb.258:                              ;   in Loop: Header=BB12_130 Depth=2
	v_and_b32_e32 v5, 0xffff, v4
	v_or_b32_e32 v6, 0x10000, v4
	s_delay_alu instid0(VALU_DEP_2) | instskip(NEXT) | instid1(VALU_DEP_2)
	v_cmp_eq_u32_e32 vcc_lo, 0, v5
	v_cndmask_b32_e32 v26, v6, v4, vcc_lo
; %bb.259:                              ;   in Loop: Header=BB12_130 Depth=2
	s_or_b32 exec_lo, exec_lo, s14
	v_and_b32_e32 v0, 0xffff0000, v0
	v_lshlrev_b32_e32 v4, 16, v22
	s_delay_alu instid0(VALU_DEP_1) | instskip(NEXT) | instid1(VALU_DEP_1)
	v_add_f32_e32 v4, v4, v0
	v_and_b32_e32 v0, 0x7f800000, v4
	s_delay_alu instid0(VALU_DEP_1) | instskip(SKIP_1) | instid1(SALU_CYCLE_1)
	v_cmp_ne_u32_e32 vcc_lo, 0x7f800000, v0
                                        ; implicit-def: $vgpr0
	s_and_saveexec_b32 s14, vcc_lo
	s_xor_b32 s14, exec_lo, s14
; %bb.260:                              ;   in Loop: Header=BB12_130 Depth=2
	v_bfe_u32 v0, v4, 16, 1
	s_delay_alu instid0(VALU_DEP_1)
	v_add3_u32 v0, v4, v0, 0x7fff
                                        ; implicit-def: $vgpr4
; %bb.261:                              ;   in Loop: Header=BB12_130 Depth=2
	s_and_not1_saveexec_b32 s14, s14
; %bb.262:                              ;   in Loop: Header=BB12_130 Depth=2
	v_and_b32_e32 v0, 0xffff, v4
	v_or_b32_e32 v5, 0x10000, v4
	s_delay_alu instid0(VALU_DEP_2) | instskip(NEXT) | instid1(VALU_DEP_2)
	v_cmp_eq_u32_e32 vcc_lo, 0, v0
	v_cndmask_b32_e32 v0, v5, v4, vcc_lo
; %bb.263:                              ;   in Loop: Header=BB12_130 Depth=2
	s_or_b32 exec_lo, exec_lo, s14
	v_and_b32_e32 v4, 0xffff0000, v22
	v_and_b32_e32 v1, 0xffff0000, v1
	s_delay_alu instid0(VALU_DEP_1) | instskip(NEXT) | instid1(VALU_DEP_1)
	v_add_f32_e32 v4, v4, v1
	v_and_b32_e32 v1, 0x7f800000, v4
	s_delay_alu instid0(VALU_DEP_1) | instskip(SKIP_1) | instid1(SALU_CYCLE_1)
	v_cmp_ne_u32_e32 vcc_lo, 0x7f800000, v1
                                        ; implicit-def: $vgpr1
	s_and_saveexec_b32 s14, vcc_lo
	s_xor_b32 s14, exec_lo, s14
; %bb.264:                              ;   in Loop: Header=BB12_130 Depth=2
	v_bfe_u32 v1, v4, 16, 1
	s_delay_alu instid0(VALU_DEP_1)
	v_add3_u32 v1, v4, v1, 0x7fff
                                        ; implicit-def: $vgpr4
; %bb.265:                              ;   in Loop: Header=BB12_130 Depth=2
	s_and_not1_saveexec_b32 s14, s14
; %bb.266:                              ;   in Loop: Header=BB12_130 Depth=2
	v_and_b32_e32 v1, 0xffff, v4
	v_or_b32_e32 v5, 0x10000, v4
	s_delay_alu instid0(VALU_DEP_2) | instskip(NEXT) | instid1(VALU_DEP_2)
	v_cmp_eq_u32_e32 vcc_lo, 0, v1
	v_cndmask_b32_e32 v1, v5, v4, vcc_lo
; %bb.267:                              ;   in Loop: Header=BB12_130 Depth=2
	s_or_b32 exec_lo, exec_lo, s14
	v_and_b32_e32 v4, 0xffff0000, v105
	v_lshlrev_b32_e32 v5, 16, v23
	s_mov_b32 s14, exec_lo
                                        ; implicit-def: $vgpr29
	s_delay_alu instid0(VALU_DEP_1) | instskip(NEXT) | instid1(VALU_DEP_1)
	v_add_f32_e32 v4, v5, v4
	v_and_b32_e32 v5, 0x7f800000, v4
	s_delay_alu instid0(VALU_DEP_1)
	v_cmpx_ne_u32_e32 0x7f800000, v5
	s_xor_b32 s14, exec_lo, s14
; %bb.268:                              ;   in Loop: Header=BB12_130 Depth=2
	v_bfe_u32 v5, v4, 16, 1
	s_delay_alu instid0(VALU_DEP_1)
	v_add3_u32 v29, v4, v5, 0x7fff
                                        ; implicit-def: $vgpr4
; %bb.269:                              ;   in Loop: Header=BB12_130 Depth=2
	s_and_not1_saveexec_b32 s14, s14
; %bb.270:                              ;   in Loop: Header=BB12_130 Depth=2
	v_and_b32_e32 v5, 0xffff, v4
	v_or_b32_e32 v6, 0x10000, v4
	s_delay_alu instid0(VALU_DEP_2) | instskip(NEXT) | instid1(VALU_DEP_2)
	v_cmp_eq_u32_e32 vcc_lo, 0, v5
	v_cndmask_b32_e32 v29, v6, v4, vcc_lo
; %bb.271:                              ;   in Loop: Header=BB12_130 Depth=2
	s_or_b32 exec_lo, exec_lo, s14
	v_and_b32_e32 v4, 0xffff0000, v23
	v_and_b32_e32 v5, 0xffff0000, v31
	s_mov_b32 s14, exec_lo
                                        ; implicit-def: $vgpr31
	s_delay_alu instid0(VALU_DEP_1) | instskip(NEXT) | instid1(VALU_DEP_1)
	v_add_f32_e32 v4, v4, v5
	v_and_b32_e32 v5, 0x7f800000, v4
	s_delay_alu instid0(VALU_DEP_1)
	v_cmpx_ne_u32_e32 0x7f800000, v5
	s_xor_b32 s14, exec_lo, s14
; %bb.272:                              ;   in Loop: Header=BB12_130 Depth=2
	v_bfe_u32 v5, v4, 16, 1
	s_delay_alu instid0(VALU_DEP_1)
	v_add3_u32 v31, v4, v5, 0x7fff
                                        ; implicit-def: $vgpr4
; %bb.273:                              ;   in Loop: Header=BB12_130 Depth=2
	s_and_not1_saveexec_b32 s14, s14
; %bb.274:                              ;   in Loop: Header=BB12_130 Depth=2
	v_and_b32_e32 v5, 0xffff, v4
	v_or_b32_e32 v6, 0x10000, v4
	s_delay_alu instid0(VALU_DEP_2) | instskip(NEXT) | instid1(VALU_DEP_2)
	v_cmp_eq_u32_e32 vcc_lo, 0, v5
	v_cndmask_b32_e32 v31, v6, v4, vcc_lo
; %bb.275:                              ;   in Loop: Header=BB12_130 Depth=2
	s_or_b32 exec_lo, exec_lo, s14
	v_and_b32_e32 v4, 0xffff0000, v104
	v_lshlrev_b32_e32 v5, 16, v24
	s_mov_b32 s14, exec_lo
                                        ; implicit-def: $vgpr104
	s_delay_alu instid0(VALU_DEP_1) | instskip(NEXT) | instid1(VALU_DEP_1)
	v_add_f32_e32 v4, v5, v4
	v_and_b32_e32 v5, 0x7f800000, v4
	s_delay_alu instid0(VALU_DEP_1)
	v_cmpx_ne_u32_e32 0x7f800000, v5
	s_xor_b32 s14, exec_lo, s14
; %bb.276:                              ;   in Loop: Header=BB12_130 Depth=2
	v_bfe_u32 v5, v4, 16, 1
	s_delay_alu instid0(VALU_DEP_1)
	v_add3_u32 v104, v4, v5, 0x7fff
                                        ; implicit-def: $vgpr4
; %bb.277:                              ;   in Loop: Header=BB12_130 Depth=2
	s_and_not1_saveexec_b32 s14, s14
; %bb.278:                              ;   in Loop: Header=BB12_130 Depth=2
	v_and_b32_e32 v5, 0xffff, v4
	v_or_b32_e32 v6, 0x10000, v4
	s_delay_alu instid0(VALU_DEP_2) | instskip(NEXT) | instid1(VALU_DEP_2)
	v_cmp_eq_u32_e32 vcc_lo, 0, v5
	v_cndmask_b32_e32 v104, v6, v4, vcc_lo
; %bb.279:                              ;   in Loop: Header=BB12_130 Depth=2
	s_or_b32 exec_lo, exec_lo, s14
	v_and_b32_e32 v4, 0xffff0000, v24
	v_and_b32_e32 v5, 0xffff0000, v62
	s_mov_b32 s14, exec_lo
                                        ; implicit-def: $vgpr62
	s_delay_alu instid0(VALU_DEP_1) | instskip(NEXT) | instid1(VALU_DEP_1)
	v_add_f32_e32 v4, v4, v5
	v_and_b32_e32 v5, 0x7f800000, v4
	s_delay_alu instid0(VALU_DEP_1)
	v_cmpx_ne_u32_e32 0x7f800000, v5
	s_xor_b32 s14, exec_lo, s14
; %bb.280:                              ;   in Loop: Header=BB12_130 Depth=2
	v_bfe_u32 v5, v4, 16, 1
	s_delay_alu instid0(VALU_DEP_1)
	v_add3_u32 v62, v4, v5, 0x7fff
                                        ; implicit-def: $vgpr4
; %bb.281:                              ;   in Loop: Header=BB12_130 Depth=2
	s_and_not1_saveexec_b32 s14, s14
; %bb.282:                              ;   in Loop: Header=BB12_130 Depth=2
	v_and_b32_e32 v5, 0xffff, v4
	v_or_b32_e32 v6, 0x10000, v4
	s_delay_alu instid0(VALU_DEP_2) | instskip(NEXT) | instid1(VALU_DEP_2)
	v_cmp_eq_u32_e32 vcc_lo, 0, v5
	v_cndmask_b32_e32 v62, v6, v4, vcc_lo
; %bb.283:                              ;   in Loop: Header=BB12_130 Depth=2
	s_or_b32 exec_lo, exec_lo, s14
	v_and_b32_e32 v4, 0xffff0000, v90
	v_lshlrev_b32_e32 v5, 16, v25
	s_mov_b32 s14, exec_lo
                                        ; implicit-def: $vgpr90
	s_delay_alu instid0(VALU_DEP_1) | instskip(NEXT) | instid1(VALU_DEP_1)
	v_add_f32_e32 v4, v5, v4
	v_and_b32_e32 v5, 0x7f800000, v4
	s_delay_alu instid0(VALU_DEP_1)
	v_cmpx_ne_u32_e32 0x7f800000, v5
	s_xor_b32 s14, exec_lo, s14
; %bb.284:                              ;   in Loop: Header=BB12_130 Depth=2
	v_bfe_u32 v5, v4, 16, 1
	s_delay_alu instid0(VALU_DEP_1)
	v_add3_u32 v90, v4, v5, 0x7fff
                                        ; implicit-def: $vgpr4
; %bb.285:                              ;   in Loop: Header=BB12_130 Depth=2
	s_and_not1_saveexec_b32 s14, s14
; %bb.286:                              ;   in Loop: Header=BB12_130 Depth=2
	v_and_b32_e32 v5, 0xffff, v4
	v_or_b32_e32 v6, 0x10000, v4
	s_delay_alu instid0(VALU_DEP_2) | instskip(NEXT) | instid1(VALU_DEP_2)
	v_cmp_eq_u32_e32 vcc_lo, 0, v5
	v_cndmask_b32_e32 v90, v6, v4, vcc_lo
; %bb.287:                              ;   in Loop: Header=BB12_130 Depth=2
	s_or_b32 exec_lo, exec_lo, s14
	v_and_b32_e32 v4, 0xffff0000, v25
	v_and_b32_e32 v5, 0xffff0000, v118
	s_mov_b32 s14, exec_lo
                                        ; implicit-def: $vgpr118
	s_delay_alu instid0(VALU_DEP_1) | instskip(NEXT) | instid1(VALU_DEP_1)
	v_add_f32_e32 v4, v4, v5
	v_and_b32_e32 v5, 0x7f800000, v4
	s_delay_alu instid0(VALU_DEP_1)
	v_cmpx_ne_u32_e32 0x7f800000, v5
	s_xor_b32 s14, exec_lo, s14
; %bb.288:                              ;   in Loop: Header=BB12_130 Depth=2
	v_bfe_u32 v5, v4, 16, 1
	s_delay_alu instid0(VALU_DEP_1)
	v_add3_u32 v118, v4, v5, 0x7fff
                                        ; implicit-def: $vgpr4
; %bb.289:                              ;   in Loop: Header=BB12_130 Depth=2
	s_and_not1_saveexec_b32 s14, s14
; %bb.290:                              ;   in Loop: Header=BB12_130 Depth=2
	v_and_b32_e32 v5, 0xffff, v4
	v_or_b32_e32 v6, 0x10000, v4
	s_delay_alu instid0(VALU_DEP_2) | instskip(NEXT) | instid1(VALU_DEP_2)
	v_cmp_eq_u32_e32 vcc_lo, 0, v5
	v_cndmask_b32_e32 v118, v6, v4, vcc_lo
; %bb.291:                              ;   in Loop: Header=BB12_130 Depth=2
	s_or_b32 exec_lo, exec_lo, s14
	v_and_b32_e32 v4, 0xffff0000, v126
	v_lshlrev_b32_e32 v5, 16, v18
	s_mov_b32 s14, exec_lo
                                        ; implicit-def: $vgpr105
	s_delay_alu instid0(VALU_DEP_1) | instskip(NEXT) | instid1(VALU_DEP_1)
	v_add_f32_e32 v4, v5, v4
	v_and_b32_e32 v5, 0x7f800000, v4
	s_delay_alu instid0(VALU_DEP_1)
	v_cmpx_ne_u32_e32 0x7f800000, v5
	s_xor_b32 s14, exec_lo, s14
; %bb.292:                              ;   in Loop: Header=BB12_130 Depth=2
	v_bfe_u32 v5, v4, 16, 1
	s_delay_alu instid0(VALU_DEP_1)
	v_add3_u32 v105, v4, v5, 0x7fff
                                        ; implicit-def: $vgpr4
; %bb.293:                              ;   in Loop: Header=BB12_130 Depth=2
	s_and_not1_saveexec_b32 s14, s14
; %bb.294:                              ;   in Loop: Header=BB12_130 Depth=2
	v_and_b32_e32 v5, 0xffff, v4
	v_or_b32_e32 v6, 0x10000, v4
	s_delay_alu instid0(VALU_DEP_2) | instskip(NEXT) | instid1(VALU_DEP_2)
	v_cmp_eq_u32_e32 vcc_lo, 0, v5
	v_cndmask_b32_e32 v105, v6, v4, vcc_lo
; %bb.295:                              ;   in Loop: Header=BB12_130 Depth=2
	s_or_b32 exec_lo, exec_lo, s14
	v_and_b32_e32 v4, 0xffff0000, v18
	v_and_b32_e32 v5, 0xffff0000, v61
	s_mov_b32 s14, exec_lo
                                        ; implicit-def: $vgpr61
	s_delay_alu instid0(VALU_DEP_1) | instskip(NEXT) | instid1(VALU_DEP_1)
	v_add_f32_e32 v4, v4, v5
	v_and_b32_e32 v5, 0x7f800000, v4
	s_delay_alu instid0(VALU_DEP_1)
	v_cmpx_ne_u32_e32 0x7f800000, v5
	s_xor_b32 s14, exec_lo, s14
; %bb.296:                              ;   in Loop: Header=BB12_130 Depth=2
	v_bfe_u32 v5, v4, 16, 1
	s_delay_alu instid0(VALU_DEP_1)
	v_add3_u32 v61, v4, v5, 0x7fff
                                        ; implicit-def: $vgpr4
; %bb.297:                              ;   in Loop: Header=BB12_130 Depth=2
	s_and_not1_saveexec_b32 s14, s14
; %bb.298:                              ;   in Loop: Header=BB12_130 Depth=2
	v_and_b32_e32 v5, 0xffff, v4
	v_or_b32_e32 v6, 0x10000, v4
	s_delay_alu instid0(VALU_DEP_2) | instskip(NEXT) | instid1(VALU_DEP_2)
	v_cmp_eq_u32_e32 vcc_lo, 0, v5
	v_cndmask_b32_e32 v61, v6, v4, vcc_lo
; %bb.299:                              ;   in Loop: Header=BB12_130 Depth=2
	s_or_b32 exec_lo, exec_lo, s14
	v_and_b32_e32 v4, 0xffff0000, v91
	v_lshlrev_b32_e32 v5, 16, v19
	s_mov_b32 s14, exec_lo
                                        ; implicit-def: $vgpr91
	s_delay_alu instid0(VALU_DEP_1) | instskip(NEXT) | instid1(VALU_DEP_1)
	v_add_f32_e32 v4, v5, v4
	v_and_b32_e32 v5, 0x7f800000, v4
	s_delay_alu instid0(VALU_DEP_1)
	v_cmpx_ne_u32_e32 0x7f800000, v5
	s_xor_b32 s14, exec_lo, s14
; %bb.300:                              ;   in Loop: Header=BB12_130 Depth=2
	v_bfe_u32 v5, v4, 16, 1
	s_delay_alu instid0(VALU_DEP_1)
	v_add3_u32 v91, v4, v5, 0x7fff
                                        ; implicit-def: $vgpr4
; %bb.301:                              ;   in Loop: Header=BB12_130 Depth=2
	s_and_not1_saveexec_b32 s14, s14
; %bb.302:                              ;   in Loop: Header=BB12_130 Depth=2
	v_and_b32_e32 v5, 0xffff, v4
	v_or_b32_e32 v6, 0x10000, v4
	s_delay_alu instid0(VALU_DEP_2) | instskip(NEXT) | instid1(VALU_DEP_2)
	v_cmp_eq_u32_e32 vcc_lo, 0, v5
	v_cndmask_b32_e32 v91, v6, v4, vcc_lo
; %bb.303:                              ;   in Loop: Header=BB12_130 Depth=2
	s_or_b32 exec_lo, exec_lo, s14
	v_and_b32_e32 v4, 0xffff0000, v19
	v_and_b32_e32 v5, 0xffff0000, v45
	s_mov_b32 s14, exec_lo
                                        ; implicit-def: $vgpr45
	s_delay_alu instid0(VALU_DEP_1) | instskip(NEXT) | instid1(VALU_DEP_1)
	v_add_f32_e32 v4, v4, v5
	v_and_b32_e32 v5, 0x7f800000, v4
	s_delay_alu instid0(VALU_DEP_1)
	v_cmpx_ne_u32_e32 0x7f800000, v5
	s_xor_b32 s14, exec_lo, s14
; %bb.304:                              ;   in Loop: Header=BB12_130 Depth=2
	v_bfe_u32 v5, v4, 16, 1
	s_delay_alu instid0(VALU_DEP_1)
	v_add3_u32 v45, v4, v5, 0x7fff
                                        ; implicit-def: $vgpr4
; %bb.305:                              ;   in Loop: Header=BB12_130 Depth=2
	s_and_not1_saveexec_b32 s14, s14
; %bb.306:                              ;   in Loop: Header=BB12_130 Depth=2
	v_and_b32_e32 v5, 0xffff, v4
	v_or_b32_e32 v6, 0x10000, v4
	s_delay_alu instid0(VALU_DEP_2) | instskip(NEXT) | instid1(VALU_DEP_2)
	v_cmp_eq_u32_e32 vcc_lo, 0, v5
	v_cndmask_b32_e32 v45, v6, v4, vcc_lo
; %bb.307:                              ;   in Loop: Header=BB12_130 Depth=2
	s_or_b32 exec_lo, exec_lo, s14
	v_and_b32_e32 v4, 0xffff0000, v60
	v_lshlrev_b32_e32 v5, 16, v20
	s_mov_b32 s14, exec_lo
                                        ; implicit-def: $vgpr58
	s_delay_alu instid0(VALU_DEP_1) | instskip(NEXT) | instid1(VALU_DEP_1)
	v_add_f32_e32 v4, v5, v4
	v_and_b32_e32 v5, 0x7f800000, v4
	s_delay_alu instid0(VALU_DEP_1)
	v_cmpx_ne_u32_e32 0x7f800000, v5
	s_xor_b32 s14, exec_lo, s14
; %bb.308:                              ;   in Loop: Header=BB12_130 Depth=2
	v_bfe_u32 v5, v4, 16, 1
	s_delay_alu instid0(VALU_DEP_1)
	v_add3_u32 v58, v4, v5, 0x7fff
                                        ; implicit-def: $vgpr4
; %bb.309:                              ;   in Loop: Header=BB12_130 Depth=2
	s_and_not1_saveexec_b32 s14, s14
; %bb.310:                              ;   in Loop: Header=BB12_130 Depth=2
	v_and_b32_e32 v5, 0xffff, v4
	v_or_b32_e32 v6, 0x10000, v4
	s_delay_alu instid0(VALU_DEP_2) | instskip(NEXT) | instid1(VALU_DEP_2)
	v_cmp_eq_u32_e32 vcc_lo, 0, v5
	v_cndmask_b32_e32 v58, v6, v4, vcc_lo
; %bb.311:                              ;   in Loop: Header=BB12_130 Depth=2
	s_or_b32 exec_lo, exec_lo, s14
	v_and_b32_e32 v4, 0xffff0000, v20
	v_and_b32_e32 v5, 0xffff0000, v43
	s_mov_b32 s14, exec_lo
                                        ; implicit-def: $vgpr43
	s_delay_alu instid0(VALU_DEP_1) | instskip(NEXT) | instid1(VALU_DEP_1)
	v_add_f32_e32 v4, v4, v5
	v_and_b32_e32 v5, 0x7f800000, v4
	s_delay_alu instid0(VALU_DEP_1)
	v_cmpx_ne_u32_e32 0x7f800000, v5
	s_xor_b32 s14, exec_lo, s14
; %bb.312:                              ;   in Loop: Header=BB12_130 Depth=2
	v_bfe_u32 v5, v4, 16, 1
	s_delay_alu instid0(VALU_DEP_1)
	v_add3_u32 v43, v4, v5, 0x7fff
                                        ; implicit-def: $vgpr4
; %bb.313:                              ;   in Loop: Header=BB12_130 Depth=2
	s_and_not1_saveexec_b32 s14, s14
; %bb.314:                              ;   in Loop: Header=BB12_130 Depth=2
	v_and_b32_e32 v5, 0xffff, v4
	v_or_b32_e32 v6, 0x10000, v4
	s_delay_alu instid0(VALU_DEP_2) | instskip(NEXT) | instid1(VALU_DEP_2)
	v_cmp_eq_u32_e32 vcc_lo, 0, v5
	v_cndmask_b32_e32 v43, v6, v4, vcc_lo
; %bb.315:                              ;   in Loop: Header=BB12_130 Depth=2
	s_or_b32 exec_lo, exec_lo, s14
	v_and_b32_e32 v4, 0xffff0000, v44
	v_lshlrev_b32_e32 v5, 16, v21
	s_mov_b32 s14, exec_lo
                                        ; implicit-def: $vgpr44
	s_delay_alu instid0(VALU_DEP_1) | instskip(NEXT) | instid1(VALU_DEP_1)
	v_add_f32_e32 v4, v5, v4
	v_and_b32_e32 v5, 0x7f800000, v4
	s_delay_alu instid0(VALU_DEP_1)
	v_cmpx_ne_u32_e32 0x7f800000, v5
	s_xor_b32 s14, exec_lo, s14
; %bb.316:                              ;   in Loop: Header=BB12_130 Depth=2
	v_bfe_u32 v5, v4, 16, 1
	s_delay_alu instid0(VALU_DEP_1)
	v_add3_u32 v44, v4, v5, 0x7fff
                                        ; implicit-def: $vgpr4
; %bb.317:                              ;   in Loop: Header=BB12_130 Depth=2
	s_and_not1_saveexec_b32 s14, s14
; %bb.318:                              ;   in Loop: Header=BB12_130 Depth=2
	v_and_b32_e32 v5, 0xffff, v4
	v_or_b32_e32 v6, 0x10000, v4
	s_delay_alu instid0(VALU_DEP_2) | instskip(NEXT) | instid1(VALU_DEP_2)
	v_cmp_eq_u32_e32 vcc_lo, 0, v5
	v_cndmask_b32_e32 v44, v6, v4, vcc_lo
; %bb.319:                              ;   in Loop: Header=BB12_130 Depth=2
	s_or_b32 exec_lo, exec_lo, s14
	v_and_b32_e32 v4, 0xffff0000, v21
	v_and_b32_e32 v5, 0xffff0000, v116
	s_delay_alu instid0(VALU_DEP_1) | instskip(NEXT) | instid1(VALU_DEP_1)
	v_add_f32_e32 v5, v4, v5
	v_and_b32_e32 v4, 0x7f800000, v5
	s_delay_alu instid0(VALU_DEP_1) | instskip(SKIP_1) | instid1(SALU_CYCLE_1)
	v_cmp_ne_u32_e32 vcc_lo, 0x7f800000, v4
                                        ; implicit-def: $vgpr4
	s_and_saveexec_b32 s14, vcc_lo
	s_xor_b32 s14, exec_lo, s14
; %bb.320:                              ;   in Loop: Header=BB12_130 Depth=2
	v_bfe_u32 v4, v5, 16, 1
	s_delay_alu instid0(VALU_DEP_1)
	v_add3_u32 v4, v5, v4, 0x7fff
                                        ; implicit-def: $vgpr5
; %bb.321:                              ;   in Loop: Header=BB12_130 Depth=2
	s_and_not1_saveexec_b32 s14, s14
; %bb.322:                              ;   in Loop: Header=BB12_130 Depth=2
	v_and_b32_e32 v4, 0xffff, v5
	v_or_b32_e32 v6, 0x10000, v5
	s_delay_alu instid0(VALU_DEP_2) | instskip(NEXT) | instid1(VALU_DEP_2)
	v_cmp_eq_u32_e32 vcc_lo, 0, v4
	v_cndmask_b32_e32 v4, v6, v5, vcc_lo
; %bb.323:                              ;   in Loop: Header=BB12_130 Depth=2
	s_or_b32 exec_lo, exec_lo, s14
	v_and_b32_e32 v5, 0xffff0000, v117
	v_lshlrev_b32_e32 v6, 16, v14
	s_delay_alu instid0(VALU_DEP_1) | instskip(NEXT) | instid1(VALU_DEP_1)
	v_add_f32_e32 v6, v6, v5
	v_and_b32_e32 v5, 0x7f800000, v6
	s_delay_alu instid0(VALU_DEP_1) | instskip(SKIP_1) | instid1(SALU_CYCLE_1)
	v_cmp_ne_u32_e32 vcc_lo, 0x7f800000, v5
                                        ; implicit-def: $vgpr5
	s_and_saveexec_b32 s14, vcc_lo
	s_xor_b32 s14, exec_lo, s14
; %bb.324:                              ;   in Loop: Header=BB12_130 Depth=2
	v_bfe_u32 v5, v6, 16, 1
	s_delay_alu instid0(VALU_DEP_1)
	v_add3_u32 v5, v6, v5, 0x7fff
                                        ; implicit-def: $vgpr6
; %bb.325:                              ;   in Loop: Header=BB12_130 Depth=2
	s_and_not1_saveexec_b32 s14, s14
; %bb.326:                              ;   in Loop: Header=BB12_130 Depth=2
	v_and_b32_e32 v5, 0xffff, v6
	v_or_b32_e32 v7, 0x10000, v6
	s_delay_alu instid0(VALU_DEP_2) | instskip(NEXT) | instid1(VALU_DEP_2)
	v_cmp_eq_u32_e32 vcc_lo, 0, v5
	v_cndmask_b32_e32 v5, v7, v6, vcc_lo
; %bb.327:                              ;   in Loop: Header=BB12_130 Depth=2
	s_or_b32 exec_lo, exec_lo, s14
	v_and_b32_e32 v6, 0xffff0000, v14
	v_and_b32_e32 v7, 0xffff0000, v98
	s_mov_b32 s14, exec_lo
                                        ; implicit-def: $vgpr98
	s_delay_alu instid0(VALU_DEP_1) | instskip(NEXT) | instid1(VALU_DEP_1)
	v_add_f32_e32 v6, v6, v7
	v_and_b32_e32 v7, 0x7f800000, v6
	s_delay_alu instid0(VALU_DEP_1)
	v_cmpx_ne_u32_e32 0x7f800000, v7
	s_xor_b32 s14, exec_lo, s14
; %bb.328:                              ;   in Loop: Header=BB12_130 Depth=2
	v_bfe_u32 v7, v6, 16, 1
	s_delay_alu instid0(VALU_DEP_1)
	v_add3_u32 v98, v6, v7, 0x7fff
                                        ; implicit-def: $vgpr6
; %bb.329:                              ;   in Loop: Header=BB12_130 Depth=2
	s_and_not1_saveexec_b32 s14, s14
; %bb.330:                              ;   in Loop: Header=BB12_130 Depth=2
	v_and_b32_e32 v7, 0xffff, v6
	v_or_b32_e32 v8, 0x10000, v6
	s_delay_alu instid0(VALU_DEP_2) | instskip(NEXT) | instid1(VALU_DEP_2)
	v_cmp_eq_u32_e32 vcc_lo, 0, v7
	v_cndmask_b32_e32 v98, v8, v6, vcc_lo
; %bb.331:                              ;   in Loop: Header=BB12_130 Depth=2
	s_or_b32 exec_lo, exec_lo, s14
	v_and_b32_e32 v6, 0xffff0000, v99
	v_lshlrev_b32_e32 v7, 16, v15
	s_mov_b32 s14, exec_lo
                                        ; implicit-def: $vgpr99
	s_delay_alu instid0(VALU_DEP_1) | instskip(NEXT) | instid1(VALU_DEP_1)
	v_add_f32_e32 v6, v7, v6
	v_and_b32_e32 v7, 0x7f800000, v6
	s_delay_alu instid0(VALU_DEP_1)
	v_cmpx_ne_u32_e32 0x7f800000, v7
	s_xor_b32 s14, exec_lo, s14
; %bb.332:                              ;   in Loop: Header=BB12_130 Depth=2
	v_bfe_u32 v7, v6, 16, 1
	s_delay_alu instid0(VALU_DEP_1)
	v_add3_u32 v99, v6, v7, 0x7fff
                                        ; implicit-def: $vgpr6
; %bb.333:                              ;   in Loop: Header=BB12_130 Depth=2
	s_and_not1_saveexec_b32 s14, s14
; %bb.334:                              ;   in Loop: Header=BB12_130 Depth=2
	v_and_b32_e32 v7, 0xffff, v6
	v_or_b32_e32 v8, 0x10000, v6
	s_delay_alu instid0(VALU_DEP_2) | instskip(NEXT) | instid1(VALU_DEP_2)
	v_cmp_eq_u32_e32 vcc_lo, 0, v7
	v_cndmask_b32_e32 v99, v8, v6, vcc_lo
; %bb.335:                              ;   in Loop: Header=BB12_130 Depth=2
	s_or_b32 exec_lo, exec_lo, s14
	v_and_b32_e32 v6, 0xffff0000, v15
	v_and_b32_e32 v7, 0xffff0000, v96
	s_mov_b32 s14, exec_lo
                                        ; implicit-def: $vgpr96
	s_delay_alu instid0(VALU_DEP_1) | instskip(NEXT) | instid1(VALU_DEP_1)
	v_add_f32_e32 v6, v6, v7
	v_and_b32_e32 v7, 0x7f800000, v6
	s_delay_alu instid0(VALU_DEP_1)
	v_cmpx_ne_u32_e32 0x7f800000, v7
	s_xor_b32 s14, exec_lo, s14
; %bb.336:                              ;   in Loop: Header=BB12_130 Depth=2
	v_bfe_u32 v7, v6, 16, 1
	s_delay_alu instid0(VALU_DEP_1)
	v_add3_u32 v96, v6, v7, 0x7fff
                                        ; implicit-def: $vgpr6
; %bb.337:                              ;   in Loop: Header=BB12_130 Depth=2
	s_and_not1_saveexec_b32 s14, s14
; %bb.338:                              ;   in Loop: Header=BB12_130 Depth=2
	v_and_b32_e32 v7, 0xffff, v6
	v_or_b32_e32 v8, 0x10000, v6
	s_delay_alu instid0(VALU_DEP_2) | instskip(NEXT) | instid1(VALU_DEP_2)
	v_cmp_eq_u32_e32 vcc_lo, 0, v7
	v_cndmask_b32_e32 v96, v8, v6, vcc_lo
; %bb.339:                              ;   in Loop: Header=BB12_130 Depth=2
	s_or_b32 exec_lo, exec_lo, s14
	v_and_b32_e32 v6, 0xffff0000, v97
	v_lshlrev_b32_e32 v7, 16, v16
	s_mov_b32 s14, exec_lo
                                        ; implicit-def: $vgpr97
	s_delay_alu instid0(VALU_DEP_1) | instskip(NEXT) | instid1(VALU_DEP_1)
	v_add_f32_e32 v6, v7, v6
	v_and_b32_e32 v7, 0x7f800000, v6
	s_delay_alu instid0(VALU_DEP_1)
	v_cmpx_ne_u32_e32 0x7f800000, v7
	s_xor_b32 s14, exec_lo, s14
; %bb.340:                              ;   in Loop: Header=BB12_130 Depth=2
	v_bfe_u32 v7, v6, 16, 1
	s_delay_alu instid0(VALU_DEP_1)
	v_add3_u32 v97, v6, v7, 0x7fff
                                        ; implicit-def: $vgpr6
; %bb.341:                              ;   in Loop: Header=BB12_130 Depth=2
	s_and_not1_saveexec_b32 s14, s14
; %bb.342:                              ;   in Loop: Header=BB12_130 Depth=2
	v_and_b32_e32 v7, 0xffff, v6
	v_or_b32_e32 v8, 0x10000, v6
	s_delay_alu instid0(VALU_DEP_2) | instskip(NEXT) | instid1(VALU_DEP_2)
	v_cmp_eq_u32_e32 vcc_lo, 0, v7
	v_cndmask_b32_e32 v97, v8, v6, vcc_lo
; %bb.343:                              ;   in Loop: Header=BB12_130 Depth=2
	s_or_b32 exec_lo, exec_lo, s14
	v_and_b32_e32 v6, 0xffff0000, v16
	v_and_b32_e32 v7, 0xffff0000, v70
	s_mov_b32 s14, exec_lo
                                        ; implicit-def: $vgpr70
	s_delay_alu instid0(VALU_DEP_1) | instskip(NEXT) | instid1(VALU_DEP_1)
	v_add_f32_e32 v6, v6, v7
	v_and_b32_e32 v7, 0x7f800000, v6
	s_delay_alu instid0(VALU_DEP_1)
	v_cmpx_ne_u32_e32 0x7f800000, v7
	s_xor_b32 s14, exec_lo, s14
; %bb.344:                              ;   in Loop: Header=BB12_130 Depth=2
	v_bfe_u32 v7, v6, 16, 1
	s_delay_alu instid0(VALU_DEP_1)
	v_add3_u32 v70, v6, v7, 0x7fff
                                        ; implicit-def: $vgpr6
; %bb.345:                              ;   in Loop: Header=BB12_130 Depth=2
	s_and_not1_saveexec_b32 s14, s14
; %bb.346:                              ;   in Loop: Header=BB12_130 Depth=2
	v_and_b32_e32 v7, 0xffff, v6
	v_or_b32_e32 v8, 0x10000, v6
	s_delay_alu instid0(VALU_DEP_2) | instskip(NEXT) | instid1(VALU_DEP_2)
	v_cmp_eq_u32_e32 vcc_lo, 0, v7
	v_cndmask_b32_e32 v70, v8, v6, vcc_lo
; %bb.347:                              ;   in Loop: Header=BB12_130 Depth=2
	s_or_b32 exec_lo, exec_lo, s14
	v_and_b32_e32 v6, 0xffff0000, v71
	v_lshlrev_b32_e32 v7, 16, v17
	s_mov_b32 s14, exec_lo
                                        ; implicit-def: $vgpr71
	s_delay_alu instid0(VALU_DEP_1) | instskip(NEXT) | instid1(VALU_DEP_1)
	v_add_f32_e32 v6, v7, v6
	v_and_b32_e32 v7, 0x7f800000, v6
	s_delay_alu instid0(VALU_DEP_1)
	v_cmpx_ne_u32_e32 0x7f800000, v7
	s_xor_b32 s14, exec_lo, s14
; %bb.348:                              ;   in Loop: Header=BB12_130 Depth=2
	v_bfe_u32 v7, v6, 16, 1
	s_delay_alu instid0(VALU_DEP_1)
	v_add3_u32 v71, v6, v7, 0x7fff
                                        ; implicit-def: $vgpr6
; %bb.349:                              ;   in Loop: Header=BB12_130 Depth=2
	s_and_not1_saveexec_b32 s14, s14
; %bb.350:                              ;   in Loop: Header=BB12_130 Depth=2
	v_and_b32_e32 v7, 0xffff, v6
	v_or_b32_e32 v8, 0x10000, v6
	s_delay_alu instid0(VALU_DEP_2) | instskip(NEXT) | instid1(VALU_DEP_2)
	v_cmp_eq_u32_e32 vcc_lo, 0, v7
	v_cndmask_b32_e32 v71, v8, v6, vcc_lo
; %bb.351:                              ;   in Loop: Header=BB12_130 Depth=2
	s_or_b32 exec_lo, exec_lo, s14
	v_and_b32_e32 v6, 0xffff0000, v17
	v_and_b32_e32 v7, 0xffff0000, v68
	s_mov_b32 s14, exec_lo
                                        ; implicit-def: $vgpr68
	s_delay_alu instid0(VALU_DEP_1) | instskip(NEXT) | instid1(VALU_DEP_1)
	v_add_f32_e32 v6, v6, v7
	v_and_b32_e32 v7, 0x7f800000, v6
	s_delay_alu instid0(VALU_DEP_1)
	v_cmpx_ne_u32_e32 0x7f800000, v7
	s_xor_b32 s14, exec_lo, s14
; %bb.352:                              ;   in Loop: Header=BB12_130 Depth=2
	v_bfe_u32 v7, v6, 16, 1
	s_delay_alu instid0(VALU_DEP_1)
	v_add3_u32 v68, v6, v7, 0x7fff
                                        ; implicit-def: $vgpr6
; %bb.353:                              ;   in Loop: Header=BB12_130 Depth=2
	s_and_not1_saveexec_b32 s14, s14
; %bb.354:                              ;   in Loop: Header=BB12_130 Depth=2
	v_and_b32_e32 v7, 0xffff, v6
	v_or_b32_e32 v8, 0x10000, v6
	s_delay_alu instid0(VALU_DEP_2) | instskip(NEXT) | instid1(VALU_DEP_2)
	v_cmp_eq_u32_e32 vcc_lo, 0, v7
	v_cndmask_b32_e32 v68, v8, v6, vcc_lo
; %bb.355:                              ;   in Loop: Header=BB12_130 Depth=2
	s_or_b32 exec_lo, exec_lo, s14
	v_and_b32_e32 v6, 0xffff0000, v69
	v_lshlrev_b32_e32 v7, 16, v10
	s_mov_b32 s14, exec_lo
                                        ; implicit-def: $vgpr116
	s_delay_alu instid0(VALU_DEP_1) | instskip(NEXT) | instid1(VALU_DEP_1)
	v_add_f32_e32 v6, v7, v6
	v_and_b32_e32 v7, 0x7f800000, v6
	s_delay_alu instid0(VALU_DEP_1)
	v_cmpx_ne_u32_e32 0x7f800000, v7
	s_xor_b32 s14, exec_lo, s14
; %bb.356:                              ;   in Loop: Header=BB12_130 Depth=2
	v_bfe_u32 v7, v6, 16, 1
	s_delay_alu instid0(VALU_DEP_1)
	v_add3_u32 v116, v6, v7, 0x7fff
                                        ; implicit-def: $vgpr6
; %bb.357:                              ;   in Loop: Header=BB12_130 Depth=2
	s_and_not1_saveexec_b32 s14, s14
; %bb.358:                              ;   in Loop: Header=BB12_130 Depth=2
	v_and_b32_e32 v7, 0xffff, v6
	v_or_b32_e32 v8, 0x10000, v6
	s_delay_alu instid0(VALU_DEP_2) | instskip(NEXT) | instid1(VALU_DEP_2)
	v_cmp_eq_u32_e32 vcc_lo, 0, v7
	v_cndmask_b32_e32 v116, v8, v6, vcc_lo
; %bb.359:                              ;   in Loop: Header=BB12_130 Depth=2
	s_or_b32 exec_lo, exec_lo, s14
	v_and_b32_e32 v6, 0xffff0000, v10
	v_and_b32_e32 v7, 0xffff0000, v50
	s_mov_b32 s14, exec_lo
                                        ; implicit-def: $vgpr117
	s_delay_alu instid0(VALU_DEP_1) | instskip(NEXT) | instid1(VALU_DEP_1)
	v_add_f32_e32 v6, v6, v7
	v_and_b32_e32 v7, 0x7f800000, v6
	s_delay_alu instid0(VALU_DEP_1)
	v_cmpx_ne_u32_e32 0x7f800000, v7
	s_xor_b32 s14, exec_lo, s14
; %bb.360:                              ;   in Loop: Header=BB12_130 Depth=2
	v_bfe_u32 v7, v6, 16, 1
	s_delay_alu instid0(VALU_DEP_1)
	v_add3_u32 v117, v6, v7, 0x7fff
                                        ; implicit-def: $vgpr6
; %bb.361:                              ;   in Loop: Header=BB12_130 Depth=2
	s_and_not1_saveexec_b32 s14, s14
; %bb.362:                              ;   in Loop: Header=BB12_130 Depth=2
	v_and_b32_e32 v7, 0xffff, v6
	v_or_b32_e32 v8, 0x10000, v6
	s_delay_alu instid0(VALU_DEP_2) | instskip(NEXT) | instid1(VALU_DEP_2)
	v_cmp_eq_u32_e32 vcc_lo, 0, v7
	v_cndmask_b32_e32 v117, v8, v6, vcc_lo
; %bb.363:                              ;   in Loop: Header=BB12_130 Depth=2
	s_or_b32 exec_lo, exec_lo, s14
	v_and_b32_e32 v6, 0xffff0000, v51
	v_lshlrev_b32_e32 v7, 16, v11
	s_mov_b32 s14, exec_lo
                                        ; implicit-def: $vgpr56
	s_delay_alu instid0(VALU_DEP_1) | instskip(NEXT) | instid1(VALU_DEP_1)
	v_add_f32_e32 v6, v7, v6
	v_and_b32_e32 v7, 0x7f800000, v6
	s_delay_alu instid0(VALU_DEP_1)
	v_cmpx_ne_u32_e32 0x7f800000, v7
	s_xor_b32 s14, exec_lo, s14
; %bb.364:                              ;   in Loop: Header=BB12_130 Depth=2
	v_bfe_u32 v7, v6, 16, 1
	s_delay_alu instid0(VALU_DEP_1)
	v_add3_u32 v56, v6, v7, 0x7fff
                                        ; implicit-def: $vgpr6
; %bb.365:                              ;   in Loop: Header=BB12_130 Depth=2
	s_and_not1_saveexec_b32 s14, s14
; %bb.366:                              ;   in Loop: Header=BB12_130 Depth=2
	v_and_b32_e32 v7, 0xffff, v6
	v_or_b32_e32 v8, 0x10000, v6
	s_delay_alu instid0(VALU_DEP_2) | instskip(NEXT) | instid1(VALU_DEP_2)
	v_cmp_eq_u32_e32 vcc_lo, 0, v7
	v_cndmask_b32_e32 v56, v8, v6, vcc_lo
; %bb.367:                              ;   in Loop: Header=BB12_130 Depth=2
	s_or_b32 exec_lo, exec_lo, s14
	v_and_b32_e32 v6, 0xffff0000, v11
	v_and_b32_e32 v7, 0xffff0000, v48
	s_mov_b32 s14, exec_lo
                                        ; implicit-def: $vgpr57
	s_delay_alu instid0(VALU_DEP_1) | instskip(NEXT) | instid1(VALU_DEP_1)
	v_add_f32_e32 v6, v6, v7
	v_and_b32_e32 v7, 0x7f800000, v6
	s_delay_alu instid0(VALU_DEP_1)
	v_cmpx_ne_u32_e32 0x7f800000, v7
	s_xor_b32 s14, exec_lo, s14
; %bb.368:                              ;   in Loop: Header=BB12_130 Depth=2
	v_bfe_u32 v7, v6, 16, 1
	s_delay_alu instid0(VALU_DEP_1)
	v_add3_u32 v57, v6, v7, 0x7fff
                                        ; implicit-def: $vgpr6
; %bb.369:                              ;   in Loop: Header=BB12_130 Depth=2
	s_and_not1_saveexec_b32 s14, s14
; %bb.370:                              ;   in Loop: Header=BB12_130 Depth=2
	v_and_b32_e32 v7, 0xffff, v6
	v_or_b32_e32 v8, 0x10000, v6
	s_delay_alu instid0(VALU_DEP_2) | instskip(NEXT) | instid1(VALU_DEP_2)
	v_cmp_eq_u32_e32 vcc_lo, 0, v7
	v_cndmask_b32_e32 v57, v8, v6, vcc_lo
; %bb.371:                              ;   in Loop: Header=BB12_130 Depth=2
	s_or_b32 exec_lo, exec_lo, s14
	v_and_b32_e32 v6, 0xffff0000, v49
	v_lshlrev_b32_e32 v7, 16, v12
	s_mov_b32 s14, exec_lo
                                        ; implicit-def: $vgpr59
	s_delay_alu instid0(VALU_DEP_1) | instskip(NEXT) | instid1(VALU_DEP_1)
	v_add_f32_e32 v6, v7, v6
	v_and_b32_e32 v7, 0x7f800000, v6
	s_delay_alu instid0(VALU_DEP_1)
	v_cmpx_ne_u32_e32 0x7f800000, v7
	s_xor_b32 s14, exec_lo, s14
; %bb.372:                              ;   in Loop: Header=BB12_130 Depth=2
	v_bfe_u32 v7, v6, 16, 1
	s_delay_alu instid0(VALU_DEP_1)
	v_add3_u32 v59, v6, v7, 0x7fff
                                        ; implicit-def: $vgpr6
; %bb.373:                              ;   in Loop: Header=BB12_130 Depth=2
	s_and_not1_saveexec_b32 s14, s14
; %bb.374:                              ;   in Loop: Header=BB12_130 Depth=2
	v_and_b32_e32 v7, 0xffff, v6
	v_or_b32_e32 v8, 0x10000, v6
	s_delay_alu instid0(VALU_DEP_2) | instskip(NEXT) | instid1(VALU_DEP_2)
	v_cmp_eq_u32_e32 vcc_lo, 0, v7
	v_cndmask_b32_e32 v59, v8, v6, vcc_lo
; %bb.375:                              ;   in Loop: Header=BB12_130 Depth=2
	s_or_b32 exec_lo, exec_lo, s14
	v_and_b32_e32 v6, 0xffff0000, v12
	v_and_b32_e32 v7, 0xffff0000, v27
	s_mov_b32 s14, exec_lo
                                        ; implicit-def: $vgpr60
	s_delay_alu instid0(VALU_DEP_1) | instskip(NEXT) | instid1(VALU_DEP_1)
	v_add_f32_e32 v6, v6, v7
	v_and_b32_e32 v7, 0x7f800000, v6
	s_delay_alu instid0(VALU_DEP_1)
	v_cmpx_ne_u32_e32 0x7f800000, v7
	s_xor_b32 s14, exec_lo, s14
; %bb.376:                              ;   in Loop: Header=BB12_130 Depth=2
	v_bfe_u32 v7, v6, 16, 1
	s_delay_alu instid0(VALU_DEP_1)
	v_add3_u32 v60, v6, v7, 0x7fff
                                        ; implicit-def: $vgpr6
; %bb.377:                              ;   in Loop: Header=BB12_130 Depth=2
	s_and_not1_saveexec_b32 s14, s14
; %bb.378:                              ;   in Loop: Header=BB12_130 Depth=2
	v_and_b32_e32 v7, 0xffff, v6
	v_or_b32_e32 v8, 0x10000, v6
	s_delay_alu instid0(VALU_DEP_2) | instskip(NEXT) | instid1(VALU_DEP_2)
	v_cmp_eq_u32_e32 vcc_lo, 0, v7
	v_cndmask_b32_e32 v60, v8, v6, vcc_lo
; %bb.379:                              ;   in Loop: Header=BB12_130 Depth=2
	s_or_b32 exec_lo, exec_lo, s14
	v_and_b32_e32 v6, 0xffff0000, v28
	v_lshlrev_b32_e32 v7, 16, v13
	s_delay_alu instid0(VALU_DEP_1) | instskip(NEXT) | instid1(VALU_DEP_1)
	v_add_f32_e32 v7, v7, v6
	v_and_b32_e32 v6, 0x7f800000, v7
	s_delay_alu instid0(VALU_DEP_1) | instskip(SKIP_1) | instid1(SALU_CYCLE_1)
	v_cmp_ne_u32_e32 vcc_lo, 0x7f800000, v6
                                        ; implicit-def: $vgpr6
	s_and_saveexec_b32 s14, vcc_lo
	s_xor_b32 s14, exec_lo, s14
; %bb.380:                              ;   in Loop: Header=BB12_130 Depth=2
	v_bfe_u32 v6, v7, 16, 1
	s_delay_alu instid0(VALU_DEP_1)
	v_add3_u32 v6, v7, v6, 0x7fff
                                        ; implicit-def: $vgpr7
; %bb.381:                              ;   in Loop: Header=BB12_130 Depth=2
	s_and_not1_saveexec_b32 s14, s14
; %bb.382:                              ;   in Loop: Header=BB12_130 Depth=2
	v_and_b32_e32 v6, 0xffff, v7
	v_or_b32_e32 v8, 0x10000, v7
	s_delay_alu instid0(VALU_DEP_2) | instskip(NEXT) | instid1(VALU_DEP_2)
	v_cmp_eq_u32_e32 vcc_lo, 0, v6
	v_cndmask_b32_e32 v6, v8, v7, vcc_lo
; %bb.383:                              ;   in Loop: Header=BB12_130 Depth=2
	s_or_b32 exec_lo, exec_lo, s14
	v_and_b32_e32 v7, 0xffff0000, v13
	v_and_b32_e32 v8, 0xffff0000, v26
	s_delay_alu instid0(VALU_DEP_1) | instskip(NEXT) | instid1(VALU_DEP_1)
	v_add_f32_e32 v8, v7, v8
	v_and_b32_e32 v7, 0x7f800000, v8
	s_delay_alu instid0(VALU_DEP_1) | instskip(SKIP_1) | instid1(SALU_CYCLE_1)
	v_cmp_ne_u32_e32 vcc_lo, 0x7f800000, v7
                                        ; implicit-def: $vgpr7
	s_and_saveexec_b32 s14, vcc_lo
	s_xor_b32 s14, exec_lo, s14
; %bb.384:                              ;   in Loop: Header=BB12_130 Depth=2
	v_bfe_u32 v7, v8, 16, 1
	s_delay_alu instid0(VALU_DEP_1)
	v_add3_u32 v7, v8, v7, 0x7fff
                                        ; implicit-def: $vgpr8
; %bb.385:                              ;   in Loop: Header=BB12_130 Depth=2
	s_and_not1_saveexec_b32 s14, s14
; %bb.386:                              ;   in Loop: Header=BB12_130 Depth=2
	v_and_b32_e32 v7, 0xffff, v8
	v_or_b32_e32 v9, 0x10000, v8
	s_delay_alu instid0(VALU_DEP_2) | instskip(NEXT) | instid1(VALU_DEP_2)
	v_cmp_eq_u32_e32 vcc_lo, 0, v7
	v_cndmask_b32_e32 v7, v9, v8, vcc_lo
; %bb.387:                              ;   in Loop: Header=BB12_130 Depth=2
	s_or_b32 exec_lo, exec_lo, s14
	v_dual_lshrrev_b32 v8, 16, v99 :: v_dual_lshrrev_b32 v5, 16, v5
	v_dual_lshrrev_b32 v9, 16, v97 :: v_dual_lshrrev_b32 v26, 16, v71
	v_lshrrev_b32_e32 v27, 16, v91
	s_delay_alu instid0(VALU_DEP_3) | instskip(SKIP_1) | instid1(VALU_DEP_4)
	v_and_or_b32 v49, 0xffff0000, v96, v8
	v_lshrrev_b32_e32 v8, 16, v105
	v_and_or_b32 v50, 0xffff0000, v70, v9
	v_dual_lshrrev_b32 v9, 16, v29 :: v_dual_lshrrev_b32 v0, 16, v0
	v_and_or_b32 v48, 0xffff0000, v98, v5
	v_and_or_b32 v51, 0xffff0000, v68, v26
	;; [unrolled: 1-line block ×3, first 2 shown]
	v_dual_lshrrev_b32 v5, 16, v58 :: v_dual_lshrrev_b32 v8, 16, v44
	v_lshrrev_b32_e32 v26, 16, v104
	v_and_or_b32 v96, 0xffff0000, v1, v0
	v_lshrrev_b32_e32 v0, 16, v90
	s_delay_alu instid0(VALU_DEP_4)
	v_and_or_b32 v70, 0xffff0000, v43, v5
	v_and_or_b32 v71, 0xffff0000, v4, v8
	v_dual_lshrrev_b32 v1, 16, v56 :: v_dual_lshrrev_b32 v5, 16, v59
	v_dual_lshrrev_b32 v4, 16, v116 :: v_dual_lshrrev_b32 v6, 16, v6
	v_and_or_b32 v97, 0xffff0000, v31, v9
	v_and_or_b32 v98, 0xffff0000, v62, v26
	;; [unrolled: 1-line block ×8, first 2 shown]
	s_clause 0x3
	global_store_b128 v[122:123], v[96:99], off th:TH_STORE_NT
	global_store_b128 v[122:123], v[68:71], off offset:512 th:TH_STORE_NT
	global_store_b128 v[122:123], v[48:51], off offset:1024 th:TH_STORE_NT
	;; [unrolled: 1-line block ×3, first 2 shown]
	s_wait_xcnt 0x0
	v_add_nc_u64_e32 v[122:123], v[122:123], v[92:93]
.LBB12_388:                             ;   in Loop: Header=BB12_130 Depth=2
	s_or_b32 exec_lo, exec_lo, s15
	v_sub_nc_u32_e32 v42, v42, v72
	v_add_nc_u64_e32 v[2:3], v[2:3], v[92:93]
	v_add_nc_u64_e32 v[124:125], v[124:125], v[92:93]
	s_delay_alu instid0(VALU_DEP_3)
	v_cmp_lt_i32_e64 s14, 0, v42
	s_and_saveexec_b32 s15, s14
	s_cbranch_execz .LBB12_390
; %bb.389:                              ;   in Loop: Header=BB12_130 Depth=2
	s_clause 0x3
	global_load_b128 v[96:99], v[2:3], off th:TH_LOAD_NT
	global_load_b128 v[68:71], v[2:3], off offset:512 th:TH_LOAD_NT
	global_load_b128 v[48:51], v[2:3], off offset:1024 th:TH_LOAD_NT
	;; [unrolled: 1-line block ×3, first 2 shown]
	s_clause 0x3
	global_load_b128 v[22:25], v[124:125], off th:TH_LOAD_NT
	global_load_b128 v[18:21], v[124:125], off offset:512 th:TH_LOAD_NT
	global_load_b128 v[14:17], v[124:125], off offset:1024 th:TH_LOAD_NT
	;; [unrolled: 1-line block ×3, first 2 shown]
	s_wait_xcnt 0x4
	v_add_nc_u64_e32 v[2:3], 0x800, v[2:3]
	s_wait_xcnt 0x0
	v_add_nc_u64_e32 v[124:125], 0x800, v[124:125]
.LBB12_390:                             ;   in Loop: Header=BB12_130 Depth=2
	s_or_b32 exec_lo, exec_lo, s15
	s_wait_loadcnt 0x7
	v_lshlrev_b32_e32 v0, 16, v112
	s_delay_alu instid0(VALU_DEP_1) | instskip(NEXT) | instid1(VALU_DEP_1)
	v_mul_f32_e32 v1, v119, v0
	v_and_b32_e32 v0, 0x7f800000, v1
	s_delay_alu instid0(VALU_DEP_1) | instskip(SKIP_1) | instid1(SALU_CYCLE_1)
	v_cmp_ne_u32_e32 vcc_lo, 0x7f800000, v0
                                        ; implicit-def: $vgpr0
	s_and_saveexec_b32 s15, vcc_lo
	s_xor_b32 s15, exec_lo, s15
; %bb.391:                              ;   in Loop: Header=BB12_130 Depth=2
	v_bfe_u32 v0, v1, 16, 1
	s_delay_alu instid0(VALU_DEP_1)
	v_add3_u32 v0, v1, v0, 0x7fff
                                        ; implicit-def: $vgpr1
; %bb.392:                              ;   in Loop: Header=BB12_130 Depth=2
	s_and_not1_saveexec_b32 s15, s15
; %bb.393:                              ;   in Loop: Header=BB12_130 Depth=2
	v_and_b32_e32 v0, 0xffff, v1
	v_or_b32_e32 v4, 0x10000, v1
	s_delay_alu instid0(VALU_DEP_2) | instskip(NEXT) | instid1(VALU_DEP_2)
	v_cmp_eq_u32_e32 vcc_lo, 0, v0
	v_cndmask_b32_e32 v0, v4, v1, vcc_lo
; %bb.394:                              ;   in Loop: Header=BB12_130 Depth=2
	s_or_b32 exec_lo, exec_lo, s15
	v_and_b32_e32 v1, 0xffff0000, v112
	s_mov_b32 s15, exec_lo
                                        ; implicit-def: $vgpr105
	s_delay_alu instid0(VALU_DEP_1) | instskip(NEXT) | instid1(VALU_DEP_1)
	v_mul_f32_e32 v1, v119, v1
	v_and_b32_e32 v4, 0x7f800000, v1
	s_delay_alu instid0(VALU_DEP_1)
	v_cmpx_ne_u32_e32 0x7f800000, v4
	s_xor_b32 s15, exec_lo, s15
; %bb.395:                              ;   in Loop: Header=BB12_130 Depth=2
	v_bfe_u32 v4, v1, 16, 1
	s_delay_alu instid0(VALU_DEP_1)
	v_add3_u32 v105, v1, v4, 0x7fff
                                        ; implicit-def: $vgpr1
; %bb.396:                              ;   in Loop: Header=BB12_130 Depth=2
	s_and_not1_saveexec_b32 s15, s15
; %bb.397:                              ;   in Loop: Header=BB12_130 Depth=2
	v_and_b32_e32 v4, 0xffff, v1
	v_or_b32_e32 v5, 0x10000, v1
	s_delay_alu instid0(VALU_DEP_2) | instskip(NEXT) | instid1(VALU_DEP_2)
	v_cmp_eq_u32_e32 vcc_lo, 0, v4
	v_cndmask_b32_e32 v105, v5, v1, vcc_lo
; %bb.398:                              ;   in Loop: Header=BB12_130 Depth=2
	s_or_b32 exec_lo, exec_lo, s15
	v_lshlrev_b32_e32 v1, 16, v113
	s_mov_b32 s15, exec_lo
                                        ; implicit-def: $vgpr120
	s_delay_alu instid0(VALU_DEP_1) | instskip(NEXT) | instid1(VALU_DEP_1)
	v_mul_f32_e32 v1, v119, v1
	v_and_b32_e32 v4, 0x7f800000, v1
	s_delay_alu instid0(VALU_DEP_1)
	v_cmpx_ne_u32_e32 0x7f800000, v4
	s_xor_b32 s15, exec_lo, s15
; %bb.399:                              ;   in Loop: Header=BB12_130 Depth=2
	v_bfe_u32 v4, v1, 16, 1
	s_delay_alu instid0(VALU_DEP_1)
	v_add3_u32 v120, v1, v4, 0x7fff
                                        ; implicit-def: $vgpr1
; %bb.400:                              ;   in Loop: Header=BB12_130 Depth=2
	s_and_not1_saveexec_b32 s15, s15
; %bb.401:                              ;   in Loop: Header=BB12_130 Depth=2
	v_and_b32_e32 v4, 0xffff, v1
	v_or_b32_e32 v5, 0x10000, v1
	s_delay_alu instid0(VALU_DEP_2) | instskip(NEXT) | instid1(VALU_DEP_2)
	v_cmp_eq_u32_e32 vcc_lo, 0, v4
	v_cndmask_b32_e32 v120, v5, v1, vcc_lo
; %bb.402:                              ;   in Loop: Header=BB12_130 Depth=2
	s_or_b32 exec_lo, exec_lo, s15
	v_and_b32_e32 v1, 0xffff0000, v113
	s_mov_b32 s15, exec_lo
                                        ; implicit-def: $vgpr31
	s_delay_alu instid0(VALU_DEP_1) | instskip(NEXT) | instid1(VALU_DEP_1)
	v_mul_f32_e32 v1, v119, v1
	v_and_b32_e32 v4, 0x7f800000, v1
	s_delay_alu instid0(VALU_DEP_1)
	v_cmpx_ne_u32_e32 0x7f800000, v4
	s_xor_b32 s15, exec_lo, s15
; %bb.403:                              ;   in Loop: Header=BB12_130 Depth=2
	v_bfe_u32 v4, v1, 16, 1
	s_delay_alu instid0(VALU_DEP_1)
	v_add3_u32 v31, v1, v4, 0x7fff
                                        ; implicit-def: $vgpr1
; %bb.404:                              ;   in Loop: Header=BB12_130 Depth=2
	s_and_not1_saveexec_b32 s15, s15
; %bb.405:                              ;   in Loop: Header=BB12_130 Depth=2
	v_and_b32_e32 v4, 0xffff, v1
	v_or_b32_e32 v5, 0x10000, v1
	s_delay_alu instid0(VALU_DEP_2) | instskip(NEXT) | instid1(VALU_DEP_2)
	v_cmp_eq_u32_e32 vcc_lo, 0, v4
	v_cndmask_b32_e32 v31, v5, v1, vcc_lo
; %bb.406:                              ;   in Loop: Header=BB12_130 Depth=2
	s_or_b32 exec_lo, exec_lo, s15
	v_lshlrev_b32_e32 v1, 16, v114
	s_mov_b32 s15, exec_lo
                                        ; implicit-def: $vgpr104
	s_delay_alu instid0(VALU_DEP_1) | instskip(NEXT) | instid1(VALU_DEP_1)
	v_mul_f32_e32 v1, v119, v1
	v_and_b32_e32 v4, 0x7f800000, v1
	s_delay_alu instid0(VALU_DEP_1)
	v_cmpx_ne_u32_e32 0x7f800000, v4
	s_xor_b32 s15, exec_lo, s15
; %bb.407:                              ;   in Loop: Header=BB12_130 Depth=2
	v_bfe_u32 v4, v1, 16, 1
	s_delay_alu instid0(VALU_DEP_1)
	v_add3_u32 v104, v1, v4, 0x7fff
                                        ; implicit-def: $vgpr1
; %bb.408:                              ;   in Loop: Header=BB12_130 Depth=2
	s_and_not1_saveexec_b32 s15, s15
; %bb.409:                              ;   in Loop: Header=BB12_130 Depth=2
	v_and_b32_e32 v4, 0xffff, v1
	v_or_b32_e32 v5, 0x10000, v1
	s_delay_alu instid0(VALU_DEP_2) | instskip(NEXT) | instid1(VALU_DEP_2)
	v_cmp_eq_u32_e32 vcc_lo, 0, v4
	v_cndmask_b32_e32 v104, v5, v1, vcc_lo
; %bb.410:                              ;   in Loop: Header=BB12_130 Depth=2
	s_or_b32 exec_lo, exec_lo, s15
	v_and_b32_e32 v1, 0xffff0000, v114
	s_mov_b32 s15, exec_lo
                                        ; implicit-def: $vgpr62
	s_delay_alu instid0(VALU_DEP_1) | instskip(NEXT) | instid1(VALU_DEP_1)
	v_mul_f32_e32 v1, v119, v1
	v_and_b32_e32 v4, 0x7f800000, v1
	s_delay_alu instid0(VALU_DEP_1)
	v_cmpx_ne_u32_e32 0x7f800000, v4
	s_xor_b32 s15, exec_lo, s15
; %bb.411:                              ;   in Loop: Header=BB12_130 Depth=2
	v_bfe_u32 v4, v1, 16, 1
	s_delay_alu instid0(VALU_DEP_1)
	v_add3_u32 v62, v1, v4, 0x7fff
                                        ; implicit-def: $vgpr1
; %bb.412:                              ;   in Loop: Header=BB12_130 Depth=2
	s_and_not1_saveexec_b32 s15, s15
; %bb.413:                              ;   in Loop: Header=BB12_130 Depth=2
	v_and_b32_e32 v4, 0xffff, v1
	v_or_b32_e32 v5, 0x10000, v1
	s_delay_alu instid0(VALU_DEP_2) | instskip(NEXT) | instid1(VALU_DEP_2)
	v_cmp_eq_u32_e32 vcc_lo, 0, v4
	v_cndmask_b32_e32 v62, v5, v1, vcc_lo
; %bb.414:                              ;   in Loop: Header=BB12_130 Depth=2
	s_or_b32 exec_lo, exec_lo, s15
	v_lshlrev_b32_e32 v1, 16, v115
	s_mov_b32 s15, exec_lo
                                        ; implicit-def: $vgpr90
	s_delay_alu instid0(VALU_DEP_1) | instskip(NEXT) | instid1(VALU_DEP_1)
	v_mul_f32_e32 v1, v119, v1
	v_and_b32_e32 v4, 0x7f800000, v1
	s_delay_alu instid0(VALU_DEP_1)
	v_cmpx_ne_u32_e32 0x7f800000, v4
	s_xor_b32 s15, exec_lo, s15
; %bb.415:                              ;   in Loop: Header=BB12_130 Depth=2
	v_bfe_u32 v4, v1, 16, 1
	s_delay_alu instid0(VALU_DEP_1)
	v_add3_u32 v90, v1, v4, 0x7fff
                                        ; implicit-def: $vgpr1
; %bb.416:                              ;   in Loop: Header=BB12_130 Depth=2
	s_and_not1_saveexec_b32 s15, s15
; %bb.417:                              ;   in Loop: Header=BB12_130 Depth=2
	v_and_b32_e32 v4, 0xffff, v1
	v_or_b32_e32 v5, 0x10000, v1
	s_delay_alu instid0(VALU_DEP_2) | instskip(NEXT) | instid1(VALU_DEP_2)
	v_cmp_eq_u32_e32 vcc_lo, 0, v4
	v_cndmask_b32_e32 v90, v5, v1, vcc_lo
; %bb.418:                              ;   in Loop: Header=BB12_130 Depth=2
	s_or_b32 exec_lo, exec_lo, s15
	v_and_b32_e32 v1, 0xffff0000, v115
	s_mov_b32 s15, exec_lo
                                        ; implicit-def: $vgpr118
	s_delay_alu instid0(VALU_DEP_1) | instskip(NEXT) | instid1(VALU_DEP_1)
	v_mul_f32_e32 v1, v119, v1
	v_and_b32_e32 v4, 0x7f800000, v1
	s_delay_alu instid0(VALU_DEP_1)
	v_cmpx_ne_u32_e32 0x7f800000, v4
	s_xor_b32 s15, exec_lo, s15
; %bb.419:                              ;   in Loop: Header=BB12_130 Depth=2
	v_bfe_u32 v4, v1, 16, 1
	s_delay_alu instid0(VALU_DEP_1)
	v_add3_u32 v118, v1, v4, 0x7fff
                                        ; implicit-def: $vgpr1
; %bb.420:                              ;   in Loop: Header=BB12_130 Depth=2
	s_and_not1_saveexec_b32 s15, s15
; %bb.421:                              ;   in Loop: Header=BB12_130 Depth=2
	v_and_b32_e32 v4, 0xffff, v1
	v_or_b32_e32 v5, 0x10000, v1
	s_delay_alu instid0(VALU_DEP_2) | instskip(NEXT) | instid1(VALU_DEP_2)
	v_cmp_eq_u32_e32 vcc_lo, 0, v4
	v_cndmask_b32_e32 v118, v5, v1, vcc_lo
; %bb.422:                              ;   in Loop: Header=BB12_130 Depth=2
	s_or_b32 exec_lo, exec_lo, s15
	s_wait_loadcnt 0x6
	v_lshlrev_b32_e32 v1, 16, v100
	s_mov_b32 s15, exec_lo
                                        ; implicit-def: $vgpr126
	s_delay_alu instid0(VALU_DEP_1) | instskip(NEXT) | instid1(VALU_DEP_1)
	v_mul_f32_e32 v1, v119, v1
	v_and_b32_e32 v4, 0x7f800000, v1
	s_delay_alu instid0(VALU_DEP_1)
	v_cmpx_ne_u32_e32 0x7f800000, v4
	s_xor_b32 s15, exec_lo, s15
; %bb.423:                              ;   in Loop: Header=BB12_130 Depth=2
	v_bfe_u32 v4, v1, 16, 1
	s_delay_alu instid0(VALU_DEP_1)
	v_add3_u32 v126, v1, v4, 0x7fff
                                        ; implicit-def: $vgpr1
; %bb.424:                              ;   in Loop: Header=BB12_130 Depth=2
	s_and_not1_saveexec_b32 s15, s15
; %bb.425:                              ;   in Loop: Header=BB12_130 Depth=2
	v_and_b32_e32 v4, 0xffff, v1
	v_or_b32_e32 v5, 0x10000, v1
	s_delay_alu instid0(VALU_DEP_2) | instskip(NEXT) | instid1(VALU_DEP_2)
	v_cmp_eq_u32_e32 vcc_lo, 0, v4
	v_cndmask_b32_e32 v126, v5, v1, vcc_lo
; %bb.426:                              ;   in Loop: Header=BB12_130 Depth=2
	s_or_b32 exec_lo, exec_lo, s15
	v_and_b32_e32 v1, 0xffff0000, v100
	s_mov_b32 s15, exec_lo
                                        ; implicit-def: $vgpr61
	s_delay_alu instid0(VALU_DEP_1) | instskip(NEXT) | instid1(VALU_DEP_1)
	v_mul_f32_e32 v1, v119, v1
	v_and_b32_e32 v4, 0x7f800000, v1
	s_delay_alu instid0(VALU_DEP_1)
	v_cmpx_ne_u32_e32 0x7f800000, v4
	s_xor_b32 s15, exec_lo, s15
; %bb.427:                              ;   in Loop: Header=BB12_130 Depth=2
	v_bfe_u32 v4, v1, 16, 1
	s_delay_alu instid0(VALU_DEP_1)
	v_add3_u32 v61, v1, v4, 0x7fff
                                        ; implicit-def: $vgpr1
; %bb.428:                              ;   in Loop: Header=BB12_130 Depth=2
	s_and_not1_saveexec_b32 s15, s15
; %bb.429:                              ;   in Loop: Header=BB12_130 Depth=2
	v_and_b32_e32 v4, 0xffff, v1
	v_or_b32_e32 v5, 0x10000, v1
	s_delay_alu instid0(VALU_DEP_2) | instskip(NEXT) | instid1(VALU_DEP_2)
	v_cmp_eq_u32_e32 vcc_lo, 0, v4
	v_cndmask_b32_e32 v61, v5, v1, vcc_lo
; %bb.430:                              ;   in Loop: Header=BB12_130 Depth=2
	s_or_b32 exec_lo, exec_lo, s15
	v_lshlrev_b32_e32 v1, 16, v101
	s_mov_b32 s15, exec_lo
                                        ; implicit-def: $vgpr91
	s_delay_alu instid0(VALU_DEP_1) | instskip(NEXT) | instid1(VALU_DEP_1)
	v_mul_f32_e32 v1, v119, v1
	v_and_b32_e32 v4, 0x7f800000, v1
	s_delay_alu instid0(VALU_DEP_1)
	v_cmpx_ne_u32_e32 0x7f800000, v4
	s_xor_b32 s15, exec_lo, s15
; %bb.431:                              ;   in Loop: Header=BB12_130 Depth=2
	v_bfe_u32 v4, v1, 16, 1
	s_delay_alu instid0(VALU_DEP_1)
	v_add3_u32 v91, v1, v4, 0x7fff
                                        ; implicit-def: $vgpr1
; %bb.432:                              ;   in Loop: Header=BB12_130 Depth=2
	s_and_not1_saveexec_b32 s15, s15
; %bb.433:                              ;   in Loop: Header=BB12_130 Depth=2
	v_and_b32_e32 v4, 0xffff, v1
	v_or_b32_e32 v5, 0x10000, v1
	s_delay_alu instid0(VALU_DEP_2) | instskip(NEXT) | instid1(VALU_DEP_2)
	v_cmp_eq_u32_e32 vcc_lo, 0, v4
	v_cndmask_b32_e32 v91, v5, v1, vcc_lo
; %bb.434:                              ;   in Loop: Header=BB12_130 Depth=2
	s_or_b32 exec_lo, exec_lo, s15
	v_and_b32_e32 v1, 0xffff0000, v101
	s_mov_b32 s15, exec_lo
                                        ; implicit-def: $vgpr45
	s_delay_alu instid0(VALU_DEP_1) | instskip(NEXT) | instid1(VALU_DEP_1)
	v_mul_f32_e32 v1, v119, v1
	v_and_b32_e32 v4, 0x7f800000, v1
	s_delay_alu instid0(VALU_DEP_1)
	v_cmpx_ne_u32_e32 0x7f800000, v4
	s_xor_b32 s15, exec_lo, s15
; %bb.435:                              ;   in Loop: Header=BB12_130 Depth=2
	v_bfe_u32 v4, v1, 16, 1
	s_delay_alu instid0(VALU_DEP_1)
	v_add3_u32 v45, v1, v4, 0x7fff
                                        ; implicit-def: $vgpr1
; %bb.436:                              ;   in Loop: Header=BB12_130 Depth=2
	s_and_not1_saveexec_b32 s15, s15
; %bb.437:                              ;   in Loop: Header=BB12_130 Depth=2
	v_and_b32_e32 v4, 0xffff, v1
	v_or_b32_e32 v5, 0x10000, v1
	s_delay_alu instid0(VALU_DEP_2) | instskip(NEXT) | instid1(VALU_DEP_2)
	v_cmp_eq_u32_e32 vcc_lo, 0, v4
	v_cndmask_b32_e32 v45, v5, v1, vcc_lo
; %bb.438:                              ;   in Loop: Header=BB12_130 Depth=2
	s_or_b32 exec_lo, exec_lo, s15
	v_lshlrev_b32_e32 v1, 16, v102
	s_mov_b32 s15, exec_lo
                                        ; implicit-def: $vgpr60
	s_delay_alu instid0(VALU_DEP_1) | instskip(NEXT) | instid1(VALU_DEP_1)
	v_mul_f32_e32 v1, v119, v1
	v_and_b32_e32 v4, 0x7f800000, v1
	s_delay_alu instid0(VALU_DEP_1)
	v_cmpx_ne_u32_e32 0x7f800000, v4
	s_xor_b32 s15, exec_lo, s15
; %bb.439:                              ;   in Loop: Header=BB12_130 Depth=2
	v_bfe_u32 v4, v1, 16, 1
	s_delay_alu instid0(VALU_DEP_1)
	v_add3_u32 v60, v1, v4, 0x7fff
                                        ; implicit-def: $vgpr1
; %bb.440:                              ;   in Loop: Header=BB12_130 Depth=2
	s_and_not1_saveexec_b32 s15, s15
; %bb.441:                              ;   in Loop: Header=BB12_130 Depth=2
	v_and_b32_e32 v4, 0xffff, v1
	v_or_b32_e32 v5, 0x10000, v1
	s_delay_alu instid0(VALU_DEP_2) | instskip(NEXT) | instid1(VALU_DEP_2)
	v_cmp_eq_u32_e32 vcc_lo, 0, v4
	v_cndmask_b32_e32 v60, v5, v1, vcc_lo
; %bb.442:                              ;   in Loop: Header=BB12_130 Depth=2
	s_or_b32 exec_lo, exec_lo, s15
	v_and_b32_e32 v1, 0xffff0000, v102
	s_mov_b32 s15, exec_lo
                                        ; implicit-def: $vgpr43
	s_delay_alu instid0(VALU_DEP_1) | instskip(NEXT) | instid1(VALU_DEP_1)
	v_mul_f32_e32 v1, v119, v1
	v_and_b32_e32 v4, 0x7f800000, v1
	s_delay_alu instid0(VALU_DEP_1)
	v_cmpx_ne_u32_e32 0x7f800000, v4
	s_xor_b32 s15, exec_lo, s15
; %bb.443:                              ;   in Loop: Header=BB12_130 Depth=2
	v_bfe_u32 v4, v1, 16, 1
	s_delay_alu instid0(VALU_DEP_1)
	v_add3_u32 v43, v1, v4, 0x7fff
                                        ; implicit-def: $vgpr1
; %bb.444:                              ;   in Loop: Header=BB12_130 Depth=2
	s_and_not1_saveexec_b32 s15, s15
; %bb.445:                              ;   in Loop: Header=BB12_130 Depth=2
	v_and_b32_e32 v4, 0xffff, v1
	v_or_b32_e32 v5, 0x10000, v1
	s_delay_alu instid0(VALU_DEP_2) | instskip(NEXT) | instid1(VALU_DEP_2)
	v_cmp_eq_u32_e32 vcc_lo, 0, v4
	v_cndmask_b32_e32 v43, v5, v1, vcc_lo
; %bb.446:                              ;   in Loop: Header=BB12_130 Depth=2
	s_or_b32 exec_lo, exec_lo, s15
	v_lshlrev_b32_e32 v1, 16, v103
	s_mov_b32 s15, exec_lo
                                        ; implicit-def: $vgpr44
	s_delay_alu instid0(VALU_DEP_1) | instskip(NEXT) | instid1(VALU_DEP_1)
	v_mul_f32_e32 v1, v119, v1
	v_and_b32_e32 v4, 0x7f800000, v1
	s_delay_alu instid0(VALU_DEP_1)
	v_cmpx_ne_u32_e32 0x7f800000, v4
	s_xor_b32 s15, exec_lo, s15
; %bb.447:                              ;   in Loop: Header=BB12_130 Depth=2
	v_bfe_u32 v4, v1, 16, 1
	s_delay_alu instid0(VALU_DEP_1)
	v_add3_u32 v44, v1, v4, 0x7fff
                                        ; implicit-def: $vgpr1
; %bb.448:                              ;   in Loop: Header=BB12_130 Depth=2
	s_and_not1_saveexec_b32 s15, s15
; %bb.449:                              ;   in Loop: Header=BB12_130 Depth=2
	v_and_b32_e32 v4, 0xffff, v1
	v_or_b32_e32 v5, 0x10000, v1
	s_delay_alu instid0(VALU_DEP_2) | instskip(NEXT) | instid1(VALU_DEP_2)
	v_cmp_eq_u32_e32 vcc_lo, 0, v4
	v_cndmask_b32_e32 v44, v5, v1, vcc_lo
; %bb.450:                              ;   in Loop: Header=BB12_130 Depth=2
	s_or_b32 exec_lo, exec_lo, s15
	v_and_b32_e32 v1, 0xffff0000, v103
	s_mov_b32 s15, exec_lo
                                        ; implicit-def: $vgpr116
	s_delay_alu instid0(VALU_DEP_1) | instskip(NEXT) | instid1(VALU_DEP_1)
	v_mul_f32_e32 v1, v119, v1
	v_and_b32_e32 v4, 0x7f800000, v1
	s_delay_alu instid0(VALU_DEP_1)
	v_cmpx_ne_u32_e32 0x7f800000, v4
	s_xor_b32 s15, exec_lo, s15
; %bb.451:                              ;   in Loop: Header=BB12_130 Depth=2
	v_bfe_u32 v4, v1, 16, 1
	s_delay_alu instid0(VALU_DEP_1)
	v_add3_u32 v116, v1, v4, 0x7fff
                                        ; implicit-def: $vgpr1
; %bb.452:                              ;   in Loop: Header=BB12_130 Depth=2
	s_and_not1_saveexec_b32 s15, s15
; %bb.453:                              ;   in Loop: Header=BB12_130 Depth=2
	v_and_b32_e32 v4, 0xffff, v1
	v_or_b32_e32 v5, 0x10000, v1
	s_delay_alu instid0(VALU_DEP_2) | instskip(NEXT) | instid1(VALU_DEP_2)
	v_cmp_eq_u32_e32 vcc_lo, 0, v4
	v_cndmask_b32_e32 v116, v5, v1, vcc_lo
; %bb.454:                              ;   in Loop: Header=BB12_130 Depth=2
	s_or_b32 exec_lo, exec_lo, s15
	s_wait_loadcnt 0x5
	v_lshlrev_b32_e32 v1, 16, v84
	s_mov_b32 s15, exec_lo
                                        ; implicit-def: $vgpr117
	s_delay_alu instid0(VALU_DEP_1) | instskip(NEXT) | instid1(VALU_DEP_1)
	v_mul_f32_e32 v1, v119, v1
	v_and_b32_e32 v4, 0x7f800000, v1
	s_delay_alu instid0(VALU_DEP_1)
	v_cmpx_ne_u32_e32 0x7f800000, v4
	s_xor_b32 s15, exec_lo, s15
; %bb.455:                              ;   in Loop: Header=BB12_130 Depth=2
	v_bfe_u32 v4, v1, 16, 1
	s_delay_alu instid0(VALU_DEP_1)
	v_add3_u32 v117, v1, v4, 0x7fff
                                        ; implicit-def: $vgpr1
; %bb.456:                              ;   in Loop: Header=BB12_130 Depth=2
	s_and_not1_saveexec_b32 s15, s15
; %bb.457:                              ;   in Loop: Header=BB12_130 Depth=2
	v_and_b32_e32 v4, 0xffff, v1
	v_or_b32_e32 v5, 0x10000, v1
	s_delay_alu instid0(VALU_DEP_2) | instskip(NEXT) | instid1(VALU_DEP_2)
	v_cmp_eq_u32_e32 vcc_lo, 0, v4
	v_cndmask_b32_e32 v117, v5, v1, vcc_lo
; %bb.458:                              ;   in Loop: Header=BB12_130 Depth=2
	s_or_b32 exec_lo, exec_lo, s15
	v_and_b32_e32 v1, 0xffff0000, v84
	s_mov_b32 s15, exec_lo
                                        ; implicit-def: $vgpr114
	s_delay_alu instid0(VALU_DEP_1) | instskip(NEXT) | instid1(VALU_DEP_1)
	v_mul_f32_e32 v1, v119, v1
	v_and_b32_e32 v4, 0x7f800000, v1
	s_delay_alu instid0(VALU_DEP_1)
	v_cmpx_ne_u32_e32 0x7f800000, v4
	s_xor_b32 s15, exec_lo, s15
; %bb.459:                              ;   in Loop: Header=BB12_130 Depth=2
	v_bfe_u32 v4, v1, 16, 1
	s_delay_alu instid0(VALU_DEP_1)
	v_add3_u32 v114, v1, v4, 0x7fff
                                        ; implicit-def: $vgpr1
; %bb.460:                              ;   in Loop: Header=BB12_130 Depth=2
	s_and_not1_saveexec_b32 s15, s15
; %bb.461:                              ;   in Loop: Header=BB12_130 Depth=2
	v_and_b32_e32 v4, 0xffff, v1
	v_or_b32_e32 v5, 0x10000, v1
	s_delay_alu instid0(VALU_DEP_2) | instskip(NEXT) | instid1(VALU_DEP_2)
	v_cmp_eq_u32_e32 vcc_lo, 0, v4
	v_cndmask_b32_e32 v114, v5, v1, vcc_lo
; %bb.462:                              ;   in Loop: Header=BB12_130 Depth=2
	s_or_b32 exec_lo, exec_lo, s15
	v_lshlrev_b32_e32 v1, 16, v85
	s_mov_b32 s15, exec_lo
                                        ; implicit-def: $vgpr115
	s_delay_alu instid0(VALU_DEP_1) | instskip(NEXT) | instid1(VALU_DEP_1)
	v_mul_f32_e32 v1, v119, v1
	v_and_b32_e32 v4, 0x7f800000, v1
	s_delay_alu instid0(VALU_DEP_1)
	v_cmpx_ne_u32_e32 0x7f800000, v4
	s_xor_b32 s15, exec_lo, s15
; %bb.463:                              ;   in Loop: Header=BB12_130 Depth=2
	v_bfe_u32 v4, v1, 16, 1
	s_delay_alu instid0(VALU_DEP_1)
	v_add3_u32 v115, v1, v4, 0x7fff
                                        ; implicit-def: $vgpr1
; %bb.464:                              ;   in Loop: Header=BB12_130 Depth=2
	s_and_not1_saveexec_b32 s15, s15
; %bb.465:                              ;   in Loop: Header=BB12_130 Depth=2
	v_and_b32_e32 v4, 0xffff, v1
	v_or_b32_e32 v5, 0x10000, v1
	s_delay_alu instid0(VALU_DEP_2) | instskip(NEXT) | instid1(VALU_DEP_2)
	v_cmp_eq_u32_e32 vcc_lo, 0, v4
	v_cndmask_b32_e32 v115, v5, v1, vcc_lo
; %bb.466:                              ;   in Loop: Header=BB12_130 Depth=2
	s_or_b32 exec_lo, exec_lo, s15
	v_and_b32_e32 v1, 0xffff0000, v85
	s_mov_b32 s15, exec_lo
                                        ; implicit-def: $vgpr112
	s_delay_alu instid0(VALU_DEP_1) | instskip(NEXT) | instid1(VALU_DEP_1)
	v_mul_f32_e32 v1, v119, v1
	v_and_b32_e32 v4, 0x7f800000, v1
	s_delay_alu instid0(VALU_DEP_1)
	v_cmpx_ne_u32_e32 0x7f800000, v4
	s_xor_b32 s15, exec_lo, s15
; %bb.467:                              ;   in Loop: Header=BB12_130 Depth=2
	v_bfe_u32 v4, v1, 16, 1
	s_delay_alu instid0(VALU_DEP_1)
	v_add3_u32 v112, v1, v4, 0x7fff
                                        ; implicit-def: $vgpr1
; %bb.468:                              ;   in Loop: Header=BB12_130 Depth=2
	s_and_not1_saveexec_b32 s15, s15
; %bb.469:                              ;   in Loop: Header=BB12_130 Depth=2
	v_and_b32_e32 v4, 0xffff, v1
	v_or_b32_e32 v5, 0x10000, v1
	s_delay_alu instid0(VALU_DEP_2) | instskip(NEXT) | instid1(VALU_DEP_2)
	v_cmp_eq_u32_e32 vcc_lo, 0, v4
	v_cndmask_b32_e32 v112, v5, v1, vcc_lo
; %bb.470:                              ;   in Loop: Header=BB12_130 Depth=2
	s_or_b32 exec_lo, exec_lo, s15
	v_lshlrev_b32_e32 v1, 16, v86
	s_mov_b32 s15, exec_lo
                                        ; implicit-def: $vgpr113
	s_delay_alu instid0(VALU_DEP_1) | instskip(NEXT) | instid1(VALU_DEP_1)
	v_mul_f32_e32 v1, v119, v1
	v_and_b32_e32 v4, 0x7f800000, v1
	s_delay_alu instid0(VALU_DEP_1)
	v_cmpx_ne_u32_e32 0x7f800000, v4
	s_xor_b32 s15, exec_lo, s15
; %bb.471:                              ;   in Loop: Header=BB12_130 Depth=2
	v_bfe_u32 v4, v1, 16, 1
	s_delay_alu instid0(VALU_DEP_1)
	v_add3_u32 v113, v1, v4, 0x7fff
                                        ; implicit-def: $vgpr1
; %bb.472:                              ;   in Loop: Header=BB12_130 Depth=2
	s_and_not1_saveexec_b32 s15, s15
; %bb.473:                              ;   in Loop: Header=BB12_130 Depth=2
	v_and_b32_e32 v4, 0xffff, v1
	v_or_b32_e32 v5, 0x10000, v1
	s_delay_alu instid0(VALU_DEP_2) | instskip(NEXT) | instid1(VALU_DEP_2)
	v_cmp_eq_u32_e32 vcc_lo, 0, v4
	v_cndmask_b32_e32 v113, v5, v1, vcc_lo
; %bb.474:                              ;   in Loop: Header=BB12_130 Depth=2
	s_or_b32 exec_lo, exec_lo, s15
	v_and_b32_e32 v1, 0xffff0000, v86
	s_mov_b32 s15, exec_lo
                                        ; implicit-def: $vgpr102
	s_delay_alu instid0(VALU_DEP_1) | instskip(NEXT) | instid1(VALU_DEP_1)
	v_mul_f32_e32 v1, v119, v1
	v_and_b32_e32 v4, 0x7f800000, v1
	s_delay_alu instid0(VALU_DEP_1)
	v_cmpx_ne_u32_e32 0x7f800000, v4
	s_xor_b32 s15, exec_lo, s15
; %bb.475:                              ;   in Loop: Header=BB12_130 Depth=2
	v_bfe_u32 v4, v1, 16, 1
	s_delay_alu instid0(VALU_DEP_1)
	v_add3_u32 v102, v1, v4, 0x7fff
                                        ; implicit-def: $vgpr1
; %bb.476:                              ;   in Loop: Header=BB12_130 Depth=2
	s_and_not1_saveexec_b32 s15, s15
; %bb.477:                              ;   in Loop: Header=BB12_130 Depth=2
	v_and_b32_e32 v4, 0xffff, v1
	v_or_b32_e32 v5, 0x10000, v1
	s_delay_alu instid0(VALU_DEP_2) | instskip(NEXT) | instid1(VALU_DEP_2)
	v_cmp_eq_u32_e32 vcc_lo, 0, v4
	v_cndmask_b32_e32 v102, v5, v1, vcc_lo
; %bb.478:                              ;   in Loop: Header=BB12_130 Depth=2
	s_or_b32 exec_lo, exec_lo, s15
	v_lshlrev_b32_e32 v1, 16, v87
	s_mov_b32 s15, exec_lo
                                        ; implicit-def: $vgpr103
	s_delay_alu instid0(VALU_DEP_1) | instskip(NEXT) | instid1(VALU_DEP_1)
	v_mul_f32_e32 v1, v119, v1
	v_and_b32_e32 v4, 0x7f800000, v1
	s_delay_alu instid0(VALU_DEP_1)
	v_cmpx_ne_u32_e32 0x7f800000, v4
	s_xor_b32 s15, exec_lo, s15
; %bb.479:                              ;   in Loop: Header=BB12_130 Depth=2
	v_bfe_u32 v4, v1, 16, 1
	s_delay_alu instid0(VALU_DEP_1)
	v_add3_u32 v103, v1, v4, 0x7fff
                                        ; implicit-def: $vgpr1
; %bb.480:                              ;   in Loop: Header=BB12_130 Depth=2
	s_and_not1_saveexec_b32 s15, s15
; %bb.481:                              ;   in Loop: Header=BB12_130 Depth=2
	v_and_b32_e32 v4, 0xffff, v1
	v_or_b32_e32 v5, 0x10000, v1
	s_delay_alu instid0(VALU_DEP_2) | instskip(NEXT) | instid1(VALU_DEP_2)
	v_cmp_eq_u32_e32 vcc_lo, 0, v4
	v_cndmask_b32_e32 v103, v5, v1, vcc_lo
; %bb.482:                              ;   in Loop: Header=BB12_130 Depth=2
	s_or_b32 exec_lo, exec_lo, s15
	v_and_b32_e32 v1, 0xffff0000, v87
	s_mov_b32 s15, exec_lo
                                        ; implicit-def: $vgpr100
	s_delay_alu instid0(VALU_DEP_1) | instskip(NEXT) | instid1(VALU_DEP_1)
	v_mul_f32_e32 v1, v119, v1
	v_and_b32_e32 v4, 0x7f800000, v1
	s_delay_alu instid0(VALU_DEP_1)
	v_cmpx_ne_u32_e32 0x7f800000, v4
	s_xor_b32 s15, exec_lo, s15
; %bb.483:                              ;   in Loop: Header=BB12_130 Depth=2
	v_bfe_u32 v4, v1, 16, 1
	s_delay_alu instid0(VALU_DEP_1)
	v_add3_u32 v100, v1, v4, 0x7fff
                                        ; implicit-def: $vgpr1
; %bb.484:                              ;   in Loop: Header=BB12_130 Depth=2
	s_and_not1_saveexec_b32 s15, s15
; %bb.485:                              ;   in Loop: Header=BB12_130 Depth=2
	v_and_b32_e32 v4, 0xffff, v1
	v_or_b32_e32 v5, 0x10000, v1
	s_delay_alu instid0(VALU_DEP_2) | instskip(NEXT) | instid1(VALU_DEP_2)
	v_cmp_eq_u32_e32 vcc_lo, 0, v4
	v_cndmask_b32_e32 v100, v5, v1, vcc_lo
; %bb.486:                              ;   in Loop: Header=BB12_130 Depth=2
	s_or_b32 exec_lo, exec_lo, s15
	s_wait_loadcnt 0x4
	v_lshlrev_b32_e32 v1, 16, v80
	s_mov_b32 s15, exec_lo
                                        ; implicit-def: $vgpr101
	s_delay_alu instid0(VALU_DEP_1) | instskip(NEXT) | instid1(VALU_DEP_1)
	v_mul_f32_e32 v1, v119, v1
	v_and_b32_e32 v4, 0x7f800000, v1
	s_delay_alu instid0(VALU_DEP_1)
	v_cmpx_ne_u32_e32 0x7f800000, v4
	s_xor_b32 s15, exec_lo, s15
; %bb.487:                              ;   in Loop: Header=BB12_130 Depth=2
	v_bfe_u32 v4, v1, 16, 1
	s_delay_alu instid0(VALU_DEP_1)
	v_add3_u32 v101, v1, v4, 0x7fff
                                        ; implicit-def: $vgpr1
; %bb.488:                              ;   in Loop: Header=BB12_130 Depth=2
	s_and_not1_saveexec_b32 s15, s15
; %bb.489:                              ;   in Loop: Header=BB12_130 Depth=2
	v_and_b32_e32 v4, 0xffff, v1
	v_or_b32_e32 v5, 0x10000, v1
	s_delay_alu instid0(VALU_DEP_2) | instskip(NEXT) | instid1(VALU_DEP_2)
	v_cmp_eq_u32_e32 vcc_lo, 0, v4
	v_cndmask_b32_e32 v101, v5, v1, vcc_lo
; %bb.490:                              ;   in Loop: Header=BB12_130 Depth=2
	s_or_b32 exec_lo, exec_lo, s15
	v_and_b32_e32 v1, 0xffff0000, v80
	s_mov_b32 s15, exec_lo
                                        ; implicit-def: $vgpr86
	s_delay_alu instid0(VALU_DEP_1) | instskip(NEXT) | instid1(VALU_DEP_1)
	v_mul_f32_e32 v1, v119, v1
	v_and_b32_e32 v4, 0x7f800000, v1
	s_delay_alu instid0(VALU_DEP_1)
	v_cmpx_ne_u32_e32 0x7f800000, v4
	s_xor_b32 s15, exec_lo, s15
; %bb.491:                              ;   in Loop: Header=BB12_130 Depth=2
	v_bfe_u32 v4, v1, 16, 1
	s_delay_alu instid0(VALU_DEP_1)
	v_add3_u32 v86, v1, v4, 0x7fff
                                        ; implicit-def: $vgpr1
; %bb.492:                              ;   in Loop: Header=BB12_130 Depth=2
	s_and_not1_saveexec_b32 s15, s15
; %bb.493:                              ;   in Loop: Header=BB12_130 Depth=2
	v_and_b32_e32 v4, 0xffff, v1
	v_or_b32_e32 v5, 0x10000, v1
	s_delay_alu instid0(VALU_DEP_2) | instskip(NEXT) | instid1(VALU_DEP_2)
	v_cmp_eq_u32_e32 vcc_lo, 0, v4
	v_cndmask_b32_e32 v86, v5, v1, vcc_lo
; %bb.494:                              ;   in Loop: Header=BB12_130 Depth=2
	s_or_b32 exec_lo, exec_lo, s15
	v_lshlrev_b32_e32 v1, 16, v81
	s_mov_b32 s15, exec_lo
                                        ; implicit-def: $vgpr87
	s_delay_alu instid0(VALU_DEP_1) | instskip(NEXT) | instid1(VALU_DEP_1)
	v_mul_f32_e32 v1, v119, v1
	v_and_b32_e32 v4, 0x7f800000, v1
	s_delay_alu instid0(VALU_DEP_1)
	v_cmpx_ne_u32_e32 0x7f800000, v4
	s_xor_b32 s15, exec_lo, s15
; %bb.495:                              ;   in Loop: Header=BB12_130 Depth=2
	v_bfe_u32 v4, v1, 16, 1
	s_delay_alu instid0(VALU_DEP_1)
	v_add3_u32 v87, v1, v4, 0x7fff
                                        ; implicit-def: $vgpr1
; %bb.496:                              ;   in Loop: Header=BB12_130 Depth=2
	s_and_not1_saveexec_b32 s15, s15
; %bb.497:                              ;   in Loop: Header=BB12_130 Depth=2
	v_and_b32_e32 v4, 0xffff, v1
	v_or_b32_e32 v5, 0x10000, v1
	s_delay_alu instid0(VALU_DEP_2) | instskip(NEXT) | instid1(VALU_DEP_2)
	v_cmp_eq_u32_e32 vcc_lo, 0, v4
	v_cndmask_b32_e32 v87, v5, v1, vcc_lo
; %bb.498:                              ;   in Loop: Header=BB12_130 Depth=2
	s_or_b32 exec_lo, exec_lo, s15
	v_and_b32_e32 v1, 0xffff0000, v81
	s_mov_b32 s15, exec_lo
                                        ; implicit-def: $vgpr84
	s_delay_alu instid0(VALU_DEP_1) | instskip(NEXT) | instid1(VALU_DEP_1)
	v_mul_f32_e32 v1, v119, v1
	v_and_b32_e32 v4, 0x7f800000, v1
	s_delay_alu instid0(VALU_DEP_1)
	v_cmpx_ne_u32_e32 0x7f800000, v4
	s_xor_b32 s15, exec_lo, s15
; %bb.499:                              ;   in Loop: Header=BB12_130 Depth=2
	v_bfe_u32 v4, v1, 16, 1
	s_delay_alu instid0(VALU_DEP_1)
	v_add3_u32 v84, v1, v4, 0x7fff
                                        ; implicit-def: $vgpr1
; %bb.500:                              ;   in Loop: Header=BB12_130 Depth=2
	s_and_not1_saveexec_b32 s15, s15
; %bb.501:                              ;   in Loop: Header=BB12_130 Depth=2
	v_and_b32_e32 v4, 0xffff, v1
	v_or_b32_e32 v5, 0x10000, v1
	s_delay_alu instid0(VALU_DEP_2) | instskip(NEXT) | instid1(VALU_DEP_2)
	v_cmp_eq_u32_e32 vcc_lo, 0, v4
	v_cndmask_b32_e32 v84, v5, v1, vcc_lo
; %bb.502:                              ;   in Loop: Header=BB12_130 Depth=2
	s_or_b32 exec_lo, exec_lo, s15
	v_lshlrev_b32_e32 v1, 16, v82
	s_mov_b32 s15, exec_lo
                                        ; implicit-def: $vgpr85
	s_delay_alu instid0(VALU_DEP_1) | instskip(NEXT) | instid1(VALU_DEP_1)
	v_mul_f32_e32 v1, v119, v1
	v_and_b32_e32 v4, 0x7f800000, v1
	s_delay_alu instid0(VALU_DEP_1)
	v_cmpx_ne_u32_e32 0x7f800000, v4
	s_xor_b32 s15, exec_lo, s15
; %bb.503:                              ;   in Loop: Header=BB12_130 Depth=2
	v_bfe_u32 v4, v1, 16, 1
	s_delay_alu instid0(VALU_DEP_1)
	v_add3_u32 v85, v1, v4, 0x7fff
                                        ; implicit-def: $vgpr1
; %bb.504:                              ;   in Loop: Header=BB12_130 Depth=2
	s_and_not1_saveexec_b32 s15, s15
; %bb.505:                              ;   in Loop: Header=BB12_130 Depth=2
	v_and_b32_e32 v4, 0xffff, v1
	v_or_b32_e32 v5, 0x10000, v1
	s_delay_alu instid0(VALU_DEP_2) | instskip(NEXT) | instid1(VALU_DEP_2)
	v_cmp_eq_u32_e32 vcc_lo, 0, v4
	v_cndmask_b32_e32 v85, v5, v1, vcc_lo
; %bb.506:                              ;   in Loop: Header=BB12_130 Depth=2
	s_or_b32 exec_lo, exec_lo, s15
	v_and_b32_e32 v1, 0xffff0000, v82
	s_mov_b32 s15, exec_lo
                                        ; implicit-def: $vgpr80
	s_delay_alu instid0(VALU_DEP_1) | instskip(NEXT) | instid1(VALU_DEP_1)
	v_mul_f32_e32 v1, v119, v1
	v_and_b32_e32 v4, 0x7f800000, v1
	s_delay_alu instid0(VALU_DEP_1)
	v_cmpx_ne_u32_e32 0x7f800000, v4
	s_xor_b32 s15, exec_lo, s15
; %bb.507:                              ;   in Loop: Header=BB12_130 Depth=2
	v_bfe_u32 v4, v1, 16, 1
	s_delay_alu instid0(VALU_DEP_1)
	v_add3_u32 v80, v1, v4, 0x7fff
                                        ; implicit-def: $vgpr1
; %bb.508:                              ;   in Loop: Header=BB12_130 Depth=2
	s_and_not1_saveexec_b32 s15, s15
; %bb.509:                              ;   in Loop: Header=BB12_130 Depth=2
	v_and_b32_e32 v4, 0xffff, v1
	v_or_b32_e32 v5, 0x10000, v1
	s_delay_alu instid0(VALU_DEP_2) | instskip(NEXT) | instid1(VALU_DEP_2)
	v_cmp_eq_u32_e32 vcc_lo, 0, v4
	v_cndmask_b32_e32 v80, v5, v1, vcc_lo
; %bb.510:                              ;   in Loop: Header=BB12_130 Depth=2
	s_or_b32 exec_lo, exec_lo, s15
	v_lshlrev_b32_e32 v1, 16, v83
	s_mov_b32 s15, exec_lo
                                        ; implicit-def: $vgpr81
	s_delay_alu instid0(VALU_DEP_1) | instskip(NEXT) | instid1(VALU_DEP_1)
	v_mul_f32_e32 v1, v119, v1
	v_and_b32_e32 v4, 0x7f800000, v1
	s_delay_alu instid0(VALU_DEP_1)
	v_cmpx_ne_u32_e32 0x7f800000, v4
	s_xor_b32 s15, exec_lo, s15
; %bb.511:                              ;   in Loop: Header=BB12_130 Depth=2
	v_bfe_u32 v4, v1, 16, 1
	s_delay_alu instid0(VALU_DEP_1)
	v_add3_u32 v81, v1, v4, 0x7fff
                                        ; implicit-def: $vgpr1
; %bb.512:                              ;   in Loop: Header=BB12_130 Depth=2
	s_and_not1_saveexec_b32 s15, s15
; %bb.513:                              ;   in Loop: Header=BB12_130 Depth=2
	v_and_b32_e32 v4, 0xffff, v1
	v_or_b32_e32 v5, 0x10000, v1
	s_delay_alu instid0(VALU_DEP_2) | instskip(NEXT) | instid1(VALU_DEP_2)
	v_cmp_eq_u32_e32 vcc_lo, 0, v4
	v_cndmask_b32_e32 v81, v5, v1, vcc_lo
; %bb.514:                              ;   in Loop: Header=BB12_130 Depth=2
	s_or_b32 exec_lo, exec_lo, s15
	v_and_b32_e32 v1, 0xffff0000, v83
	s_delay_alu instid0(VALU_DEP_1) | instskip(NEXT) | instid1(VALU_DEP_1)
	v_mul_f32_e32 v4, v119, v1
	v_and_b32_e32 v1, 0x7f800000, v4
	s_delay_alu instid0(VALU_DEP_1) | instskip(SKIP_1) | instid1(SALU_CYCLE_1)
	v_cmp_ne_u32_e32 vcc_lo, 0x7f800000, v1
                                        ; implicit-def: $vgpr1
	s_and_saveexec_b32 s15, vcc_lo
	s_xor_b32 s15, exec_lo, s15
; %bb.515:                              ;   in Loop: Header=BB12_130 Depth=2
	v_bfe_u32 v1, v4, 16, 1
	s_delay_alu instid0(VALU_DEP_1)
	v_add3_u32 v1, v4, v1, 0x7fff
                                        ; implicit-def: $vgpr4
; %bb.516:                              ;   in Loop: Header=BB12_130 Depth=2
	s_and_not1_saveexec_b32 s15, s15
; %bb.517:                              ;   in Loop: Header=BB12_130 Depth=2
	v_and_b32_e32 v1, 0xffff, v4
	v_or_b32_e32 v5, 0x10000, v4
	s_delay_alu instid0(VALU_DEP_2) | instskip(NEXT) | instid1(VALU_DEP_2)
	v_cmp_eq_u32_e32 vcc_lo, 0, v1
	v_cndmask_b32_e32 v1, v5, v4, vcc_lo
; %bb.518:                              ;   in Loop: Header=BB12_130 Depth=2
	s_or_b32 exec_lo, exec_lo, s15
	v_and_b32_e32 v0, 0xffff0000, v0
	s_wait_loadcnt 0x3
	v_lshlrev_b32_e32 v4, 16, v64
	s_delay_alu instid0(VALU_DEP_1) | instskip(NEXT) | instid1(VALU_DEP_1)
	v_add_f32_e32 v4, v4, v0
	v_and_b32_e32 v0, 0x7f800000, v4
	s_delay_alu instid0(VALU_DEP_1) | instskip(SKIP_1) | instid1(SALU_CYCLE_1)
	v_cmp_ne_u32_e32 vcc_lo, 0x7f800000, v0
                                        ; implicit-def: $vgpr0
	s_and_saveexec_b32 s15, vcc_lo
	s_xor_b32 s15, exec_lo, s15
; %bb.519:                              ;   in Loop: Header=BB12_130 Depth=2
	v_bfe_u32 v0, v4, 16, 1
	s_delay_alu instid0(VALU_DEP_1)
	v_add3_u32 v0, v4, v0, 0x7fff
                                        ; implicit-def: $vgpr4
; %bb.520:                              ;   in Loop: Header=BB12_130 Depth=2
	s_and_not1_saveexec_b32 s15, s15
; %bb.521:                              ;   in Loop: Header=BB12_130 Depth=2
	v_and_b32_e32 v0, 0xffff, v4
	v_or_b32_e32 v5, 0x10000, v4
	s_delay_alu instid0(VALU_DEP_2) | instskip(NEXT) | instid1(VALU_DEP_2)
	v_cmp_eq_u32_e32 vcc_lo, 0, v0
	v_cndmask_b32_e32 v0, v5, v4, vcc_lo
; %bb.522:                              ;   in Loop: Header=BB12_130 Depth=2
	s_or_b32 exec_lo, exec_lo, s15
	v_and_b32_e32 v4, 0xffff0000, v64
	v_and_b32_e32 v5, 0xffff0000, v105
	s_mov_b32 s15, exec_lo
                                        ; implicit-def: $vgpr64
	s_delay_alu instid0(VALU_DEP_1) | instskip(NEXT) | instid1(VALU_DEP_1)
	v_add_f32_e32 v4, v4, v5
	v_and_b32_e32 v5, 0x7f800000, v4
	s_delay_alu instid0(VALU_DEP_1)
	v_cmpx_ne_u32_e32 0x7f800000, v5
	s_xor_b32 s15, exec_lo, s15
; %bb.523:                              ;   in Loop: Header=BB12_130 Depth=2
	v_bfe_u32 v5, v4, 16, 1
	s_delay_alu instid0(VALU_DEP_1)
	v_add3_u32 v64, v4, v5, 0x7fff
                                        ; implicit-def: $vgpr4
; %bb.524:                              ;   in Loop: Header=BB12_130 Depth=2
	s_and_not1_saveexec_b32 s15, s15
; %bb.525:                              ;   in Loop: Header=BB12_130 Depth=2
	v_and_b32_e32 v5, 0xffff, v4
	v_or_b32_e32 v6, 0x10000, v4
	s_delay_alu instid0(VALU_DEP_2) | instskip(NEXT) | instid1(VALU_DEP_2)
	v_cmp_eq_u32_e32 vcc_lo, 0, v5
	v_cndmask_b32_e32 v64, v6, v4, vcc_lo
; %bb.526:                              ;   in Loop: Header=BB12_130 Depth=2
	s_or_b32 exec_lo, exec_lo, s15
	v_and_b32_e32 v4, 0xffff0000, v120
	v_lshlrev_b32_e32 v5, 16, v65
	s_mov_b32 s15, exec_lo
                                        ; implicit-def: $vgpr82
	s_delay_alu instid0(VALU_DEP_1) | instskip(NEXT) | instid1(VALU_DEP_1)
	v_add_f32_e32 v4, v5, v4
	v_and_b32_e32 v5, 0x7f800000, v4
	s_delay_alu instid0(VALU_DEP_1)
	v_cmpx_ne_u32_e32 0x7f800000, v5
	s_xor_b32 s15, exec_lo, s15
; %bb.527:                              ;   in Loop: Header=BB12_130 Depth=2
	v_bfe_u32 v5, v4, 16, 1
	s_delay_alu instid0(VALU_DEP_1)
	v_add3_u32 v82, v4, v5, 0x7fff
                                        ; implicit-def: $vgpr4
; %bb.528:                              ;   in Loop: Header=BB12_130 Depth=2
	s_and_not1_saveexec_b32 s15, s15
; %bb.529:                              ;   in Loop: Header=BB12_130 Depth=2
	v_and_b32_e32 v5, 0xffff, v4
	v_or_b32_e32 v6, 0x10000, v4
	s_delay_alu instid0(VALU_DEP_2) | instskip(NEXT) | instid1(VALU_DEP_2)
	v_cmp_eq_u32_e32 vcc_lo, 0, v5
	v_cndmask_b32_e32 v82, v6, v4, vcc_lo
; %bb.530:                              ;   in Loop: Header=BB12_130 Depth=2
	s_or_b32 exec_lo, exec_lo, s15
	v_and_b32_e32 v4, 0xffff0000, v65
	v_and_b32_e32 v5, 0xffff0000, v31
	s_mov_b32 s15, exec_lo
                                        ; implicit-def: $vgpr31
	s_delay_alu instid0(VALU_DEP_1) | instskip(NEXT) | instid1(VALU_DEP_1)
	v_add_f32_e32 v4, v4, v5
	v_and_b32_e32 v5, 0x7f800000, v4
	s_delay_alu instid0(VALU_DEP_1)
	v_cmpx_ne_u32_e32 0x7f800000, v5
	s_xor_b32 s15, exec_lo, s15
; %bb.531:                              ;   in Loop: Header=BB12_130 Depth=2
	v_bfe_u32 v5, v4, 16, 1
	s_delay_alu instid0(VALU_DEP_1)
	v_add3_u32 v31, v4, v5, 0x7fff
                                        ; implicit-def: $vgpr4
; %bb.532:                              ;   in Loop: Header=BB12_130 Depth=2
	s_and_not1_saveexec_b32 s15, s15
; %bb.533:                              ;   in Loop: Header=BB12_130 Depth=2
	v_and_b32_e32 v5, 0xffff, v4
	v_or_b32_e32 v6, 0x10000, v4
	s_delay_alu instid0(VALU_DEP_2) | instskip(NEXT) | instid1(VALU_DEP_2)
	v_cmp_eq_u32_e32 vcc_lo, 0, v5
	v_cndmask_b32_e32 v31, v6, v4, vcc_lo
; %bb.534:                              ;   in Loop: Header=BB12_130 Depth=2
	s_or_b32 exec_lo, exec_lo, s15
	v_and_b32_e32 v4, 0xffff0000, v104
	v_lshlrev_b32_e32 v5, 16, v66
	s_mov_b32 s15, exec_lo
                                        ; implicit-def: $vgpr65
	s_delay_alu instid0(VALU_DEP_1) | instskip(NEXT) | instid1(VALU_DEP_1)
	v_add_f32_e32 v4, v5, v4
	v_and_b32_e32 v5, 0x7f800000, v4
	s_delay_alu instid0(VALU_DEP_1)
	v_cmpx_ne_u32_e32 0x7f800000, v5
	s_xor_b32 s15, exec_lo, s15
; %bb.535:                              ;   in Loop: Header=BB12_130 Depth=2
	v_bfe_u32 v5, v4, 16, 1
	s_delay_alu instid0(VALU_DEP_1)
	v_add3_u32 v65, v4, v5, 0x7fff
                                        ; implicit-def: $vgpr4
; %bb.536:                              ;   in Loop: Header=BB12_130 Depth=2
	s_and_not1_saveexec_b32 s15, s15
; %bb.537:                              ;   in Loop: Header=BB12_130 Depth=2
	v_and_b32_e32 v5, 0xffff, v4
	v_or_b32_e32 v6, 0x10000, v4
	s_delay_alu instid0(VALU_DEP_2) | instskip(NEXT) | instid1(VALU_DEP_2)
	v_cmp_eq_u32_e32 vcc_lo, 0, v5
	v_cndmask_b32_e32 v65, v6, v4, vcc_lo
; %bb.538:                              ;   in Loop: Header=BB12_130 Depth=2
	s_or_b32 exec_lo, exec_lo, s15
	v_and_b32_e32 v4, 0xffff0000, v66
	v_and_b32_e32 v5, 0xffff0000, v62
	s_mov_b32 s15, exec_lo
                                        ; implicit-def: $vgpr66
	s_delay_alu instid0(VALU_DEP_1) | instskip(NEXT) | instid1(VALU_DEP_1)
	v_add_f32_e32 v4, v4, v5
	v_and_b32_e32 v5, 0x7f800000, v4
	s_delay_alu instid0(VALU_DEP_1)
	v_cmpx_ne_u32_e32 0x7f800000, v5
	s_xor_b32 s15, exec_lo, s15
; %bb.539:                              ;   in Loop: Header=BB12_130 Depth=2
	v_bfe_u32 v5, v4, 16, 1
	s_delay_alu instid0(VALU_DEP_1)
	v_add3_u32 v66, v4, v5, 0x7fff
                                        ; implicit-def: $vgpr4
; %bb.540:                              ;   in Loop: Header=BB12_130 Depth=2
	s_and_not1_saveexec_b32 s15, s15
; %bb.541:                              ;   in Loop: Header=BB12_130 Depth=2
	v_and_b32_e32 v5, 0xffff, v4
	v_or_b32_e32 v6, 0x10000, v4
	s_delay_alu instid0(VALU_DEP_2) | instskip(NEXT) | instid1(VALU_DEP_2)
	v_cmp_eq_u32_e32 vcc_lo, 0, v5
	v_cndmask_b32_e32 v66, v6, v4, vcc_lo
; %bb.542:                              ;   in Loop: Header=BB12_130 Depth=2
	s_or_b32 exec_lo, exec_lo, s15
	v_and_b32_e32 v4, 0xffff0000, v90
	v_lshlrev_b32_e32 v5, 16, v67
	s_mov_b32 s15, exec_lo
                                        ; implicit-def: $vgpr83
	s_delay_alu instid0(VALU_DEP_1) | instskip(NEXT) | instid1(VALU_DEP_1)
	v_add_f32_e32 v4, v5, v4
	v_and_b32_e32 v5, 0x7f800000, v4
	s_delay_alu instid0(VALU_DEP_1)
	v_cmpx_ne_u32_e32 0x7f800000, v5
	s_xor_b32 s15, exec_lo, s15
; %bb.543:                              ;   in Loop: Header=BB12_130 Depth=2
	v_bfe_u32 v5, v4, 16, 1
	s_delay_alu instid0(VALU_DEP_1)
	v_add3_u32 v83, v4, v5, 0x7fff
                                        ; implicit-def: $vgpr4
; %bb.544:                              ;   in Loop: Header=BB12_130 Depth=2
	s_and_not1_saveexec_b32 s15, s15
; %bb.545:                              ;   in Loop: Header=BB12_130 Depth=2
	v_and_b32_e32 v5, 0xffff, v4
	v_or_b32_e32 v6, 0x10000, v4
	s_delay_alu instid0(VALU_DEP_2) | instskip(NEXT) | instid1(VALU_DEP_2)
	v_cmp_eq_u32_e32 vcc_lo, 0, v5
	v_cndmask_b32_e32 v83, v6, v4, vcc_lo
; %bb.546:                              ;   in Loop: Header=BB12_130 Depth=2
	s_or_b32 exec_lo, exec_lo, s15
	v_and_b32_e32 v4, 0xffff0000, v67
	v_and_b32_e32 v5, 0xffff0000, v118
	s_mov_b32 s15, exec_lo
                                        ; implicit-def: $vgpr67
	s_delay_alu instid0(VALU_DEP_1) | instskip(NEXT) | instid1(VALU_DEP_1)
	v_add_f32_e32 v4, v4, v5
	v_and_b32_e32 v5, 0x7f800000, v4
	s_delay_alu instid0(VALU_DEP_1)
	v_cmpx_ne_u32_e32 0x7f800000, v5
	s_xor_b32 s15, exec_lo, s15
; %bb.547:                              ;   in Loop: Header=BB12_130 Depth=2
	v_bfe_u32 v5, v4, 16, 1
	s_delay_alu instid0(VALU_DEP_1)
	v_add3_u32 v67, v4, v5, 0x7fff
                                        ; implicit-def: $vgpr4
; %bb.548:                              ;   in Loop: Header=BB12_130 Depth=2
	s_and_not1_saveexec_b32 s15, s15
; %bb.549:                              ;   in Loop: Header=BB12_130 Depth=2
	v_and_b32_e32 v5, 0xffff, v4
	v_or_b32_e32 v6, 0x10000, v4
	s_delay_alu instid0(VALU_DEP_2) | instskip(NEXT) | instid1(VALU_DEP_2)
	v_cmp_eq_u32_e32 vcc_lo, 0, v5
	v_cndmask_b32_e32 v67, v6, v4, vcc_lo
; %bb.550:                              ;   in Loop: Header=BB12_130 Depth=2
	s_or_b32 exec_lo, exec_lo, s15
	v_and_b32_e32 v4, 0xffff0000, v126
	s_wait_loadcnt 0x2
	v_lshlrev_b32_e32 v5, 16, v52
	s_mov_b32 s15, exec_lo
                                        ; implicit-def: $vgpr118
	s_delay_alu instid0(VALU_DEP_1) | instskip(NEXT) | instid1(VALU_DEP_1)
	v_add_f32_e32 v4, v5, v4
	v_and_b32_e32 v5, 0x7f800000, v4
	s_delay_alu instid0(VALU_DEP_1)
	v_cmpx_ne_u32_e32 0x7f800000, v5
	s_xor_b32 s15, exec_lo, s15
; %bb.551:                              ;   in Loop: Header=BB12_130 Depth=2
	v_bfe_u32 v5, v4, 16, 1
	s_delay_alu instid0(VALU_DEP_1)
	v_add3_u32 v118, v4, v5, 0x7fff
                                        ; implicit-def: $vgpr4
; %bb.552:                              ;   in Loop: Header=BB12_130 Depth=2
	s_and_not1_saveexec_b32 s15, s15
; %bb.553:                              ;   in Loop: Header=BB12_130 Depth=2
	v_and_b32_e32 v5, 0xffff, v4
	v_or_b32_e32 v6, 0x10000, v4
	s_delay_alu instid0(VALU_DEP_2) | instskip(NEXT) | instid1(VALU_DEP_2)
	v_cmp_eq_u32_e32 vcc_lo, 0, v5
	v_cndmask_b32_e32 v118, v6, v4, vcc_lo
; %bb.554:                              ;   in Loop: Header=BB12_130 Depth=2
	s_or_b32 exec_lo, exec_lo, s15
	v_and_b32_e32 v4, 0xffff0000, v52
	v_and_b32_e32 v5, 0xffff0000, v61
	s_mov_b32 s15, exec_lo
                                        ; implicit-def: $vgpr52
	s_delay_alu instid0(VALU_DEP_1) | instskip(NEXT) | instid1(VALU_DEP_1)
	v_add_f32_e32 v4, v4, v5
	v_and_b32_e32 v5, 0x7f800000, v4
	s_delay_alu instid0(VALU_DEP_1)
	v_cmpx_ne_u32_e32 0x7f800000, v5
	s_xor_b32 s15, exec_lo, s15
; %bb.555:                              ;   in Loop: Header=BB12_130 Depth=2
	v_bfe_u32 v5, v4, 16, 1
	s_delay_alu instid0(VALU_DEP_1)
	v_add3_u32 v52, v4, v5, 0x7fff
                                        ; implicit-def: $vgpr4
; %bb.556:                              ;   in Loop: Header=BB12_130 Depth=2
	s_and_not1_saveexec_b32 s15, s15
; %bb.557:                              ;   in Loop: Header=BB12_130 Depth=2
	v_and_b32_e32 v5, 0xffff, v4
	v_or_b32_e32 v6, 0x10000, v4
	s_delay_alu instid0(VALU_DEP_2) | instskip(NEXT) | instid1(VALU_DEP_2)
	v_cmp_eq_u32_e32 vcc_lo, 0, v5
	v_cndmask_b32_e32 v52, v6, v4, vcc_lo
; %bb.558:                              ;   in Loop: Header=BB12_130 Depth=2
	s_or_b32 exec_lo, exec_lo, s15
	v_and_b32_e32 v4, 0xffff0000, v91
	v_lshlrev_b32_e32 v5, 16, v53
	s_mov_b32 s15, exec_lo
                                        ; implicit-def: $vgpr61
	s_delay_alu instid0(VALU_DEP_1) | instskip(NEXT) | instid1(VALU_DEP_1)
	v_add_f32_e32 v4, v5, v4
	v_and_b32_e32 v5, 0x7f800000, v4
	s_delay_alu instid0(VALU_DEP_1)
	v_cmpx_ne_u32_e32 0x7f800000, v5
	s_xor_b32 s15, exec_lo, s15
; %bb.559:                              ;   in Loop: Header=BB12_130 Depth=2
	v_bfe_u32 v5, v4, 16, 1
	s_delay_alu instid0(VALU_DEP_1)
	v_add3_u32 v61, v4, v5, 0x7fff
                                        ; implicit-def: $vgpr4
; %bb.560:                              ;   in Loop: Header=BB12_130 Depth=2
	s_and_not1_saveexec_b32 s15, s15
; %bb.561:                              ;   in Loop: Header=BB12_130 Depth=2
	v_and_b32_e32 v5, 0xffff, v4
	v_or_b32_e32 v6, 0x10000, v4
	s_delay_alu instid0(VALU_DEP_2) | instskip(NEXT) | instid1(VALU_DEP_2)
	v_cmp_eq_u32_e32 vcc_lo, 0, v5
	v_cndmask_b32_e32 v61, v6, v4, vcc_lo
; %bb.562:                              ;   in Loop: Header=BB12_130 Depth=2
	s_or_b32 exec_lo, exec_lo, s15
	v_and_b32_e32 v4, 0xffff0000, v53
	v_and_b32_e32 v5, 0xffff0000, v45
	s_mov_b32 s15, exec_lo
                                        ; implicit-def: $vgpr53
	s_delay_alu instid0(VALU_DEP_1) | instskip(NEXT) | instid1(VALU_DEP_1)
	v_add_f32_e32 v4, v4, v5
	v_and_b32_e32 v5, 0x7f800000, v4
	s_delay_alu instid0(VALU_DEP_1)
	v_cmpx_ne_u32_e32 0x7f800000, v5
	s_xor_b32 s15, exec_lo, s15
; %bb.563:                              ;   in Loop: Header=BB12_130 Depth=2
	v_bfe_u32 v5, v4, 16, 1
	s_delay_alu instid0(VALU_DEP_1)
	v_add3_u32 v53, v4, v5, 0x7fff
                                        ; implicit-def: $vgpr4
; %bb.564:                              ;   in Loop: Header=BB12_130 Depth=2
	s_and_not1_saveexec_b32 s15, s15
; %bb.565:                              ;   in Loop: Header=BB12_130 Depth=2
	v_and_b32_e32 v5, 0xffff, v4
	v_or_b32_e32 v6, 0x10000, v4
	s_delay_alu instid0(VALU_DEP_2) | instskip(NEXT) | instid1(VALU_DEP_2)
	v_cmp_eq_u32_e32 vcc_lo, 0, v5
	v_cndmask_b32_e32 v53, v6, v4, vcc_lo
; %bb.566:                              ;   in Loop: Header=BB12_130 Depth=2
	s_or_b32 exec_lo, exec_lo, s15
	v_and_b32_e32 v4, 0xffff0000, v60
	v_lshlrev_b32_e32 v5, 16, v54
	s_mov_b32 s15, exec_lo
                                        ; implicit-def: $vgpr45
	s_delay_alu instid0(VALU_DEP_1) | instskip(NEXT) | instid1(VALU_DEP_1)
	v_add_f32_e32 v4, v5, v4
	v_and_b32_e32 v5, 0x7f800000, v4
	s_delay_alu instid0(VALU_DEP_1)
	v_cmpx_ne_u32_e32 0x7f800000, v5
	s_xor_b32 s15, exec_lo, s15
; %bb.567:                              ;   in Loop: Header=BB12_130 Depth=2
	v_bfe_u32 v5, v4, 16, 1
	s_delay_alu instid0(VALU_DEP_1)
	v_add3_u32 v45, v4, v5, 0x7fff
                                        ; implicit-def: $vgpr4
; %bb.568:                              ;   in Loop: Header=BB12_130 Depth=2
	s_and_not1_saveexec_b32 s15, s15
; %bb.569:                              ;   in Loop: Header=BB12_130 Depth=2
	v_and_b32_e32 v5, 0xffff, v4
	v_or_b32_e32 v6, 0x10000, v4
	s_delay_alu instid0(VALU_DEP_2) | instskip(NEXT) | instid1(VALU_DEP_2)
	v_cmp_eq_u32_e32 vcc_lo, 0, v5
	v_cndmask_b32_e32 v45, v6, v4, vcc_lo
; %bb.570:                              ;   in Loop: Header=BB12_130 Depth=2
	s_or_b32 exec_lo, exec_lo, s15
	v_and_b32_e32 v4, 0xffff0000, v54
	v_and_b32_e32 v5, 0xffff0000, v43
	s_mov_b32 s15, exec_lo
                                        ; implicit-def: $vgpr54
	s_delay_alu instid0(VALU_DEP_1) | instskip(NEXT) | instid1(VALU_DEP_1)
	v_add_f32_e32 v4, v4, v5
	v_and_b32_e32 v5, 0x7f800000, v4
	s_delay_alu instid0(VALU_DEP_1)
	v_cmpx_ne_u32_e32 0x7f800000, v5
	s_xor_b32 s15, exec_lo, s15
; %bb.571:                              ;   in Loop: Header=BB12_130 Depth=2
	v_bfe_u32 v5, v4, 16, 1
	s_delay_alu instid0(VALU_DEP_1)
	v_add3_u32 v54, v4, v5, 0x7fff
                                        ; implicit-def: $vgpr4
; %bb.572:                              ;   in Loop: Header=BB12_130 Depth=2
	s_and_not1_saveexec_b32 s15, s15
; %bb.573:                              ;   in Loop: Header=BB12_130 Depth=2
	v_and_b32_e32 v5, 0xffff, v4
	v_or_b32_e32 v6, 0x10000, v4
	s_delay_alu instid0(VALU_DEP_2) | instskip(NEXT) | instid1(VALU_DEP_2)
	v_cmp_eq_u32_e32 vcc_lo, 0, v5
	v_cndmask_b32_e32 v54, v6, v4, vcc_lo
; %bb.574:                              ;   in Loop: Header=BB12_130 Depth=2
	s_or_b32 exec_lo, exec_lo, s15
	v_and_b32_e32 v4, 0xffff0000, v44
	v_lshlrev_b32_e32 v5, 16, v55
	s_mov_b32 s15, exec_lo
                                        ; implicit-def: $vgpr43
	s_delay_alu instid0(VALU_DEP_1) | instskip(NEXT) | instid1(VALU_DEP_1)
	v_add_f32_e32 v4, v5, v4
	v_and_b32_e32 v5, 0x7f800000, v4
	s_delay_alu instid0(VALU_DEP_1)
	v_cmpx_ne_u32_e32 0x7f800000, v5
	s_xor_b32 s15, exec_lo, s15
; %bb.575:                              ;   in Loop: Header=BB12_130 Depth=2
	v_bfe_u32 v5, v4, 16, 1
	s_delay_alu instid0(VALU_DEP_1)
	v_add3_u32 v43, v4, v5, 0x7fff
                                        ; implicit-def: $vgpr4
; %bb.576:                              ;   in Loop: Header=BB12_130 Depth=2
	s_and_not1_saveexec_b32 s15, s15
; %bb.577:                              ;   in Loop: Header=BB12_130 Depth=2
	v_and_b32_e32 v5, 0xffff, v4
	v_or_b32_e32 v6, 0x10000, v4
	s_delay_alu instid0(VALU_DEP_2) | instskip(NEXT) | instid1(VALU_DEP_2)
	v_cmp_eq_u32_e32 vcc_lo, 0, v5
	v_cndmask_b32_e32 v43, v6, v4, vcc_lo
; %bb.578:                              ;   in Loop: Header=BB12_130 Depth=2
	s_or_b32 exec_lo, exec_lo, s15
	v_and_b32_e32 v4, 0xffff0000, v55
	v_and_b32_e32 v5, 0xffff0000, v116
	s_delay_alu instid0(VALU_DEP_1) | instskip(NEXT) | instid1(VALU_DEP_1)
	v_add_f32_e32 v5, v4, v5
	v_and_b32_e32 v4, 0x7f800000, v5
	s_delay_alu instid0(VALU_DEP_1) | instskip(SKIP_1) | instid1(SALU_CYCLE_1)
	v_cmp_ne_u32_e32 vcc_lo, 0x7f800000, v4
                                        ; implicit-def: $vgpr4
	s_and_saveexec_b32 s15, vcc_lo
	s_xor_b32 s15, exec_lo, s15
; %bb.579:                              ;   in Loop: Header=BB12_130 Depth=2
	v_bfe_u32 v4, v5, 16, 1
	s_delay_alu instid0(VALU_DEP_1)
	v_add3_u32 v4, v5, v4, 0x7fff
                                        ; implicit-def: $vgpr5
; %bb.580:                              ;   in Loop: Header=BB12_130 Depth=2
	s_and_not1_saveexec_b32 s15, s15
; %bb.581:                              ;   in Loop: Header=BB12_130 Depth=2
	v_and_b32_e32 v4, 0xffff, v5
	v_or_b32_e32 v6, 0x10000, v5
	s_delay_alu instid0(VALU_DEP_2) | instskip(NEXT) | instid1(VALU_DEP_2)
	v_cmp_eq_u32_e32 vcc_lo, 0, v4
	v_cndmask_b32_e32 v4, v6, v5, vcc_lo
; %bb.582:                              ;   in Loop: Header=BB12_130 Depth=2
	s_or_b32 exec_lo, exec_lo, s15
	v_and_b32_e32 v5, 0xffff0000, v117
	s_wait_loadcnt 0x1
	v_lshlrev_b32_e32 v6, 16, v36
	s_delay_alu instid0(VALU_DEP_1) | instskip(NEXT) | instid1(VALU_DEP_1)
	v_add_f32_e32 v6, v6, v5
	v_and_b32_e32 v5, 0x7f800000, v6
	s_delay_alu instid0(VALU_DEP_1) | instskip(SKIP_1) | instid1(SALU_CYCLE_1)
	v_cmp_ne_u32_e32 vcc_lo, 0x7f800000, v5
                                        ; implicit-def: $vgpr5
	s_and_saveexec_b32 s15, vcc_lo
	s_xor_b32 s15, exec_lo, s15
; %bb.583:                              ;   in Loop: Header=BB12_130 Depth=2
	v_bfe_u32 v5, v6, 16, 1
	s_delay_alu instid0(VALU_DEP_1)
	v_add3_u32 v5, v6, v5, 0x7fff
                                        ; implicit-def: $vgpr6
; %bb.584:                              ;   in Loop: Header=BB12_130 Depth=2
	s_and_not1_saveexec_b32 s15, s15
; %bb.585:                              ;   in Loop: Header=BB12_130 Depth=2
	v_and_b32_e32 v5, 0xffff, v6
	v_or_b32_e32 v7, 0x10000, v6
	s_delay_alu instid0(VALU_DEP_2) | instskip(NEXT) | instid1(VALU_DEP_2)
	v_cmp_eq_u32_e32 vcc_lo, 0, v5
	v_cndmask_b32_e32 v5, v7, v6, vcc_lo
; %bb.586:                              ;   in Loop: Header=BB12_130 Depth=2
	s_or_b32 exec_lo, exec_lo, s15
	v_and_b32_e32 v6, 0xffff0000, v36
	v_and_b32_e32 v7, 0xffff0000, v114
	s_mov_b32 s15, exec_lo
                                        ; implicit-def: $vgpr36
	s_delay_alu instid0(VALU_DEP_1) | instskip(NEXT) | instid1(VALU_DEP_1)
	v_add_f32_e32 v6, v6, v7
	v_and_b32_e32 v7, 0x7f800000, v6
	s_delay_alu instid0(VALU_DEP_1)
	v_cmpx_ne_u32_e32 0x7f800000, v7
	s_xor_b32 s15, exec_lo, s15
; %bb.587:                              ;   in Loop: Header=BB12_130 Depth=2
	v_bfe_u32 v7, v6, 16, 1
	s_delay_alu instid0(VALU_DEP_1)
	v_add3_u32 v36, v6, v7, 0x7fff
                                        ; implicit-def: $vgpr6
; %bb.588:                              ;   in Loop: Header=BB12_130 Depth=2
	s_and_not1_saveexec_b32 s15, s15
; %bb.589:                              ;   in Loop: Header=BB12_130 Depth=2
	v_and_b32_e32 v7, 0xffff, v6
	v_or_b32_e32 v8, 0x10000, v6
	s_delay_alu instid0(VALU_DEP_2) | instskip(NEXT) | instid1(VALU_DEP_2)
	v_cmp_eq_u32_e32 vcc_lo, 0, v7
	v_cndmask_b32_e32 v36, v8, v6, vcc_lo
; %bb.590:                              ;   in Loop: Header=BB12_130 Depth=2
	s_or_b32 exec_lo, exec_lo, s15
	v_and_b32_e32 v6, 0xffff0000, v115
	v_lshlrev_b32_e32 v7, 16, v37
	s_mov_b32 s15, exec_lo
                                        ; implicit-def: $vgpr55
	s_delay_alu instid0(VALU_DEP_1) | instskip(NEXT) | instid1(VALU_DEP_1)
	v_add_f32_e32 v6, v7, v6
	v_and_b32_e32 v7, 0x7f800000, v6
	s_delay_alu instid0(VALU_DEP_1)
	v_cmpx_ne_u32_e32 0x7f800000, v7
	s_xor_b32 s15, exec_lo, s15
; %bb.591:                              ;   in Loop: Header=BB12_130 Depth=2
	v_bfe_u32 v7, v6, 16, 1
	s_delay_alu instid0(VALU_DEP_1)
	v_add3_u32 v55, v6, v7, 0x7fff
                                        ; implicit-def: $vgpr6
; %bb.592:                              ;   in Loop: Header=BB12_130 Depth=2
	s_and_not1_saveexec_b32 s15, s15
; %bb.593:                              ;   in Loop: Header=BB12_130 Depth=2
	v_and_b32_e32 v7, 0xffff, v6
	v_or_b32_e32 v8, 0x10000, v6
	s_delay_alu instid0(VALU_DEP_2) | instskip(NEXT) | instid1(VALU_DEP_2)
	v_cmp_eq_u32_e32 vcc_lo, 0, v7
	v_cndmask_b32_e32 v55, v8, v6, vcc_lo
; %bb.594:                              ;   in Loop: Header=BB12_130 Depth=2
	s_or_b32 exec_lo, exec_lo, s15
	v_and_b32_e32 v6, 0xffff0000, v37
	v_and_b32_e32 v7, 0xffff0000, v112
	s_mov_b32 s15, exec_lo
                                        ; implicit-def: $vgpr37
	s_delay_alu instid0(VALU_DEP_1) | instskip(NEXT) | instid1(VALU_DEP_1)
	v_add_f32_e32 v6, v6, v7
	v_and_b32_e32 v7, 0x7f800000, v6
	s_delay_alu instid0(VALU_DEP_1)
	v_cmpx_ne_u32_e32 0x7f800000, v7
	s_xor_b32 s15, exec_lo, s15
; %bb.595:                              ;   in Loop: Header=BB12_130 Depth=2
	v_bfe_u32 v7, v6, 16, 1
	s_delay_alu instid0(VALU_DEP_1)
	v_add3_u32 v37, v6, v7, 0x7fff
                                        ; implicit-def: $vgpr6
; %bb.596:                              ;   in Loop: Header=BB12_130 Depth=2
	s_and_not1_saveexec_b32 s15, s15
; %bb.597:                              ;   in Loop: Header=BB12_130 Depth=2
	v_and_b32_e32 v7, 0xffff, v6
	v_or_b32_e32 v8, 0x10000, v6
	s_delay_alu instid0(VALU_DEP_2) | instskip(NEXT) | instid1(VALU_DEP_2)
	v_cmp_eq_u32_e32 vcc_lo, 0, v7
	v_cndmask_b32_e32 v37, v8, v6, vcc_lo
; %bb.598:                              ;   in Loop: Header=BB12_130 Depth=2
	s_or_b32 exec_lo, exec_lo, s15
	v_and_b32_e32 v6, 0xffff0000, v113
	v_lshlrev_b32_e32 v7, 16, v38
	s_mov_b32 s15, exec_lo
                                        ; implicit-def: $vgpr112
	s_delay_alu instid0(VALU_DEP_1) | instskip(NEXT) | instid1(VALU_DEP_1)
	v_add_f32_e32 v6, v7, v6
	v_and_b32_e32 v7, 0x7f800000, v6
	s_delay_alu instid0(VALU_DEP_1)
	v_cmpx_ne_u32_e32 0x7f800000, v7
	s_xor_b32 s15, exec_lo, s15
; %bb.599:                              ;   in Loop: Header=BB12_130 Depth=2
	v_bfe_u32 v7, v6, 16, 1
	s_delay_alu instid0(VALU_DEP_1)
	v_add3_u32 v112, v6, v7, 0x7fff
                                        ; implicit-def: $vgpr6
; %bb.600:                              ;   in Loop: Header=BB12_130 Depth=2
	s_and_not1_saveexec_b32 s15, s15
; %bb.601:                              ;   in Loop: Header=BB12_130 Depth=2
	v_and_b32_e32 v7, 0xffff, v6
	v_or_b32_e32 v8, 0x10000, v6
	s_delay_alu instid0(VALU_DEP_2) | instskip(NEXT) | instid1(VALU_DEP_2)
	v_cmp_eq_u32_e32 vcc_lo, 0, v7
	v_cndmask_b32_e32 v112, v8, v6, vcc_lo
; %bb.602:                              ;   in Loop: Header=BB12_130 Depth=2
	s_or_b32 exec_lo, exec_lo, s15
	v_and_b32_e32 v6, 0xffff0000, v38
	v_and_b32_e32 v7, 0xffff0000, v102
	s_mov_b32 s15, exec_lo
                                        ; implicit-def: $vgpr38
	s_delay_alu instid0(VALU_DEP_1) | instskip(NEXT) | instid1(VALU_DEP_1)
	v_add_f32_e32 v6, v6, v7
	v_and_b32_e32 v7, 0x7f800000, v6
	s_delay_alu instid0(VALU_DEP_1)
	v_cmpx_ne_u32_e32 0x7f800000, v7
	s_xor_b32 s15, exec_lo, s15
; %bb.603:                              ;   in Loop: Header=BB12_130 Depth=2
	v_bfe_u32 v7, v6, 16, 1
	s_delay_alu instid0(VALU_DEP_1)
	v_add3_u32 v38, v6, v7, 0x7fff
                                        ; implicit-def: $vgpr6
; %bb.604:                              ;   in Loop: Header=BB12_130 Depth=2
	s_and_not1_saveexec_b32 s15, s15
; %bb.605:                              ;   in Loop: Header=BB12_130 Depth=2
	v_and_b32_e32 v7, 0xffff, v6
	v_or_b32_e32 v8, 0x10000, v6
	s_delay_alu instid0(VALU_DEP_2) | instskip(NEXT) | instid1(VALU_DEP_2)
	v_cmp_eq_u32_e32 vcc_lo, 0, v7
	v_cndmask_b32_e32 v38, v8, v6, vcc_lo
; %bb.606:                              ;   in Loop: Header=BB12_130 Depth=2
	s_or_b32 exec_lo, exec_lo, s15
	v_and_b32_e32 v6, 0xffff0000, v103
	v_lshlrev_b32_e32 v7, 16, v39
	s_mov_b32 s15, exec_lo
                                        ; implicit-def: $vgpr102
	s_delay_alu instid0(VALU_DEP_1) | instskip(NEXT) | instid1(VALU_DEP_1)
	v_add_f32_e32 v6, v7, v6
	v_and_b32_e32 v7, 0x7f800000, v6
	s_delay_alu instid0(VALU_DEP_1)
	v_cmpx_ne_u32_e32 0x7f800000, v7
	s_xor_b32 s15, exec_lo, s15
; %bb.607:                              ;   in Loop: Header=BB12_130 Depth=2
	v_bfe_u32 v7, v6, 16, 1
	s_delay_alu instid0(VALU_DEP_1)
	v_add3_u32 v102, v6, v7, 0x7fff
                                        ; implicit-def: $vgpr6
; %bb.608:                              ;   in Loop: Header=BB12_130 Depth=2
	s_and_not1_saveexec_b32 s15, s15
; %bb.609:                              ;   in Loop: Header=BB12_130 Depth=2
	v_and_b32_e32 v7, 0xffff, v6
	v_or_b32_e32 v8, 0x10000, v6
	s_delay_alu instid0(VALU_DEP_2) | instskip(NEXT) | instid1(VALU_DEP_2)
	v_cmp_eq_u32_e32 vcc_lo, 0, v7
	v_cndmask_b32_e32 v102, v8, v6, vcc_lo
; %bb.610:                              ;   in Loop: Header=BB12_130 Depth=2
	s_or_b32 exec_lo, exec_lo, s15
	v_and_b32_e32 v6, 0xffff0000, v39
	v_and_b32_e32 v7, 0xffff0000, v100
	s_mov_b32 s15, exec_lo
                                        ; implicit-def: $vgpr39
	s_delay_alu instid0(VALU_DEP_1) | instskip(NEXT) | instid1(VALU_DEP_1)
	v_add_f32_e32 v6, v6, v7
	v_and_b32_e32 v7, 0x7f800000, v6
	s_delay_alu instid0(VALU_DEP_1)
	v_cmpx_ne_u32_e32 0x7f800000, v7
	s_xor_b32 s15, exec_lo, s15
; %bb.611:                              ;   in Loop: Header=BB12_130 Depth=2
	v_bfe_u32 v7, v6, 16, 1
	s_delay_alu instid0(VALU_DEP_1)
	v_add3_u32 v39, v6, v7, 0x7fff
                                        ; implicit-def: $vgpr6
; %bb.612:                              ;   in Loop: Header=BB12_130 Depth=2
	s_and_not1_saveexec_b32 s15, s15
; %bb.613:                              ;   in Loop: Header=BB12_130 Depth=2
	v_and_b32_e32 v7, 0xffff, v6
	v_or_b32_e32 v8, 0x10000, v6
	s_delay_alu instid0(VALU_DEP_2) | instskip(NEXT) | instid1(VALU_DEP_2)
	v_cmp_eq_u32_e32 vcc_lo, 0, v7
	v_cndmask_b32_e32 v39, v8, v6, vcc_lo
; %bb.614:                              ;   in Loop: Header=BB12_130 Depth=2
	s_or_b32 exec_lo, exec_lo, s15
	v_and_b32_e32 v6, 0xffff0000, v101
	s_wait_loadcnt 0x0
	v_lshlrev_b32_e32 v7, 16, v32
	s_mov_b32 s15, exec_lo
                                        ; implicit-def: $vgpr100
	s_delay_alu instid0(VALU_DEP_1) | instskip(NEXT) | instid1(VALU_DEP_1)
	v_add_f32_e32 v6, v7, v6
	v_and_b32_e32 v7, 0x7f800000, v6
	s_delay_alu instid0(VALU_DEP_1)
	v_cmpx_ne_u32_e32 0x7f800000, v7
	s_xor_b32 s15, exec_lo, s15
; %bb.615:                              ;   in Loop: Header=BB12_130 Depth=2
	v_bfe_u32 v7, v6, 16, 1
	s_delay_alu instid0(VALU_DEP_1)
	v_add3_u32 v100, v6, v7, 0x7fff
                                        ; implicit-def: $vgpr6
; %bb.616:                              ;   in Loop: Header=BB12_130 Depth=2
	s_and_not1_saveexec_b32 s15, s15
; %bb.617:                              ;   in Loop: Header=BB12_130 Depth=2
	v_and_b32_e32 v7, 0xffff, v6
	v_or_b32_e32 v8, 0x10000, v6
	s_delay_alu instid0(VALU_DEP_2) | instskip(NEXT) | instid1(VALU_DEP_2)
	v_cmp_eq_u32_e32 vcc_lo, 0, v7
	v_cndmask_b32_e32 v100, v8, v6, vcc_lo
; %bb.618:                              ;   in Loop: Header=BB12_130 Depth=2
	s_or_b32 exec_lo, exec_lo, s15
	v_and_b32_e32 v6, 0xffff0000, v32
	v_and_b32_e32 v7, 0xffff0000, v86
	s_mov_b32 s15, exec_lo
                                        ; implicit-def: $vgpr32
	s_delay_alu instid0(VALU_DEP_1) | instskip(NEXT) | instid1(VALU_DEP_1)
	v_add_f32_e32 v6, v6, v7
	v_and_b32_e32 v7, 0x7f800000, v6
	s_delay_alu instid0(VALU_DEP_1)
	v_cmpx_ne_u32_e32 0x7f800000, v7
	s_xor_b32 s15, exec_lo, s15
; %bb.619:                              ;   in Loop: Header=BB12_130 Depth=2
	v_bfe_u32 v7, v6, 16, 1
	s_delay_alu instid0(VALU_DEP_1)
	v_add3_u32 v32, v6, v7, 0x7fff
                                        ; implicit-def: $vgpr6
; %bb.620:                              ;   in Loop: Header=BB12_130 Depth=2
	s_and_not1_saveexec_b32 s15, s15
; %bb.621:                              ;   in Loop: Header=BB12_130 Depth=2
	v_and_b32_e32 v7, 0xffff, v6
	v_or_b32_e32 v8, 0x10000, v6
	s_delay_alu instid0(VALU_DEP_2) | instskip(NEXT) | instid1(VALU_DEP_2)
	v_cmp_eq_u32_e32 vcc_lo, 0, v7
	v_cndmask_b32_e32 v32, v8, v6, vcc_lo
; %bb.622:                              ;   in Loop: Header=BB12_130 Depth=2
	s_or_b32 exec_lo, exec_lo, s15
	v_and_b32_e32 v6, 0xffff0000, v87
	v_lshlrev_b32_e32 v7, 16, v33
	s_mov_b32 s15, exec_lo
                                        ; implicit-def: $vgpr86
	s_delay_alu instid0(VALU_DEP_1) | instskip(NEXT) | instid1(VALU_DEP_1)
	v_add_f32_e32 v6, v7, v6
	v_and_b32_e32 v7, 0x7f800000, v6
	s_delay_alu instid0(VALU_DEP_1)
	v_cmpx_ne_u32_e32 0x7f800000, v7
	s_xor_b32 s15, exec_lo, s15
; %bb.623:                              ;   in Loop: Header=BB12_130 Depth=2
	v_bfe_u32 v7, v6, 16, 1
	s_delay_alu instid0(VALU_DEP_1)
	v_add3_u32 v86, v6, v7, 0x7fff
                                        ; implicit-def: $vgpr6
; %bb.624:                              ;   in Loop: Header=BB12_130 Depth=2
	s_and_not1_saveexec_b32 s15, s15
; %bb.625:                              ;   in Loop: Header=BB12_130 Depth=2
	v_and_b32_e32 v7, 0xffff, v6
	v_or_b32_e32 v8, 0x10000, v6
	s_delay_alu instid0(VALU_DEP_2) | instskip(NEXT) | instid1(VALU_DEP_2)
	v_cmp_eq_u32_e32 vcc_lo, 0, v7
	v_cndmask_b32_e32 v86, v8, v6, vcc_lo
; %bb.626:                              ;   in Loop: Header=BB12_130 Depth=2
	s_or_b32 exec_lo, exec_lo, s15
	v_and_b32_e32 v6, 0xffff0000, v33
	v_and_b32_e32 v7, 0xffff0000, v84
	s_mov_b32 s15, exec_lo
                                        ; implicit-def: $vgpr33
	s_delay_alu instid0(VALU_DEP_1) | instskip(NEXT) | instid1(VALU_DEP_1)
	v_add_f32_e32 v6, v6, v7
	v_and_b32_e32 v7, 0x7f800000, v6
	s_delay_alu instid0(VALU_DEP_1)
	v_cmpx_ne_u32_e32 0x7f800000, v7
	s_xor_b32 s15, exec_lo, s15
; %bb.627:                              ;   in Loop: Header=BB12_130 Depth=2
	v_bfe_u32 v7, v6, 16, 1
	s_delay_alu instid0(VALU_DEP_1)
	v_add3_u32 v33, v6, v7, 0x7fff
                                        ; implicit-def: $vgpr6
; %bb.628:                              ;   in Loop: Header=BB12_130 Depth=2
	s_and_not1_saveexec_b32 s15, s15
; %bb.629:                              ;   in Loop: Header=BB12_130 Depth=2
	v_and_b32_e32 v7, 0xffff, v6
	v_or_b32_e32 v8, 0x10000, v6
	s_delay_alu instid0(VALU_DEP_2) | instskip(NEXT) | instid1(VALU_DEP_2)
	v_cmp_eq_u32_e32 vcc_lo, 0, v7
	v_cndmask_b32_e32 v33, v8, v6, vcc_lo
; %bb.630:                              ;   in Loop: Header=BB12_130 Depth=2
	s_or_b32 exec_lo, exec_lo, s15
	v_and_b32_e32 v6, 0xffff0000, v85
	v_lshlrev_b32_e32 v7, 16, v34
	s_mov_b32 s15, exec_lo
                                        ; implicit-def: $vgpr84
	s_delay_alu instid0(VALU_DEP_1) | instskip(NEXT) | instid1(VALU_DEP_1)
	v_add_f32_e32 v6, v7, v6
	v_and_b32_e32 v7, 0x7f800000, v6
	s_delay_alu instid0(VALU_DEP_1)
	v_cmpx_ne_u32_e32 0x7f800000, v7
	s_xor_b32 s15, exec_lo, s15
; %bb.631:                              ;   in Loop: Header=BB12_130 Depth=2
	v_bfe_u32 v7, v6, 16, 1
	s_delay_alu instid0(VALU_DEP_1)
	v_add3_u32 v84, v6, v7, 0x7fff
                                        ; implicit-def: $vgpr6
; %bb.632:                              ;   in Loop: Header=BB12_130 Depth=2
	s_and_not1_saveexec_b32 s15, s15
; %bb.633:                              ;   in Loop: Header=BB12_130 Depth=2
	v_and_b32_e32 v7, 0xffff, v6
	v_or_b32_e32 v8, 0x10000, v6
	s_delay_alu instid0(VALU_DEP_2) | instskip(NEXT) | instid1(VALU_DEP_2)
	v_cmp_eq_u32_e32 vcc_lo, 0, v7
	v_cndmask_b32_e32 v84, v8, v6, vcc_lo
; %bb.634:                              ;   in Loop: Header=BB12_130 Depth=2
	s_or_b32 exec_lo, exec_lo, s15
	v_and_b32_e32 v6, 0xffff0000, v34
	v_and_b32_e32 v7, 0xffff0000, v80
	s_delay_alu instid0(VALU_DEP_1) | instskip(NEXT) | instid1(VALU_DEP_1)
	v_add_f32_e32 v7, v6, v7
	v_and_b32_e32 v6, 0x7f800000, v7
	s_delay_alu instid0(VALU_DEP_1) | instskip(SKIP_1) | instid1(SALU_CYCLE_1)
	v_cmp_ne_u32_e32 vcc_lo, 0x7f800000, v6
                                        ; implicit-def: $vgpr6
	s_and_saveexec_b32 s15, vcc_lo
	s_xor_b32 s15, exec_lo, s15
; %bb.635:                              ;   in Loop: Header=BB12_130 Depth=2
	v_bfe_u32 v6, v7, 16, 1
	s_delay_alu instid0(VALU_DEP_1)
	v_add3_u32 v6, v7, v6, 0x7fff
                                        ; implicit-def: $vgpr7
; %bb.636:                              ;   in Loop: Header=BB12_130 Depth=2
	s_and_not1_saveexec_b32 s15, s15
; %bb.637:                              ;   in Loop: Header=BB12_130 Depth=2
	v_and_b32_e32 v6, 0xffff, v7
	v_or_b32_e32 v8, 0x10000, v7
	s_delay_alu instid0(VALU_DEP_2) | instskip(NEXT) | instid1(VALU_DEP_2)
	v_cmp_eq_u32_e32 vcc_lo, 0, v6
	v_cndmask_b32_e32 v6, v8, v7, vcc_lo
; %bb.638:                              ;   in Loop: Header=BB12_130 Depth=2
	s_or_b32 exec_lo, exec_lo, s15
	v_and_b32_e32 v7, 0xffff0000, v81
	v_lshlrev_b32_e32 v8, 16, v35
	s_delay_alu instid0(VALU_DEP_1) | instskip(NEXT) | instid1(VALU_DEP_1)
	v_add_f32_e32 v8, v8, v7
	v_and_b32_e32 v7, 0x7f800000, v8
	s_delay_alu instid0(VALU_DEP_1) | instskip(SKIP_1) | instid1(SALU_CYCLE_1)
	v_cmp_ne_u32_e32 vcc_lo, 0x7f800000, v7
                                        ; implicit-def: $vgpr7
	s_and_saveexec_b32 s15, vcc_lo
	s_xor_b32 s15, exec_lo, s15
; %bb.639:                              ;   in Loop: Header=BB12_130 Depth=2
	v_bfe_u32 v7, v8, 16, 1
	s_delay_alu instid0(VALU_DEP_1)
	v_add3_u32 v7, v8, v7, 0x7fff
                                        ; implicit-def: $vgpr8
; %bb.640:                              ;   in Loop: Header=BB12_130 Depth=2
	s_and_not1_saveexec_b32 s15, s15
; %bb.641:                              ;   in Loop: Header=BB12_130 Depth=2
	v_and_b32_e32 v7, 0xffff, v8
	v_or_b32_e32 v9, 0x10000, v8
	s_delay_alu instid0(VALU_DEP_2) | instskip(NEXT) | instid1(VALU_DEP_2)
	v_cmp_eq_u32_e32 vcc_lo, 0, v7
	v_cndmask_b32_e32 v7, v9, v8, vcc_lo
; %bb.642:                              ;   in Loop: Header=BB12_130 Depth=2
	s_or_b32 exec_lo, exec_lo, s15
	v_and_b32_e32 v8, 0xffff0000, v35
	v_and_b32_e32 v1, 0xffff0000, v1
	s_delay_alu instid0(VALU_DEP_1) | instskip(NEXT) | instid1(VALU_DEP_1)
	v_add_f32_e32 v8, v8, v1
	v_and_b32_e32 v1, 0x7f800000, v8
	s_delay_alu instid0(VALU_DEP_1) | instskip(SKIP_1) | instid1(SALU_CYCLE_1)
	v_cmp_ne_u32_e32 vcc_lo, 0x7f800000, v1
                                        ; implicit-def: $vgpr1
	s_and_saveexec_b32 s15, vcc_lo
	s_xor_b32 s15, exec_lo, s15
; %bb.643:                              ;   in Loop: Header=BB12_130 Depth=2
	v_bfe_u32 v1, v8, 16, 1
	s_delay_alu instid0(VALU_DEP_1)
	v_add3_u32 v1, v8, v1, 0x7fff
                                        ; implicit-def: $vgpr8
; %bb.644:                              ;   in Loop: Header=BB12_130 Depth=2
	s_and_not1_saveexec_b32 s15, s15
	s_cbranch_execz .LBB12_129
; %bb.645:                              ;   in Loop: Header=BB12_130 Depth=2
	v_and_b32_e32 v1, 0xffff, v8
	v_or_b32_e32 v9, 0x10000, v8
	s_delay_alu instid0(VALU_DEP_2) | instskip(NEXT) | instid1(VALU_DEP_2)
	v_cmp_eq_u32_e32 vcc_lo, 0, v1
	v_cndmask_b32_e32 v1, v9, v8, vcc_lo
	s_branch .LBB12_129
.LBB12_646:                             ;   in Loop: Header=BB12_49 Depth=1
	v_dual_mov_b32 v0, v100 :: v_dual_mov_b32 v19, v121
	s_and_saveexec_b32 s14, s13
	s_cbranch_execnz .LBB12_1118
	s_branch .LBB12_1549
.LBB12_647:                             ;   in Loop: Header=BB12_49 Depth=1
	s_or_b32 exec_lo, exec_lo, s11
	s_clause 0x6
	scratch_load_b32 v100, off, s33 offset:344
	scratch_load_b32 v57, off, s33 offset:368
	scratch_load_b64 v[104:105], off, s33 offset:376
	scratch_load_b64 v[124:125], off, s33 offset:384
	scratch_load_b32 v103, off, s33 offset:348
	scratch_load_b32 v112, off, s33 offset:356
	;; [unrolled: 1-line block ×3, first 2 shown]
	v_dual_lshlrev_b32 v59, 9, v72 :: v_dual_lshlrev_b32 v90, 6, v72
	v_dual_mov_b32 v101, 1 :: v_dual_mov_b32 v102, 0x90
	s_and_b32 s11, s12, exec_lo
.LBB12_648:                             ;   in Loop: Header=BB12_49 Depth=1
	s_wait_xcnt 0x0
	s_or_b32 exec_lo, exec_lo, s10
	s_and_saveexec_b32 s10, s11
	s_cbranch_execz .LBB12_906
; %bb.649:                              ;   in Loop: Header=BB12_49 Depth=1
	s_trap 2
	ds_load_b32 v0, v0
	s_wait_dscnt 0x0
	v_lshlrev_b32_e32 v3, 16, v0
	s_delay_alu instid0(VALU_DEP_1) | instskip(NEXT) | instid1(VALU_DEP_1)
	v_dual_lshlrev_b32 v2, 16, v96 :: v_dual_mov_b32 v0, v3
	v_pk_mul_f32 v[32:33], v[0:1], v[2:3]
	s_delay_alu instid0(VALU_DEP_1) | instskip(NEXT) | instid1(VALU_DEP_1)
	v_and_b32_e32 v0, 0x7f800000, v32
	v_cmp_ne_u32_e32 vcc_lo, 0x7f800000, v0
                                        ; implicit-def: $vgpr0
	s_and_saveexec_b32 s11, vcc_lo
	s_delay_alu instid0(SALU_CYCLE_1)
	s_xor_b32 s11, exec_lo, s11
; %bb.650:                              ;   in Loop: Header=BB12_49 Depth=1
	v_bfe_u32 v0, v32, 16, 1
	s_delay_alu instid0(VALU_DEP_1)
	v_add3_u32 v0, v32, v0, 0x7fff
                                        ; implicit-def: $vgpr32_vgpr33
; %bb.651:                              ;   in Loop: Header=BB12_49 Depth=1
	s_and_not1_saveexec_b32 s11, s11
; %bb.652:                              ;   in Loop: Header=BB12_49 Depth=1
	v_and_b32_e32 v0, 0xffff, v32
	v_or_b32_e32 v1, 0x10000, v32
	s_delay_alu instid0(VALU_DEP_2) | instskip(NEXT) | instid1(VALU_DEP_2)
	v_cmp_eq_u32_e32 vcc_lo, 0, v0
	v_cndmask_b32_e32 v0, v1, v32, vcc_lo
; %bb.653:                              ;   in Loop: Header=BB12_49 Depth=1
	s_or_b32 exec_lo, exec_lo, s11
	v_and_b32_e32 v1, 0xffff0000, v96
	s_mov_b32 s11, exec_lo
                                        ; implicit-def: $vgpr86
	s_delay_alu instid0(VALU_DEP_1) | instskip(NEXT) | instid1(VALU_DEP_1)
	v_mul_f32_e32 v1, v3, v1
	v_and_b32_e32 v2, 0x7f800000, v1
	s_delay_alu instid0(VALU_DEP_1)
	v_cmpx_ne_u32_e32 0x7f800000, v2
	s_xor_b32 s11, exec_lo, s11
; %bb.654:                              ;   in Loop: Header=BB12_49 Depth=1
	v_bfe_u32 v2, v1, 16, 1
	s_delay_alu instid0(VALU_DEP_1)
	v_add3_u32 v86, v1, v2, 0x7fff
                                        ; implicit-def: $vgpr1
; %bb.655:                              ;   in Loop: Header=BB12_49 Depth=1
	s_and_not1_saveexec_b32 s11, s11
; %bb.656:                              ;   in Loop: Header=BB12_49 Depth=1
	v_and_b32_e32 v2, 0xffff, v1
	v_or_b32_e32 v4, 0x10000, v1
	s_delay_alu instid0(VALU_DEP_2) | instskip(NEXT) | instid1(VALU_DEP_2)
	v_cmp_eq_u32_e32 vcc_lo, 0, v2
	v_cndmask_b32_e32 v86, v4, v1, vcc_lo
; %bb.657:                              ;   in Loop: Header=BB12_49 Depth=1
	s_or_b32 exec_lo, exec_lo, s11
	v_lshlrev_b32_e32 v1, 16, v97
	s_mov_b32 s11, exec_lo
                                        ; implicit-def: $vgpr87
	s_delay_alu instid0(VALU_DEP_1) | instskip(NEXT) | instid1(VALU_DEP_1)
	v_mul_f32_e32 v1, v3, v1
	v_and_b32_e32 v2, 0x7f800000, v1
	s_delay_alu instid0(VALU_DEP_1)
	v_cmpx_ne_u32_e32 0x7f800000, v2
	s_xor_b32 s11, exec_lo, s11
; %bb.658:                              ;   in Loop: Header=BB12_49 Depth=1
	v_bfe_u32 v2, v1, 16, 1
	s_delay_alu instid0(VALU_DEP_1)
	v_add3_u32 v87, v1, v2, 0x7fff
                                        ; implicit-def: $vgpr1
; %bb.659:                              ;   in Loop: Header=BB12_49 Depth=1
	s_and_not1_saveexec_b32 s11, s11
; %bb.660:                              ;   in Loop: Header=BB12_49 Depth=1
	v_and_b32_e32 v2, 0xffff, v1
	v_or_b32_e32 v4, 0x10000, v1
	s_delay_alu instid0(VALU_DEP_2) | instskip(NEXT) | instid1(VALU_DEP_2)
	v_cmp_eq_u32_e32 vcc_lo, 0, v2
	v_cndmask_b32_e32 v87, v4, v1, vcc_lo
; %bb.661:                              ;   in Loop: Header=BB12_49 Depth=1
	s_or_b32 exec_lo, exec_lo, s11
	v_and_b32_e32 v1, 0xffff0000, v97
	s_mov_b32 s11, exec_lo
                                        ; implicit-def: $vgpr31
	s_delay_alu instid0(VALU_DEP_1) | instskip(NEXT) | instid1(VALU_DEP_1)
	v_mul_f32_e32 v1, v3, v1
	v_and_b32_e32 v2, 0x7f800000, v1
	s_delay_alu instid0(VALU_DEP_1)
	v_cmpx_ne_u32_e32 0x7f800000, v2
	s_xor_b32 s11, exec_lo, s11
; %bb.662:                              ;   in Loop: Header=BB12_49 Depth=1
	v_bfe_u32 v2, v1, 16, 1
	s_delay_alu instid0(VALU_DEP_1)
	v_add3_u32 v31, v1, v2, 0x7fff
                                        ; implicit-def: $vgpr1
; %bb.663:                              ;   in Loop: Header=BB12_49 Depth=1
	s_and_not1_saveexec_b32 s11, s11
; %bb.664:                              ;   in Loop: Header=BB12_49 Depth=1
	v_and_b32_e32 v2, 0xffff, v1
	v_or_b32_e32 v4, 0x10000, v1
	s_delay_alu instid0(VALU_DEP_2) | instskip(NEXT) | instid1(VALU_DEP_2)
	v_cmp_eq_u32_e32 vcc_lo, 0, v2
	v_cndmask_b32_e32 v31, v4, v1, vcc_lo
; %bb.665:                              ;   in Loop: Header=BB12_49 Depth=1
	s_or_b32 exec_lo, exec_lo, s11
	v_lshlrev_b32_e32 v1, 16, v98
	s_mov_b32 s11, exec_lo
                                        ; implicit-def: $vgpr85
	s_delay_alu instid0(VALU_DEP_1) | instskip(NEXT) | instid1(VALU_DEP_1)
	v_mul_f32_e32 v1, v3, v1
	v_and_b32_e32 v2, 0x7f800000, v1
	s_delay_alu instid0(VALU_DEP_1)
	v_cmpx_ne_u32_e32 0x7f800000, v2
	s_xor_b32 s11, exec_lo, s11
; %bb.666:                              ;   in Loop: Header=BB12_49 Depth=1
	v_bfe_u32 v2, v1, 16, 1
	s_delay_alu instid0(VALU_DEP_1)
	v_add3_u32 v85, v1, v2, 0x7fff
                                        ; implicit-def: $vgpr1
; %bb.667:                              ;   in Loop: Header=BB12_49 Depth=1
	s_and_not1_saveexec_b32 s11, s11
; %bb.668:                              ;   in Loop: Header=BB12_49 Depth=1
	v_and_b32_e32 v2, 0xffff, v1
	v_or_b32_e32 v4, 0x10000, v1
	s_delay_alu instid0(VALU_DEP_2) | instskip(NEXT) | instid1(VALU_DEP_2)
	v_cmp_eq_u32_e32 vcc_lo, 0, v2
	v_cndmask_b32_e32 v85, v4, v1, vcc_lo
; %bb.669:                              ;   in Loop: Header=BB12_49 Depth=1
	s_or_b32 exec_lo, exec_lo, s11
	v_and_b32_e32 v1, 0xffff0000, v98
	s_mov_b32 s11, exec_lo
                                        ; implicit-def: $vgpr83
	s_delay_alu instid0(VALU_DEP_1) | instskip(NEXT) | instid1(VALU_DEP_1)
	v_mul_f32_e32 v1, v3, v1
	v_and_b32_e32 v2, 0x7f800000, v1
	s_delay_alu instid0(VALU_DEP_1)
	v_cmpx_ne_u32_e32 0x7f800000, v2
	s_xor_b32 s11, exec_lo, s11
; %bb.670:                              ;   in Loop: Header=BB12_49 Depth=1
	v_bfe_u32 v2, v1, 16, 1
	s_delay_alu instid0(VALU_DEP_1)
	v_add3_u32 v83, v1, v2, 0x7fff
                                        ; implicit-def: $vgpr1
; %bb.671:                              ;   in Loop: Header=BB12_49 Depth=1
	s_and_not1_saveexec_b32 s11, s11
; %bb.672:                              ;   in Loop: Header=BB12_49 Depth=1
	v_and_b32_e32 v2, 0xffff, v1
	v_or_b32_e32 v4, 0x10000, v1
	s_delay_alu instid0(VALU_DEP_2) | instskip(NEXT) | instid1(VALU_DEP_2)
	v_cmp_eq_u32_e32 vcc_lo, 0, v2
	v_cndmask_b32_e32 v83, v4, v1, vcc_lo
; %bb.673:                              ;   in Loop: Header=BB12_49 Depth=1
	s_or_b32 exec_lo, exec_lo, s11
	v_lshlrev_b32_e32 v1, 16, v99
	s_mov_b32 s11, exec_lo
                                        ; implicit-def: $vgpr84
	s_delay_alu instid0(VALU_DEP_1) | instskip(NEXT) | instid1(VALU_DEP_1)
	v_mul_f32_e32 v1, v3, v1
	v_and_b32_e32 v2, 0x7f800000, v1
	s_delay_alu instid0(VALU_DEP_1)
	v_cmpx_ne_u32_e32 0x7f800000, v2
	s_xor_b32 s11, exec_lo, s11
; %bb.674:                              ;   in Loop: Header=BB12_49 Depth=1
	v_bfe_u32 v2, v1, 16, 1
	s_delay_alu instid0(VALU_DEP_1)
	v_add3_u32 v84, v1, v2, 0x7fff
                                        ; implicit-def: $vgpr1
; %bb.675:                              ;   in Loop: Header=BB12_49 Depth=1
	s_and_not1_saveexec_b32 s11, s11
; %bb.676:                              ;   in Loop: Header=BB12_49 Depth=1
	v_and_b32_e32 v2, 0xffff, v1
	v_or_b32_e32 v4, 0x10000, v1
	s_delay_alu instid0(VALU_DEP_2) | instskip(NEXT) | instid1(VALU_DEP_2)
	v_cmp_eq_u32_e32 vcc_lo, 0, v2
	v_cndmask_b32_e32 v84, v4, v1, vcc_lo
; %bb.677:                              ;   in Loop: Header=BB12_49 Depth=1
	s_or_b32 exec_lo, exec_lo, s11
	v_and_b32_e32 v1, 0xffff0000, v99
	s_mov_b32 s11, exec_lo
                                        ; implicit-def: $vgpr81
	s_delay_alu instid0(VALU_DEP_1) | instskip(NEXT) | instid1(VALU_DEP_1)
	v_mul_f32_e32 v1, v3, v1
	v_and_b32_e32 v2, 0x7f800000, v1
	s_delay_alu instid0(VALU_DEP_1)
	v_cmpx_ne_u32_e32 0x7f800000, v2
	s_xor_b32 s11, exec_lo, s11
; %bb.678:                              ;   in Loop: Header=BB12_49 Depth=1
	v_bfe_u32 v2, v1, 16, 1
	s_delay_alu instid0(VALU_DEP_1)
	v_add3_u32 v81, v1, v2, 0x7fff
                                        ; implicit-def: $vgpr1
; %bb.679:                              ;   in Loop: Header=BB12_49 Depth=1
	s_and_not1_saveexec_b32 s11, s11
; %bb.680:                              ;   in Loop: Header=BB12_49 Depth=1
	v_and_b32_e32 v2, 0xffff, v1
	v_or_b32_e32 v4, 0x10000, v1
	s_delay_alu instid0(VALU_DEP_2) | instskip(NEXT) | instid1(VALU_DEP_2)
	v_cmp_eq_u32_e32 vcc_lo, 0, v2
	v_cndmask_b32_e32 v81, v4, v1, vcc_lo
; %bb.681:                              ;   in Loop: Header=BB12_49 Depth=1
	s_or_b32 exec_lo, exec_lo, s11
	v_lshlrev_b32_e32 v1, 16, v68
	s_mov_b32 s11, exec_lo
                                        ; implicit-def: $vgpr82
	s_delay_alu instid0(VALU_DEP_1) | instskip(NEXT) | instid1(VALU_DEP_1)
	v_mul_f32_e32 v1, v3, v1
	v_and_b32_e32 v2, 0x7f800000, v1
	s_delay_alu instid0(VALU_DEP_1)
	v_cmpx_ne_u32_e32 0x7f800000, v2
	s_xor_b32 s11, exec_lo, s11
; %bb.682:                              ;   in Loop: Header=BB12_49 Depth=1
	v_bfe_u32 v2, v1, 16, 1
	s_delay_alu instid0(VALU_DEP_1)
	v_add3_u32 v82, v1, v2, 0x7fff
                                        ; implicit-def: $vgpr1
; %bb.683:                              ;   in Loop: Header=BB12_49 Depth=1
	s_and_not1_saveexec_b32 s11, s11
; %bb.684:                              ;   in Loop: Header=BB12_49 Depth=1
	v_and_b32_e32 v2, 0xffff, v1
	v_or_b32_e32 v4, 0x10000, v1
	s_delay_alu instid0(VALU_DEP_2) | instskip(NEXT) | instid1(VALU_DEP_2)
	v_cmp_eq_u32_e32 vcc_lo, 0, v2
	v_cndmask_b32_e32 v82, v4, v1, vcc_lo
; %bb.685:                              ;   in Loop: Header=BB12_49 Depth=1
	s_or_b32 exec_lo, exec_lo, s11
	v_and_b32_e32 v1, 0xffff0000, v68
	s_mov_b32 s11, exec_lo
                                        ; implicit-def: $vgpr68
	s_delay_alu instid0(VALU_DEP_1) | instskip(NEXT) | instid1(VALU_DEP_1)
	v_mul_f32_e32 v1, v3, v1
	v_and_b32_e32 v2, 0x7f800000, v1
	s_delay_alu instid0(VALU_DEP_1)
	v_cmpx_ne_u32_e32 0x7f800000, v2
	s_xor_b32 s11, exec_lo, s11
; %bb.686:                              ;   in Loop: Header=BB12_49 Depth=1
	v_bfe_u32 v2, v1, 16, 1
	s_delay_alu instid0(VALU_DEP_1)
	v_add3_u32 v68, v1, v2, 0x7fff
                                        ; implicit-def: $vgpr1
; %bb.687:                              ;   in Loop: Header=BB12_49 Depth=1
	s_and_not1_saveexec_b32 s11, s11
; %bb.688:                              ;   in Loop: Header=BB12_49 Depth=1
	v_and_b32_e32 v2, 0xffff, v1
	v_or_b32_e32 v4, 0x10000, v1
	s_delay_alu instid0(VALU_DEP_2) | instskip(NEXT) | instid1(VALU_DEP_2)
	v_cmp_eq_u32_e32 vcc_lo, 0, v2
	v_cndmask_b32_e32 v68, v4, v1, vcc_lo
; %bb.689:                              ;   in Loop: Header=BB12_49 Depth=1
	s_or_b32 exec_lo, exec_lo, s11
	v_lshlrev_b32_e32 v1, 16, v69
	s_mov_b32 s11, exec_lo
                                        ; implicit-def: $vgpr80
	s_delay_alu instid0(VALU_DEP_1) | instskip(NEXT) | instid1(VALU_DEP_1)
	v_mul_f32_e32 v1, v3, v1
	v_and_b32_e32 v2, 0x7f800000, v1
	s_delay_alu instid0(VALU_DEP_1)
	v_cmpx_ne_u32_e32 0x7f800000, v2
	s_xor_b32 s11, exec_lo, s11
; %bb.690:                              ;   in Loop: Header=BB12_49 Depth=1
	v_bfe_u32 v2, v1, 16, 1
	s_delay_alu instid0(VALU_DEP_1)
	v_add3_u32 v80, v1, v2, 0x7fff
                                        ; implicit-def: $vgpr1
; %bb.691:                              ;   in Loop: Header=BB12_49 Depth=1
	s_and_not1_saveexec_b32 s11, s11
; %bb.692:                              ;   in Loop: Header=BB12_49 Depth=1
	v_and_b32_e32 v2, 0xffff, v1
	v_or_b32_e32 v4, 0x10000, v1
	s_delay_alu instid0(VALU_DEP_2) | instskip(NEXT) | instid1(VALU_DEP_2)
	v_cmp_eq_u32_e32 vcc_lo, 0, v2
	v_cndmask_b32_e32 v80, v4, v1, vcc_lo
; %bb.693:                              ;   in Loop: Header=BB12_49 Depth=1
	s_or_b32 exec_lo, exec_lo, s11
	v_and_b32_e32 v1, 0xffff0000, v69
	s_mov_b32 s11, exec_lo
                                        ; implicit-def: $vgpr66
	s_delay_alu instid0(VALU_DEP_1) | instskip(NEXT) | instid1(VALU_DEP_1)
	v_mul_f32_e32 v1, v3, v1
	v_and_b32_e32 v2, 0x7f800000, v1
	s_delay_alu instid0(VALU_DEP_1)
	v_cmpx_ne_u32_e32 0x7f800000, v2
	s_xor_b32 s11, exec_lo, s11
; %bb.694:                              ;   in Loop: Header=BB12_49 Depth=1
	v_bfe_u32 v2, v1, 16, 1
	s_delay_alu instid0(VALU_DEP_1)
	v_add3_u32 v66, v1, v2, 0x7fff
                                        ; implicit-def: $vgpr1
; %bb.695:                              ;   in Loop: Header=BB12_49 Depth=1
	s_and_not1_saveexec_b32 s11, s11
; %bb.696:                              ;   in Loop: Header=BB12_49 Depth=1
	v_and_b32_e32 v2, 0xffff, v1
	v_or_b32_e32 v4, 0x10000, v1
	s_delay_alu instid0(VALU_DEP_2) | instskip(NEXT) | instid1(VALU_DEP_2)
	v_cmp_eq_u32_e32 vcc_lo, 0, v2
	v_cndmask_b32_e32 v66, v4, v1, vcc_lo
; %bb.697:                              ;   in Loop: Header=BB12_49 Depth=1
	s_or_b32 exec_lo, exec_lo, s11
	v_lshlrev_b32_e32 v1, 16, v70
	s_mov_b32 s11, exec_lo
                                        ; implicit-def: $vgpr67
	s_delay_alu instid0(VALU_DEP_1) | instskip(NEXT) | instid1(VALU_DEP_1)
	v_mul_f32_e32 v1, v3, v1
	v_and_b32_e32 v2, 0x7f800000, v1
	s_delay_alu instid0(VALU_DEP_1)
	v_cmpx_ne_u32_e32 0x7f800000, v2
	s_xor_b32 s11, exec_lo, s11
; %bb.698:                              ;   in Loop: Header=BB12_49 Depth=1
	v_bfe_u32 v2, v1, 16, 1
	s_delay_alu instid0(VALU_DEP_1)
	v_add3_u32 v67, v1, v2, 0x7fff
                                        ; implicit-def: $vgpr1
; %bb.699:                              ;   in Loop: Header=BB12_49 Depth=1
	s_and_not1_saveexec_b32 s11, s11
; %bb.700:                              ;   in Loop: Header=BB12_49 Depth=1
	v_and_b32_e32 v2, 0xffff, v1
	v_or_b32_e32 v4, 0x10000, v1
	s_delay_alu instid0(VALU_DEP_2) | instskip(NEXT) | instid1(VALU_DEP_2)
	v_cmp_eq_u32_e32 vcc_lo, 0, v2
	v_cndmask_b32_e32 v67, v4, v1, vcc_lo
; %bb.701:                              ;   in Loop: Header=BB12_49 Depth=1
	s_or_b32 exec_lo, exec_lo, s11
	v_and_b32_e32 v1, 0xffff0000, v70
	s_mov_b32 s11, exec_lo
                                        ; implicit-def: $vgpr64
	s_delay_alu instid0(VALU_DEP_1) | instskip(NEXT) | instid1(VALU_DEP_1)
	v_mul_f32_e32 v1, v3, v1
	v_and_b32_e32 v2, 0x7f800000, v1
	s_delay_alu instid0(VALU_DEP_1)
	v_cmpx_ne_u32_e32 0x7f800000, v2
	s_xor_b32 s11, exec_lo, s11
; %bb.702:                              ;   in Loop: Header=BB12_49 Depth=1
	v_bfe_u32 v2, v1, 16, 1
	s_delay_alu instid0(VALU_DEP_1)
	v_add3_u32 v64, v1, v2, 0x7fff
                                        ; implicit-def: $vgpr1
; %bb.703:                              ;   in Loop: Header=BB12_49 Depth=1
	s_and_not1_saveexec_b32 s11, s11
; %bb.704:                              ;   in Loop: Header=BB12_49 Depth=1
	v_and_b32_e32 v2, 0xffff, v1
	v_or_b32_e32 v4, 0x10000, v1
	s_delay_alu instid0(VALU_DEP_2) | instskip(NEXT) | instid1(VALU_DEP_2)
	v_cmp_eq_u32_e32 vcc_lo, 0, v2
	v_cndmask_b32_e32 v64, v4, v1, vcc_lo
; %bb.705:                              ;   in Loop: Header=BB12_49 Depth=1
	s_or_b32 exec_lo, exec_lo, s11
	v_lshlrev_b32_e32 v1, 16, v71
	s_mov_b32 s11, exec_lo
                                        ; implicit-def: $vgpr65
	s_delay_alu instid0(VALU_DEP_1) | instskip(NEXT) | instid1(VALU_DEP_1)
	v_mul_f32_e32 v1, v3, v1
	v_and_b32_e32 v2, 0x7f800000, v1
	s_delay_alu instid0(VALU_DEP_1)
	v_cmpx_ne_u32_e32 0x7f800000, v2
	s_xor_b32 s11, exec_lo, s11
; %bb.706:                              ;   in Loop: Header=BB12_49 Depth=1
	v_bfe_u32 v2, v1, 16, 1
	s_delay_alu instid0(VALU_DEP_1)
	v_add3_u32 v65, v1, v2, 0x7fff
                                        ; implicit-def: $vgpr1
; %bb.707:                              ;   in Loop: Header=BB12_49 Depth=1
	s_and_not1_saveexec_b32 s11, s11
; %bb.708:                              ;   in Loop: Header=BB12_49 Depth=1
	v_and_b32_e32 v2, 0xffff, v1
	v_or_b32_e32 v4, 0x10000, v1
	s_delay_alu instid0(VALU_DEP_2) | instskip(NEXT) | instid1(VALU_DEP_2)
	v_cmp_eq_u32_e32 vcc_lo, 0, v2
	v_cndmask_b32_e32 v65, v4, v1, vcc_lo
; %bb.709:                              ;   in Loop: Header=BB12_49 Depth=1
	s_or_b32 exec_lo, exec_lo, s11
	v_and_b32_e32 v1, 0xffff0000, v71
	s_mov_b32 s11, exec_lo
                                        ; implicit-def: $vgpr54
	s_delay_alu instid0(VALU_DEP_1) | instskip(NEXT) | instid1(VALU_DEP_1)
	v_mul_f32_e32 v1, v3, v1
	v_and_b32_e32 v2, 0x7f800000, v1
	s_delay_alu instid0(VALU_DEP_1)
	v_cmpx_ne_u32_e32 0x7f800000, v2
	s_xor_b32 s11, exec_lo, s11
; %bb.710:                              ;   in Loop: Header=BB12_49 Depth=1
	v_bfe_u32 v2, v1, 16, 1
	s_delay_alu instid0(VALU_DEP_1)
	v_add3_u32 v54, v1, v2, 0x7fff
                                        ; implicit-def: $vgpr1
; %bb.711:                              ;   in Loop: Header=BB12_49 Depth=1
	s_and_not1_saveexec_b32 s11, s11
; %bb.712:                              ;   in Loop: Header=BB12_49 Depth=1
	v_and_b32_e32 v2, 0xffff, v1
	v_or_b32_e32 v4, 0x10000, v1
	s_delay_alu instid0(VALU_DEP_2) | instskip(NEXT) | instid1(VALU_DEP_2)
	v_cmp_eq_u32_e32 vcc_lo, 0, v2
	v_cndmask_b32_e32 v54, v4, v1, vcc_lo
; %bb.713:                              ;   in Loop: Header=BB12_49 Depth=1
	s_or_b32 exec_lo, exec_lo, s11
	v_lshlrev_b32_e32 v1, 16, v48
	s_mov_b32 s11, exec_lo
                                        ; implicit-def: $vgpr55
	s_delay_alu instid0(VALU_DEP_1) | instskip(NEXT) | instid1(VALU_DEP_1)
	v_mul_f32_e32 v1, v3, v1
	v_and_b32_e32 v2, 0x7f800000, v1
	s_delay_alu instid0(VALU_DEP_1)
	v_cmpx_ne_u32_e32 0x7f800000, v2
	s_xor_b32 s11, exec_lo, s11
; %bb.714:                              ;   in Loop: Header=BB12_49 Depth=1
	v_bfe_u32 v2, v1, 16, 1
	s_delay_alu instid0(VALU_DEP_1)
	v_add3_u32 v55, v1, v2, 0x7fff
                                        ; implicit-def: $vgpr1
; %bb.715:                              ;   in Loop: Header=BB12_49 Depth=1
	s_and_not1_saveexec_b32 s11, s11
; %bb.716:                              ;   in Loop: Header=BB12_49 Depth=1
	v_and_b32_e32 v2, 0xffff, v1
	v_or_b32_e32 v4, 0x10000, v1
	s_delay_alu instid0(VALU_DEP_2) | instskip(NEXT) | instid1(VALU_DEP_2)
	v_cmp_eq_u32_e32 vcc_lo, 0, v2
	v_cndmask_b32_e32 v55, v4, v1, vcc_lo
; %bb.717:                              ;   in Loop: Header=BB12_49 Depth=1
	s_or_b32 exec_lo, exec_lo, s11
	v_and_b32_e32 v1, 0xffff0000, v48
	s_mov_b32 s11, exec_lo
                                        ; implicit-def: $vgpr52
	s_delay_alu instid0(VALU_DEP_1) | instskip(NEXT) | instid1(VALU_DEP_1)
	v_mul_f32_e32 v1, v3, v1
	v_and_b32_e32 v2, 0x7f800000, v1
	s_delay_alu instid0(VALU_DEP_1)
	v_cmpx_ne_u32_e32 0x7f800000, v2
	s_xor_b32 s11, exec_lo, s11
; %bb.718:                              ;   in Loop: Header=BB12_49 Depth=1
	v_bfe_u32 v2, v1, 16, 1
	s_delay_alu instid0(VALU_DEP_1)
	v_add3_u32 v52, v1, v2, 0x7fff
                                        ; implicit-def: $vgpr1
; %bb.719:                              ;   in Loop: Header=BB12_49 Depth=1
	s_and_not1_saveexec_b32 s11, s11
; %bb.720:                              ;   in Loop: Header=BB12_49 Depth=1
	v_and_b32_e32 v2, 0xffff, v1
	v_or_b32_e32 v4, 0x10000, v1
	s_delay_alu instid0(VALU_DEP_2) | instskip(NEXT) | instid1(VALU_DEP_2)
	v_cmp_eq_u32_e32 vcc_lo, 0, v2
	v_cndmask_b32_e32 v52, v4, v1, vcc_lo
; %bb.721:                              ;   in Loop: Header=BB12_49 Depth=1
	s_or_b32 exec_lo, exec_lo, s11
	v_lshlrev_b32_e32 v1, 16, v49
	s_mov_b32 s11, exec_lo
                                        ; implicit-def: $vgpr53
	s_delay_alu instid0(VALU_DEP_1) | instskip(NEXT) | instid1(VALU_DEP_1)
	v_mul_f32_e32 v1, v3, v1
	v_and_b32_e32 v2, 0x7f800000, v1
	s_delay_alu instid0(VALU_DEP_1)
	v_cmpx_ne_u32_e32 0x7f800000, v2
	s_xor_b32 s11, exec_lo, s11
; %bb.722:                              ;   in Loop: Header=BB12_49 Depth=1
	v_bfe_u32 v2, v1, 16, 1
	s_delay_alu instid0(VALU_DEP_1)
	v_add3_u32 v53, v1, v2, 0x7fff
                                        ; implicit-def: $vgpr1
; %bb.723:                              ;   in Loop: Header=BB12_49 Depth=1
	s_and_not1_saveexec_b32 s11, s11
; %bb.724:                              ;   in Loop: Header=BB12_49 Depth=1
	v_and_b32_e32 v2, 0xffff, v1
	v_or_b32_e32 v4, 0x10000, v1
	s_delay_alu instid0(VALU_DEP_2) | instskip(NEXT) | instid1(VALU_DEP_2)
	v_cmp_eq_u32_e32 vcc_lo, 0, v2
	v_cndmask_b32_e32 v53, v4, v1, vcc_lo
; %bb.725:                              ;   in Loop: Header=BB12_49 Depth=1
	s_or_b32 exec_lo, exec_lo, s11
	v_and_b32_e32 v1, 0xffff0000, v49
	s_mov_b32 s11, exec_lo
                                        ; implicit-def: $vgpr39
	s_delay_alu instid0(VALU_DEP_1) | instskip(NEXT) | instid1(VALU_DEP_1)
	v_mul_f32_e32 v1, v3, v1
	v_and_b32_e32 v2, 0x7f800000, v1
	s_delay_alu instid0(VALU_DEP_1)
	v_cmpx_ne_u32_e32 0x7f800000, v2
	s_xor_b32 s11, exec_lo, s11
; %bb.726:                              ;   in Loop: Header=BB12_49 Depth=1
	v_bfe_u32 v2, v1, 16, 1
	s_delay_alu instid0(VALU_DEP_1)
	v_add3_u32 v39, v1, v2, 0x7fff
                                        ; implicit-def: $vgpr1
; %bb.727:                              ;   in Loop: Header=BB12_49 Depth=1
	s_and_not1_saveexec_b32 s11, s11
; %bb.728:                              ;   in Loop: Header=BB12_49 Depth=1
	v_and_b32_e32 v2, 0xffff, v1
	v_or_b32_e32 v4, 0x10000, v1
	s_delay_alu instid0(VALU_DEP_2) | instskip(NEXT) | instid1(VALU_DEP_2)
	v_cmp_eq_u32_e32 vcc_lo, 0, v2
	v_cndmask_b32_e32 v39, v4, v1, vcc_lo
; %bb.729:                              ;   in Loop: Header=BB12_49 Depth=1
	s_or_b32 exec_lo, exec_lo, s11
	v_lshlrev_b32_e32 v1, 16, v50
	s_mov_b32 s11, exec_lo
                                        ; implicit-def: $vgpr48
	s_delay_alu instid0(VALU_DEP_1) | instskip(NEXT) | instid1(VALU_DEP_1)
	v_mul_f32_e32 v1, v3, v1
	v_and_b32_e32 v2, 0x7f800000, v1
	s_delay_alu instid0(VALU_DEP_1)
	v_cmpx_ne_u32_e32 0x7f800000, v2
	s_xor_b32 s11, exec_lo, s11
; %bb.730:                              ;   in Loop: Header=BB12_49 Depth=1
	v_bfe_u32 v2, v1, 16, 1
	s_delay_alu instid0(VALU_DEP_1)
	v_add3_u32 v48, v1, v2, 0x7fff
                                        ; implicit-def: $vgpr1
; %bb.731:                              ;   in Loop: Header=BB12_49 Depth=1
	s_and_not1_saveexec_b32 s11, s11
; %bb.732:                              ;   in Loop: Header=BB12_49 Depth=1
	v_and_b32_e32 v2, 0xffff, v1
	v_or_b32_e32 v4, 0x10000, v1
	s_delay_alu instid0(VALU_DEP_2) | instskip(NEXT) | instid1(VALU_DEP_2)
	v_cmp_eq_u32_e32 vcc_lo, 0, v2
	v_cndmask_b32_e32 v48, v4, v1, vcc_lo
; %bb.733:                              ;   in Loop: Header=BB12_49 Depth=1
	s_or_b32 exec_lo, exec_lo, s11
	v_and_b32_e32 v1, 0xffff0000, v50
	s_mov_b32 s11, exec_lo
                                        ; implicit-def: $vgpr37
	s_delay_alu instid0(VALU_DEP_1) | instskip(NEXT) | instid1(VALU_DEP_1)
	v_mul_f32_e32 v1, v3, v1
	v_and_b32_e32 v2, 0x7f800000, v1
	s_delay_alu instid0(VALU_DEP_1)
	v_cmpx_ne_u32_e32 0x7f800000, v2
	s_xor_b32 s11, exec_lo, s11
; %bb.734:                              ;   in Loop: Header=BB12_49 Depth=1
	v_bfe_u32 v2, v1, 16, 1
	s_delay_alu instid0(VALU_DEP_1)
	v_add3_u32 v37, v1, v2, 0x7fff
                                        ; implicit-def: $vgpr1
; %bb.735:                              ;   in Loop: Header=BB12_49 Depth=1
	s_and_not1_saveexec_b32 s11, s11
; %bb.736:                              ;   in Loop: Header=BB12_49 Depth=1
	v_and_b32_e32 v2, 0xffff, v1
	v_or_b32_e32 v4, 0x10000, v1
	s_delay_alu instid0(VALU_DEP_2) | instskip(NEXT) | instid1(VALU_DEP_2)
	v_cmp_eq_u32_e32 vcc_lo, 0, v2
	v_cndmask_b32_e32 v37, v4, v1, vcc_lo
; %bb.737:                              ;   in Loop: Header=BB12_49 Depth=1
	s_or_b32 exec_lo, exec_lo, s11
	v_lshlrev_b32_e32 v1, 16, v51
	s_mov_b32 s11, exec_lo
                                        ; implicit-def: $vgpr38
	s_delay_alu instid0(VALU_DEP_1) | instskip(NEXT) | instid1(VALU_DEP_1)
	v_mul_f32_e32 v1, v3, v1
	v_and_b32_e32 v2, 0x7f800000, v1
	s_delay_alu instid0(VALU_DEP_1)
	v_cmpx_ne_u32_e32 0x7f800000, v2
	s_xor_b32 s11, exec_lo, s11
; %bb.738:                              ;   in Loop: Header=BB12_49 Depth=1
	v_bfe_u32 v2, v1, 16, 1
	s_delay_alu instid0(VALU_DEP_1)
	v_add3_u32 v38, v1, v2, 0x7fff
                                        ; implicit-def: $vgpr1
; %bb.739:                              ;   in Loop: Header=BB12_49 Depth=1
	s_and_not1_saveexec_b32 s11, s11
; %bb.740:                              ;   in Loop: Header=BB12_49 Depth=1
	v_and_b32_e32 v2, 0xffff, v1
	v_or_b32_e32 v4, 0x10000, v1
	s_delay_alu instid0(VALU_DEP_2) | instskip(NEXT) | instid1(VALU_DEP_2)
	v_cmp_eq_u32_e32 vcc_lo, 0, v2
	v_cndmask_b32_e32 v38, v4, v1, vcc_lo
; %bb.741:                              ;   in Loop: Header=BB12_49 Depth=1
	s_or_b32 exec_lo, exec_lo, s11
	v_and_b32_e32 v1, 0xffff0000, v51
	s_mov_b32 s11, exec_lo
                                        ; implicit-def: $vgpr35
	s_delay_alu instid0(VALU_DEP_1) | instskip(NEXT) | instid1(VALU_DEP_1)
	v_mul_f32_e32 v1, v3, v1
	v_and_b32_e32 v2, 0x7f800000, v1
	s_delay_alu instid0(VALU_DEP_1)
	v_cmpx_ne_u32_e32 0x7f800000, v2
	s_xor_b32 s11, exec_lo, s11
; %bb.742:                              ;   in Loop: Header=BB12_49 Depth=1
	v_bfe_u32 v2, v1, 16, 1
	s_delay_alu instid0(VALU_DEP_1)
	v_add3_u32 v35, v1, v2, 0x7fff
                                        ; implicit-def: $vgpr1
; %bb.743:                              ;   in Loop: Header=BB12_49 Depth=1
	s_and_not1_saveexec_b32 s11, s11
; %bb.744:                              ;   in Loop: Header=BB12_49 Depth=1
	v_and_b32_e32 v2, 0xffff, v1
	v_or_b32_e32 v4, 0x10000, v1
	s_delay_alu instid0(VALU_DEP_2) | instskip(NEXT) | instid1(VALU_DEP_2)
	v_cmp_eq_u32_e32 vcc_lo, 0, v2
	v_cndmask_b32_e32 v35, v4, v1, vcc_lo
; %bb.745:                              ;   in Loop: Header=BB12_49 Depth=1
	s_or_b32 exec_lo, exec_lo, s11
	v_lshlrev_b32_e32 v1, 16, v26
	s_mov_b32 s11, exec_lo
                                        ; implicit-def: $vgpr36
	s_delay_alu instid0(VALU_DEP_1) | instskip(NEXT) | instid1(VALU_DEP_1)
	v_mul_f32_e32 v1, v3, v1
	v_and_b32_e32 v2, 0x7f800000, v1
	s_delay_alu instid0(VALU_DEP_1)
	v_cmpx_ne_u32_e32 0x7f800000, v2
	s_xor_b32 s11, exec_lo, s11
; %bb.746:                              ;   in Loop: Header=BB12_49 Depth=1
	v_bfe_u32 v2, v1, 16, 1
	s_delay_alu instid0(VALU_DEP_1)
	v_add3_u32 v36, v1, v2, 0x7fff
                                        ; implicit-def: $vgpr1
; %bb.747:                              ;   in Loop: Header=BB12_49 Depth=1
	s_and_not1_saveexec_b32 s11, s11
; %bb.748:                              ;   in Loop: Header=BB12_49 Depth=1
	v_and_b32_e32 v2, 0xffff, v1
	v_or_b32_e32 v4, 0x10000, v1
	s_delay_alu instid0(VALU_DEP_2) | instskip(NEXT) | instid1(VALU_DEP_2)
	v_cmp_eq_u32_e32 vcc_lo, 0, v2
	v_cndmask_b32_e32 v36, v4, v1, vcc_lo
; %bb.749:                              ;   in Loop: Header=BB12_49 Depth=1
	s_or_b32 exec_lo, exec_lo, s11
	v_and_b32_e32 v1, 0xffff0000, v26
	s_mov_b32 s11, exec_lo
                                        ; implicit-def: $vgpr33
	s_delay_alu instid0(VALU_DEP_1) | instskip(NEXT) | instid1(VALU_DEP_1)
	v_mul_f32_e32 v1, v3, v1
	v_and_b32_e32 v2, 0x7f800000, v1
	s_delay_alu instid0(VALU_DEP_1)
	v_cmpx_ne_u32_e32 0x7f800000, v2
	s_xor_b32 s11, exec_lo, s11
; %bb.750:                              ;   in Loop: Header=BB12_49 Depth=1
	v_bfe_u32 v2, v1, 16, 1
	s_delay_alu instid0(VALU_DEP_1)
	v_add3_u32 v33, v1, v2, 0x7fff
                                        ; implicit-def: $vgpr1
; %bb.751:                              ;   in Loop: Header=BB12_49 Depth=1
	s_and_not1_saveexec_b32 s11, s11
; %bb.752:                              ;   in Loop: Header=BB12_49 Depth=1
	v_and_b32_e32 v2, 0xffff, v1
	v_or_b32_e32 v4, 0x10000, v1
	s_delay_alu instid0(VALU_DEP_2) | instskip(NEXT) | instid1(VALU_DEP_2)
	v_cmp_eq_u32_e32 vcc_lo, 0, v2
	v_cndmask_b32_e32 v33, v4, v1, vcc_lo
; %bb.753:                              ;   in Loop: Header=BB12_49 Depth=1
	s_or_b32 exec_lo, exec_lo, s11
	v_lshlrev_b32_e32 v1, 16, v27
	s_mov_b32 s11, exec_lo
                                        ; implicit-def: $vgpr34
	s_delay_alu instid0(VALU_DEP_1) | instskip(NEXT) | instid1(VALU_DEP_1)
	v_mul_f32_e32 v1, v3, v1
	v_and_b32_e32 v2, 0x7f800000, v1
	s_delay_alu instid0(VALU_DEP_1)
	v_cmpx_ne_u32_e32 0x7f800000, v2
	s_xor_b32 s11, exec_lo, s11
; %bb.754:                              ;   in Loop: Header=BB12_49 Depth=1
	v_bfe_u32 v2, v1, 16, 1
	s_delay_alu instid0(VALU_DEP_1)
	v_add3_u32 v34, v1, v2, 0x7fff
                                        ; implicit-def: $vgpr1
; %bb.755:                              ;   in Loop: Header=BB12_49 Depth=1
	s_and_not1_saveexec_b32 s11, s11
; %bb.756:                              ;   in Loop: Header=BB12_49 Depth=1
	v_and_b32_e32 v2, 0xffff, v1
	v_or_b32_e32 v4, 0x10000, v1
	s_delay_alu instid0(VALU_DEP_2) | instskip(NEXT) | instid1(VALU_DEP_2)
	v_cmp_eq_u32_e32 vcc_lo, 0, v2
	v_cndmask_b32_e32 v34, v4, v1, vcc_lo
; %bb.757:                              ;   in Loop: Header=BB12_49 Depth=1
	s_or_b32 exec_lo, exec_lo, s11
	v_and_b32_e32 v1, 0xffff0000, v27
	s_mov_b32 s11, exec_lo
                                        ; implicit-def: $vgpr27
	s_delay_alu instid0(VALU_DEP_1) | instskip(NEXT) | instid1(VALU_DEP_1)
	v_mul_f32_e32 v1, v3, v1
	v_and_b32_e32 v2, 0x7f800000, v1
	s_delay_alu instid0(VALU_DEP_1)
	v_cmpx_ne_u32_e32 0x7f800000, v2
	s_xor_b32 s11, exec_lo, s11
; %bb.758:                              ;   in Loop: Header=BB12_49 Depth=1
	v_bfe_u32 v2, v1, 16, 1
	s_delay_alu instid0(VALU_DEP_1)
	v_add3_u32 v27, v1, v2, 0x7fff
                                        ; implicit-def: $vgpr1
; %bb.759:                              ;   in Loop: Header=BB12_49 Depth=1
	s_and_not1_saveexec_b32 s11, s11
; %bb.760:                              ;   in Loop: Header=BB12_49 Depth=1
	v_and_b32_e32 v2, 0xffff, v1
	v_or_b32_e32 v4, 0x10000, v1
	s_delay_alu instid0(VALU_DEP_2) | instskip(NEXT) | instid1(VALU_DEP_2)
	v_cmp_eq_u32_e32 vcc_lo, 0, v2
	v_cndmask_b32_e32 v27, v4, v1, vcc_lo
; %bb.761:                              ;   in Loop: Header=BB12_49 Depth=1
	s_or_b32 exec_lo, exec_lo, s11
	v_lshlrev_b32_e32 v1, 16, v28
	s_mov_b32 s11, exec_lo
                                        ; implicit-def: $vgpr32
	s_delay_alu instid0(VALU_DEP_1) | instskip(NEXT) | instid1(VALU_DEP_1)
	v_mul_f32_e32 v1, v3, v1
	v_and_b32_e32 v2, 0x7f800000, v1
	s_delay_alu instid0(VALU_DEP_1)
	v_cmpx_ne_u32_e32 0x7f800000, v2
	s_xor_b32 s11, exec_lo, s11
; %bb.762:                              ;   in Loop: Header=BB12_49 Depth=1
	v_bfe_u32 v2, v1, 16, 1
	s_delay_alu instid0(VALU_DEP_1)
	v_add3_u32 v32, v1, v2, 0x7fff
                                        ; implicit-def: $vgpr1
; %bb.763:                              ;   in Loop: Header=BB12_49 Depth=1
	s_and_not1_saveexec_b32 s11, s11
; %bb.764:                              ;   in Loop: Header=BB12_49 Depth=1
	v_and_b32_e32 v2, 0xffff, v1
	v_or_b32_e32 v4, 0x10000, v1
	s_delay_alu instid0(VALU_DEP_2) | instskip(NEXT) | instid1(VALU_DEP_2)
	v_cmp_eq_u32_e32 vcc_lo, 0, v2
	v_cndmask_b32_e32 v32, v4, v1, vcc_lo
; %bb.765:                              ;   in Loop: Header=BB12_49 Depth=1
	s_or_b32 exec_lo, exec_lo, s11
	v_and_b32_e32 v1, 0xffff0000, v28
	s_delay_alu instid0(VALU_DEP_1) | instskip(NEXT) | instid1(VALU_DEP_1)
	v_mul_f32_e32 v1, v3, v1
	v_and_b32_e32 v2, 0x7f800000, v1
	s_delay_alu instid0(VALU_DEP_1) | instskip(SKIP_1) | instid1(SALU_CYCLE_1)
	v_cmp_ne_u32_e32 vcc_lo, 0x7f800000, v2
                                        ; implicit-def: $vgpr2
	s_and_saveexec_b32 s11, vcc_lo
	s_xor_b32 s11, exec_lo, s11
; %bb.766:                              ;   in Loop: Header=BB12_49 Depth=1
	v_bfe_u32 v2, v1, 16, 1
	s_delay_alu instid0(VALU_DEP_1)
	v_add3_u32 v2, v1, v2, 0x7fff
                                        ; implicit-def: $vgpr1
; %bb.767:                              ;   in Loop: Header=BB12_49 Depth=1
	s_and_not1_saveexec_b32 s11, s11
; %bb.768:                              ;   in Loop: Header=BB12_49 Depth=1
	v_and_b32_e32 v2, 0xffff, v1
	v_or_b32_e32 v4, 0x10000, v1
	s_delay_alu instid0(VALU_DEP_2) | instskip(NEXT) | instid1(VALU_DEP_2)
	v_cmp_eq_u32_e32 vcc_lo, 0, v2
	v_cndmask_b32_e32 v2, v4, v1, vcc_lo
; %bb.769:                              ;   in Loop: Header=BB12_49 Depth=1
	s_or_b32 exec_lo, exec_lo, s11
	v_lshlrev_b32_e32 v1, 16, v29
	s_mov_b32 s11, exec_lo
                                        ; implicit-def: $vgpr26
	s_delay_alu instid0(VALU_DEP_1) | instskip(NEXT) | instid1(VALU_DEP_1)
	v_mul_f32_e32 v1, v3, v1
	v_and_b32_e32 v4, 0x7f800000, v1
	s_delay_alu instid0(VALU_DEP_1)
	v_cmpx_ne_u32_e32 0x7f800000, v4
	s_xor_b32 s11, exec_lo, s11
; %bb.770:                              ;   in Loop: Header=BB12_49 Depth=1
	v_bfe_u32 v4, v1, 16, 1
	s_delay_alu instid0(VALU_DEP_1)
	v_add3_u32 v26, v1, v4, 0x7fff
                                        ; implicit-def: $vgpr1
; %bb.771:                              ;   in Loop: Header=BB12_49 Depth=1
	s_and_not1_saveexec_b32 s11, s11
; %bb.772:                              ;   in Loop: Header=BB12_49 Depth=1
	v_and_b32_e32 v4, 0xffff, v1
	v_or_b32_e32 v5, 0x10000, v1
	s_delay_alu instid0(VALU_DEP_2) | instskip(NEXT) | instid1(VALU_DEP_2)
	v_cmp_eq_u32_e32 vcc_lo, 0, v4
	v_cndmask_b32_e32 v26, v5, v1, vcc_lo
; %bb.773:                              ;   in Loop: Header=BB12_49 Depth=1
	s_or_b32 exec_lo, exec_lo, s11
	v_and_b32_e32 v1, 0xffff0000, v29
	s_delay_alu instid0(VALU_DEP_1) | instskip(NEXT) | instid1(VALU_DEP_1)
	v_mul_f32_e32 v3, v3, v1
	v_and_b32_e32 v1, 0x7f800000, v3
	s_delay_alu instid0(VALU_DEP_1) | instskip(SKIP_1) | instid1(SALU_CYCLE_1)
	v_cmp_ne_u32_e32 vcc_lo, 0x7f800000, v1
                                        ; implicit-def: $vgpr1
	s_and_saveexec_b32 s11, vcc_lo
	s_xor_b32 s11, exec_lo, s11
; %bb.774:                              ;   in Loop: Header=BB12_49 Depth=1
	v_bfe_u32 v1, v3, 16, 1
	s_delay_alu instid0(VALU_DEP_1)
	v_add3_u32 v1, v3, v1, 0x7fff
                                        ; implicit-def: $vgpr3
; %bb.775:                              ;   in Loop: Header=BB12_49 Depth=1
	s_and_not1_saveexec_b32 s11, s11
; %bb.776:                              ;   in Loop: Header=BB12_49 Depth=1
	v_and_b32_e32 v1, 0xffff, v3
	v_or_b32_e32 v4, 0x10000, v3
	s_delay_alu instid0(VALU_DEP_2) | instskip(NEXT) | instid1(VALU_DEP_2)
	v_cmp_eq_u32_e32 vcc_lo, 0, v1
	v_cndmask_b32_e32 v1, v4, v3, vcc_lo
; %bb.777:                              ;   in Loop: Header=BB12_49 Depth=1
	s_or_b32 exec_lo, exec_lo, s11
	v_and_b32_e32 v0, 0xffff0000, v0
	v_lshlrev_b32_e32 v3, 16, v22
	s_delay_alu instid0(VALU_DEP_1) | instskip(NEXT) | instid1(VALU_DEP_1)
	v_add_f32_e32 v3, v3, v0
	v_and_b32_e32 v0, 0x7f800000, v3
	s_delay_alu instid0(VALU_DEP_1) | instskip(SKIP_1) | instid1(SALU_CYCLE_1)
	v_cmp_ne_u32_e32 vcc_lo, 0x7f800000, v0
                                        ; implicit-def: $vgpr0
	s_and_saveexec_b32 s11, vcc_lo
	s_xor_b32 s11, exec_lo, s11
; %bb.778:                              ;   in Loop: Header=BB12_49 Depth=1
	v_bfe_u32 v0, v3, 16, 1
	s_delay_alu instid0(VALU_DEP_1)
	v_add3_u32 v0, v3, v0, 0x7fff
                                        ; implicit-def: $vgpr3
; %bb.779:                              ;   in Loop: Header=BB12_49 Depth=1
	s_and_not1_saveexec_b32 s11, s11
; %bb.780:                              ;   in Loop: Header=BB12_49 Depth=1
	v_and_b32_e32 v0, 0xffff, v3
	v_or_b32_e32 v4, 0x10000, v3
	s_delay_alu instid0(VALU_DEP_2) | instskip(NEXT) | instid1(VALU_DEP_2)
	v_cmp_eq_u32_e32 vcc_lo, 0, v0
	v_cndmask_b32_e32 v0, v4, v3, vcc_lo
; %bb.781:                              ;   in Loop: Header=BB12_49 Depth=1
	s_or_b32 exec_lo, exec_lo, s11
	v_and_b32_e32 v3, 0xffff0000, v22
	v_and_b32_e32 v4, 0xffff0000, v86
	s_delay_alu instid0(VALU_DEP_1) | instskip(NEXT) | instid1(VALU_DEP_1)
	v_add_f32_e32 v4, v3, v4
	v_and_b32_e32 v3, 0x7f800000, v4
	s_delay_alu instid0(VALU_DEP_1) | instskip(SKIP_1) | instid1(SALU_CYCLE_1)
	v_cmp_ne_u32_e32 vcc_lo, 0x7f800000, v3
                                        ; implicit-def: $vgpr3
	s_and_saveexec_b32 s11, vcc_lo
	s_xor_b32 s11, exec_lo, s11
; %bb.782:                              ;   in Loop: Header=BB12_49 Depth=1
	v_bfe_u32 v3, v4, 16, 1
	s_delay_alu instid0(VALU_DEP_1)
	v_add3_u32 v3, v4, v3, 0x7fff
                                        ; implicit-def: $vgpr4
; %bb.783:                              ;   in Loop: Header=BB12_49 Depth=1
	s_and_not1_saveexec_b32 s11, s11
; %bb.784:                              ;   in Loop: Header=BB12_49 Depth=1
	v_and_b32_e32 v3, 0xffff, v4
	v_or_b32_e32 v5, 0x10000, v4
	s_delay_alu instid0(VALU_DEP_2) | instskip(NEXT) | instid1(VALU_DEP_2)
	v_cmp_eq_u32_e32 vcc_lo, 0, v3
	v_cndmask_b32_e32 v3, v5, v4, vcc_lo
; %bb.785:                              ;   in Loop: Header=BB12_49 Depth=1
	s_or_b32 exec_lo, exec_lo, s11
	v_and_b32_e32 v4, 0xffff0000, v87
	v_lshlrev_b32_e32 v5, 16, v23
	s_mov_b32 s11, exec_lo
                                        ; implicit-def: $vgpr22
	s_delay_alu instid0(VALU_DEP_1) | instskip(NEXT) | instid1(VALU_DEP_1)
	v_add_f32_e32 v4, v5, v4
	v_and_b32_e32 v5, 0x7f800000, v4
	s_delay_alu instid0(VALU_DEP_1)
	v_cmpx_ne_u32_e32 0x7f800000, v5
	s_xor_b32 s11, exec_lo, s11
; %bb.786:                              ;   in Loop: Header=BB12_49 Depth=1
	v_bfe_u32 v5, v4, 16, 1
	s_delay_alu instid0(VALU_DEP_1)
	v_add3_u32 v22, v4, v5, 0x7fff
                                        ; implicit-def: $vgpr4
; %bb.787:                              ;   in Loop: Header=BB12_49 Depth=1
	s_and_not1_saveexec_b32 s11, s11
; %bb.788:                              ;   in Loop: Header=BB12_49 Depth=1
	v_and_b32_e32 v5, 0xffff, v4
	v_or_b32_e32 v6, 0x10000, v4
	s_delay_alu instid0(VALU_DEP_2) | instskip(NEXT) | instid1(VALU_DEP_2)
	v_cmp_eq_u32_e32 vcc_lo, 0, v5
	v_cndmask_b32_e32 v22, v6, v4, vcc_lo
; %bb.789:                              ;   in Loop: Header=BB12_49 Depth=1
	s_or_b32 exec_lo, exec_lo, s11
	v_and_b32_e32 v4, 0xffff0000, v23
	v_and_b32_e32 v5, 0xffff0000, v31
	s_mov_b32 s11, exec_lo
                                        ; implicit-def: $vgpr23
	s_delay_alu instid0(VALU_DEP_1) | instskip(NEXT) | instid1(VALU_DEP_1)
	v_add_f32_e32 v4, v4, v5
	v_and_b32_e32 v5, 0x7f800000, v4
	s_delay_alu instid0(VALU_DEP_1)
	v_cmpx_ne_u32_e32 0x7f800000, v5
	s_xor_b32 s11, exec_lo, s11
; %bb.790:                              ;   in Loop: Header=BB12_49 Depth=1
	v_bfe_u32 v5, v4, 16, 1
	s_delay_alu instid0(VALU_DEP_1)
	v_add3_u32 v23, v4, v5, 0x7fff
                                        ; implicit-def: $vgpr4
; %bb.791:                              ;   in Loop: Header=BB12_49 Depth=1
	s_and_not1_saveexec_b32 s11, s11
; %bb.792:                              ;   in Loop: Header=BB12_49 Depth=1
	v_and_b32_e32 v5, 0xffff, v4
	v_or_b32_e32 v6, 0x10000, v4
	s_delay_alu instid0(VALU_DEP_2) | instskip(NEXT) | instid1(VALU_DEP_2)
	v_cmp_eq_u32_e32 vcc_lo, 0, v5
	v_cndmask_b32_e32 v23, v6, v4, vcc_lo
; %bb.793:                              ;   in Loop: Header=BB12_49 Depth=1
	s_or_b32 exec_lo, exec_lo, s11
	v_and_b32_e32 v4, 0xffff0000, v85
	v_lshlrev_b32_e32 v5, 16, v24
	s_mov_b32 s11, exec_lo
                                        ; implicit-def: $vgpr28
	s_delay_alu instid0(VALU_DEP_1) | instskip(NEXT) | instid1(VALU_DEP_1)
	v_add_f32_e32 v4, v5, v4
	v_and_b32_e32 v5, 0x7f800000, v4
	s_delay_alu instid0(VALU_DEP_1)
	v_cmpx_ne_u32_e32 0x7f800000, v5
	s_xor_b32 s11, exec_lo, s11
; %bb.794:                              ;   in Loop: Header=BB12_49 Depth=1
	v_bfe_u32 v5, v4, 16, 1
	s_delay_alu instid0(VALU_DEP_1)
	v_add3_u32 v28, v4, v5, 0x7fff
                                        ; implicit-def: $vgpr4
; %bb.795:                              ;   in Loop: Header=BB12_49 Depth=1
	s_and_not1_saveexec_b32 s11, s11
; %bb.796:                              ;   in Loop: Header=BB12_49 Depth=1
	v_and_b32_e32 v5, 0xffff, v4
	v_or_b32_e32 v6, 0x10000, v4
	s_delay_alu instid0(VALU_DEP_2) | instskip(NEXT) | instid1(VALU_DEP_2)
	v_cmp_eq_u32_e32 vcc_lo, 0, v5
	v_cndmask_b32_e32 v28, v6, v4, vcc_lo
; %bb.797:                              ;   in Loop: Header=BB12_49 Depth=1
	s_or_b32 exec_lo, exec_lo, s11
	v_and_b32_e32 v4, 0xffff0000, v24
	v_and_b32_e32 v5, 0xffff0000, v83
	s_mov_b32 s11, exec_lo
                                        ; implicit-def: $vgpr24
	s_delay_alu instid0(VALU_DEP_1) | instskip(NEXT) | instid1(VALU_DEP_1)
	v_add_f32_e32 v4, v4, v5
	v_and_b32_e32 v5, 0x7f800000, v4
	s_delay_alu instid0(VALU_DEP_1)
	v_cmpx_ne_u32_e32 0x7f800000, v5
	s_xor_b32 s11, exec_lo, s11
; %bb.798:                              ;   in Loop: Header=BB12_49 Depth=1
	v_bfe_u32 v5, v4, 16, 1
	s_delay_alu instid0(VALU_DEP_1)
	v_add3_u32 v24, v4, v5, 0x7fff
                                        ; implicit-def: $vgpr4
; %bb.799:                              ;   in Loop: Header=BB12_49 Depth=1
	s_and_not1_saveexec_b32 s11, s11
; %bb.800:                              ;   in Loop: Header=BB12_49 Depth=1
	v_and_b32_e32 v5, 0xffff, v4
	v_or_b32_e32 v6, 0x10000, v4
	s_delay_alu instid0(VALU_DEP_2) | instskip(NEXT) | instid1(VALU_DEP_2)
	v_cmp_eq_u32_e32 vcc_lo, 0, v5
	v_cndmask_b32_e32 v24, v6, v4, vcc_lo
; %bb.801:                              ;   in Loop: Header=BB12_49 Depth=1
	s_or_b32 exec_lo, exec_lo, s11
	v_and_b32_e32 v4, 0xffff0000, v84
	v_lshlrev_b32_e32 v5, 16, v25
	s_mov_b32 s11, exec_lo
                                        ; implicit-def: $vgpr29
	s_delay_alu instid0(VALU_DEP_1) | instskip(NEXT) | instid1(VALU_DEP_1)
	v_add_f32_e32 v4, v5, v4
	v_and_b32_e32 v5, 0x7f800000, v4
	s_delay_alu instid0(VALU_DEP_1)
	v_cmpx_ne_u32_e32 0x7f800000, v5
	s_xor_b32 s11, exec_lo, s11
; %bb.802:                              ;   in Loop: Header=BB12_49 Depth=1
	v_bfe_u32 v5, v4, 16, 1
	s_delay_alu instid0(VALU_DEP_1)
	v_add3_u32 v29, v4, v5, 0x7fff
                                        ; implicit-def: $vgpr4
; %bb.803:                              ;   in Loop: Header=BB12_49 Depth=1
	s_and_not1_saveexec_b32 s11, s11
; %bb.804:                              ;   in Loop: Header=BB12_49 Depth=1
	v_and_b32_e32 v5, 0xffff, v4
	v_or_b32_e32 v6, 0x10000, v4
	s_delay_alu instid0(VALU_DEP_2) | instskip(NEXT) | instid1(VALU_DEP_2)
	v_cmp_eq_u32_e32 vcc_lo, 0, v5
	v_cndmask_b32_e32 v29, v6, v4, vcc_lo
; %bb.805:                              ;   in Loop: Header=BB12_49 Depth=1
	s_or_b32 exec_lo, exec_lo, s11
	v_and_b32_e32 v4, 0xffff0000, v25
	v_and_b32_e32 v5, 0xffff0000, v81
	s_mov_b32 s11, exec_lo
                                        ; implicit-def: $vgpr25
	s_delay_alu instid0(VALU_DEP_1) | instskip(NEXT) | instid1(VALU_DEP_1)
	v_add_f32_e32 v4, v4, v5
	v_and_b32_e32 v5, 0x7f800000, v4
	s_delay_alu instid0(VALU_DEP_1)
	v_cmpx_ne_u32_e32 0x7f800000, v5
	s_xor_b32 s11, exec_lo, s11
; %bb.806:                              ;   in Loop: Header=BB12_49 Depth=1
	v_bfe_u32 v5, v4, 16, 1
	s_delay_alu instid0(VALU_DEP_1)
	v_add3_u32 v25, v4, v5, 0x7fff
                                        ; implicit-def: $vgpr4
; %bb.807:                              ;   in Loop: Header=BB12_49 Depth=1
	s_and_not1_saveexec_b32 s11, s11
; %bb.808:                              ;   in Loop: Header=BB12_49 Depth=1
	v_and_b32_e32 v5, 0xffff, v4
	v_or_b32_e32 v6, 0x10000, v4
	s_delay_alu instid0(VALU_DEP_2) | instskip(NEXT) | instid1(VALU_DEP_2)
	v_cmp_eq_u32_e32 vcc_lo, 0, v5
	v_cndmask_b32_e32 v25, v6, v4, vcc_lo
; %bb.809:                              ;   in Loop: Header=BB12_49 Depth=1
	s_or_b32 exec_lo, exec_lo, s11
	v_and_b32_e32 v4, 0xffff0000, v82
	v_lshlrev_b32_e32 v5, 16, v18
	s_mov_b32 s11, exec_lo
                                        ; implicit-def: $vgpr31
	s_delay_alu instid0(VALU_DEP_1) | instskip(NEXT) | instid1(VALU_DEP_1)
	v_add_f32_e32 v4, v5, v4
	v_and_b32_e32 v5, 0x7f800000, v4
	s_delay_alu instid0(VALU_DEP_1)
	v_cmpx_ne_u32_e32 0x7f800000, v5
	s_xor_b32 s11, exec_lo, s11
; %bb.810:                              ;   in Loop: Header=BB12_49 Depth=1
	v_bfe_u32 v5, v4, 16, 1
	s_delay_alu instid0(VALU_DEP_1)
	v_add3_u32 v31, v4, v5, 0x7fff
                                        ; implicit-def: $vgpr4
; %bb.811:                              ;   in Loop: Header=BB12_49 Depth=1
	s_and_not1_saveexec_b32 s11, s11
; %bb.812:                              ;   in Loop: Header=BB12_49 Depth=1
	v_and_b32_e32 v5, 0xffff, v4
	v_or_b32_e32 v6, 0x10000, v4
	s_delay_alu instid0(VALU_DEP_2) | instskip(NEXT) | instid1(VALU_DEP_2)
	v_cmp_eq_u32_e32 vcc_lo, 0, v5
	v_cndmask_b32_e32 v31, v6, v4, vcc_lo
; %bb.813:                              ;   in Loop: Header=BB12_49 Depth=1
	s_or_b32 exec_lo, exec_lo, s11
	v_and_b32_e32 v4, 0xffff0000, v18
	v_and_b32_e32 v5, 0xffff0000, v68
	s_mov_b32 s11, exec_lo
                                        ; implicit-def: $vgpr18
	s_delay_alu instid0(VALU_DEP_1) | instskip(NEXT) | instid1(VALU_DEP_1)
	v_add_f32_e32 v4, v4, v5
	v_and_b32_e32 v5, 0x7f800000, v4
	s_delay_alu instid0(VALU_DEP_1)
	v_cmpx_ne_u32_e32 0x7f800000, v5
	s_xor_b32 s11, exec_lo, s11
; %bb.814:                              ;   in Loop: Header=BB12_49 Depth=1
	v_bfe_u32 v5, v4, 16, 1
	s_delay_alu instid0(VALU_DEP_1)
	v_add3_u32 v18, v4, v5, 0x7fff
                                        ; implicit-def: $vgpr4
; %bb.815:                              ;   in Loop: Header=BB12_49 Depth=1
	s_and_not1_saveexec_b32 s11, s11
; %bb.816:                              ;   in Loop: Header=BB12_49 Depth=1
	v_and_b32_e32 v5, 0xffff, v4
	v_or_b32_e32 v6, 0x10000, v4
	s_delay_alu instid0(VALU_DEP_2) | instskip(NEXT) | instid1(VALU_DEP_2)
	v_cmp_eq_u32_e32 vcc_lo, 0, v5
	v_cndmask_b32_e32 v18, v6, v4, vcc_lo
; %bb.817:                              ;   in Loop: Header=BB12_49 Depth=1
	s_or_b32 exec_lo, exec_lo, s11
	v_and_b32_e32 v4, 0xffff0000, v80
	v_lshlrev_b32_e32 v5, 16, v19
	s_mov_b32 s11, exec_lo
                                        ; implicit-def: $vgpr49
	s_delay_alu instid0(VALU_DEP_1) | instskip(NEXT) | instid1(VALU_DEP_1)
	v_add_f32_e32 v4, v5, v4
	v_and_b32_e32 v5, 0x7f800000, v4
	s_delay_alu instid0(VALU_DEP_1)
	v_cmpx_ne_u32_e32 0x7f800000, v5
	s_xor_b32 s11, exec_lo, s11
; %bb.818:                              ;   in Loop: Header=BB12_49 Depth=1
	v_bfe_u32 v5, v4, 16, 1
	s_delay_alu instid0(VALU_DEP_1)
	v_add3_u32 v49, v4, v5, 0x7fff
                                        ; implicit-def: $vgpr4
; %bb.819:                              ;   in Loop: Header=BB12_49 Depth=1
	s_and_not1_saveexec_b32 s11, s11
; %bb.820:                              ;   in Loop: Header=BB12_49 Depth=1
	v_and_b32_e32 v5, 0xffff, v4
	v_or_b32_e32 v6, 0x10000, v4
	s_delay_alu instid0(VALU_DEP_2) | instskip(NEXT) | instid1(VALU_DEP_2)
	v_cmp_eq_u32_e32 vcc_lo, 0, v5
	v_cndmask_b32_e32 v49, v6, v4, vcc_lo
; %bb.821:                              ;   in Loop: Header=BB12_49 Depth=1
	s_or_b32 exec_lo, exec_lo, s11
	v_and_b32_e32 v4, 0xffff0000, v19
	v_and_b32_e32 v5, 0xffff0000, v66
	s_mov_b32 s11, exec_lo
                                        ; implicit-def: $vgpr19
	s_delay_alu instid0(VALU_DEP_1) | instskip(NEXT) | instid1(VALU_DEP_1)
	v_add_f32_e32 v4, v4, v5
	v_and_b32_e32 v5, 0x7f800000, v4
	s_delay_alu instid0(VALU_DEP_1)
	v_cmpx_ne_u32_e32 0x7f800000, v5
	s_xor_b32 s11, exec_lo, s11
; %bb.822:                              ;   in Loop: Header=BB12_49 Depth=1
	v_bfe_u32 v5, v4, 16, 1
	s_delay_alu instid0(VALU_DEP_1)
	v_add3_u32 v19, v4, v5, 0x7fff
                                        ; implicit-def: $vgpr4
; %bb.823:                              ;   in Loop: Header=BB12_49 Depth=1
	s_and_not1_saveexec_b32 s11, s11
; %bb.824:                              ;   in Loop: Header=BB12_49 Depth=1
	v_and_b32_e32 v5, 0xffff, v4
	v_or_b32_e32 v6, 0x10000, v4
	s_delay_alu instid0(VALU_DEP_2) | instskip(NEXT) | instid1(VALU_DEP_2)
	v_cmp_eq_u32_e32 vcc_lo, 0, v5
	v_cndmask_b32_e32 v19, v6, v4, vcc_lo
; %bb.825:                              ;   in Loop: Header=BB12_49 Depth=1
	s_or_b32 exec_lo, exec_lo, s11
	v_and_b32_e32 v4, 0xffff0000, v67
	v_lshlrev_b32_e32 v5, 16, v20
	s_mov_b32 s11, exec_lo
                                        ; implicit-def: $vgpr50
	s_delay_alu instid0(VALU_DEP_1) | instskip(NEXT) | instid1(VALU_DEP_1)
	v_add_f32_e32 v4, v5, v4
	v_and_b32_e32 v5, 0x7f800000, v4
	s_delay_alu instid0(VALU_DEP_1)
	v_cmpx_ne_u32_e32 0x7f800000, v5
	s_xor_b32 s11, exec_lo, s11
; %bb.826:                              ;   in Loop: Header=BB12_49 Depth=1
	v_bfe_u32 v5, v4, 16, 1
	s_delay_alu instid0(VALU_DEP_1)
	v_add3_u32 v50, v4, v5, 0x7fff
                                        ; implicit-def: $vgpr4
; %bb.827:                              ;   in Loop: Header=BB12_49 Depth=1
	s_and_not1_saveexec_b32 s11, s11
; %bb.828:                              ;   in Loop: Header=BB12_49 Depth=1
	v_and_b32_e32 v5, 0xffff, v4
	v_or_b32_e32 v6, 0x10000, v4
	s_delay_alu instid0(VALU_DEP_2) | instskip(NEXT) | instid1(VALU_DEP_2)
	v_cmp_eq_u32_e32 vcc_lo, 0, v5
	v_cndmask_b32_e32 v50, v6, v4, vcc_lo
; %bb.829:                              ;   in Loop: Header=BB12_49 Depth=1
	s_or_b32 exec_lo, exec_lo, s11
	v_and_b32_e32 v4, 0xffff0000, v20
	v_and_b32_e32 v5, 0xffff0000, v64
	s_mov_b32 s11, exec_lo
                                        ; implicit-def: $vgpr20
	s_delay_alu instid0(VALU_DEP_1) | instskip(NEXT) | instid1(VALU_DEP_1)
	v_add_f32_e32 v4, v4, v5
	v_and_b32_e32 v5, 0x7f800000, v4
	s_delay_alu instid0(VALU_DEP_1)
	v_cmpx_ne_u32_e32 0x7f800000, v5
	s_xor_b32 s11, exec_lo, s11
; %bb.830:                              ;   in Loop: Header=BB12_49 Depth=1
	v_bfe_u32 v5, v4, 16, 1
	s_delay_alu instid0(VALU_DEP_1)
	v_add3_u32 v20, v4, v5, 0x7fff
                                        ; implicit-def: $vgpr4
; %bb.831:                              ;   in Loop: Header=BB12_49 Depth=1
	s_and_not1_saveexec_b32 s11, s11
; %bb.832:                              ;   in Loop: Header=BB12_49 Depth=1
	v_and_b32_e32 v5, 0xffff, v4
	v_or_b32_e32 v6, 0x10000, v4
	s_delay_alu instid0(VALU_DEP_2) | instskip(NEXT) | instid1(VALU_DEP_2)
	v_cmp_eq_u32_e32 vcc_lo, 0, v5
	v_cndmask_b32_e32 v20, v6, v4, vcc_lo
; %bb.833:                              ;   in Loop: Header=BB12_49 Depth=1
	s_or_b32 exec_lo, exec_lo, s11
	v_and_b32_e32 v4, 0xffff0000, v65
	v_lshlrev_b32_e32 v5, 16, v21
	s_mov_b32 s11, exec_lo
                                        ; implicit-def: $vgpr51
	s_delay_alu instid0(VALU_DEP_1) | instskip(NEXT) | instid1(VALU_DEP_1)
	v_add_f32_e32 v4, v5, v4
	v_and_b32_e32 v5, 0x7f800000, v4
	s_delay_alu instid0(VALU_DEP_1)
	v_cmpx_ne_u32_e32 0x7f800000, v5
	s_xor_b32 s11, exec_lo, s11
; %bb.834:                              ;   in Loop: Header=BB12_49 Depth=1
	v_bfe_u32 v5, v4, 16, 1
	s_delay_alu instid0(VALU_DEP_1)
	v_add3_u32 v51, v4, v5, 0x7fff
                                        ; implicit-def: $vgpr4
; %bb.835:                              ;   in Loop: Header=BB12_49 Depth=1
	s_and_not1_saveexec_b32 s11, s11
; %bb.836:                              ;   in Loop: Header=BB12_49 Depth=1
	v_and_b32_e32 v5, 0xffff, v4
	v_or_b32_e32 v6, 0x10000, v4
	s_delay_alu instid0(VALU_DEP_2) | instskip(NEXT) | instid1(VALU_DEP_2)
	v_cmp_eq_u32_e32 vcc_lo, 0, v5
	v_cndmask_b32_e32 v51, v6, v4, vcc_lo
; %bb.837:                              ;   in Loop: Header=BB12_49 Depth=1
	s_or_b32 exec_lo, exec_lo, s11
	v_and_b32_e32 v4, 0xffff0000, v21
	v_and_b32_e32 v5, 0xffff0000, v54
	s_delay_alu instid0(VALU_DEP_1) | instskip(NEXT) | instid1(VALU_DEP_1)
	v_add_f32_e32 v5, v4, v5
	v_and_b32_e32 v4, 0x7f800000, v5
	s_delay_alu instid0(VALU_DEP_1) | instskip(SKIP_1) | instid1(SALU_CYCLE_1)
	v_cmp_ne_u32_e32 vcc_lo, 0x7f800000, v4
                                        ; implicit-def: $vgpr4
	s_and_saveexec_b32 s11, vcc_lo
	s_xor_b32 s11, exec_lo, s11
; %bb.838:                              ;   in Loop: Header=BB12_49 Depth=1
	v_bfe_u32 v4, v5, 16, 1
	s_delay_alu instid0(VALU_DEP_1)
	v_add3_u32 v4, v5, v4, 0x7fff
                                        ; implicit-def: $vgpr5
; %bb.839:                              ;   in Loop: Header=BB12_49 Depth=1
	s_and_not1_saveexec_b32 s11, s11
; %bb.840:                              ;   in Loop: Header=BB12_49 Depth=1
	v_and_b32_e32 v4, 0xffff, v5
	v_or_b32_e32 v6, 0x10000, v5
	s_delay_alu instid0(VALU_DEP_2) | instskip(NEXT) | instid1(VALU_DEP_2)
	v_cmp_eq_u32_e32 vcc_lo, 0, v4
	v_cndmask_b32_e32 v4, v6, v5, vcc_lo
; %bb.841:                              ;   in Loop: Header=BB12_49 Depth=1
	s_or_b32 exec_lo, exec_lo, s11
	v_and_b32_e32 v5, 0xffff0000, v55
	v_lshlrev_b32_e32 v6, 16, v14
	s_delay_alu instid0(VALU_DEP_1) | instskip(NEXT) | instid1(VALU_DEP_1)
	v_add_f32_e32 v6, v6, v5
	v_and_b32_e32 v5, 0x7f800000, v6
	s_delay_alu instid0(VALU_DEP_1) | instskip(SKIP_1) | instid1(SALU_CYCLE_1)
	v_cmp_ne_u32_e32 vcc_lo, 0x7f800000, v5
                                        ; implicit-def: $vgpr5
	s_and_saveexec_b32 s11, vcc_lo
	s_xor_b32 s11, exec_lo, s11
; %bb.842:                              ;   in Loop: Header=BB12_49 Depth=1
	v_bfe_u32 v5, v6, 16, 1
	s_delay_alu instid0(VALU_DEP_1)
	v_add3_u32 v5, v6, v5, 0x7fff
                                        ; implicit-def: $vgpr6
; %bb.843:                              ;   in Loop: Header=BB12_49 Depth=1
	s_and_not1_saveexec_b32 s11, s11
; %bb.844:                              ;   in Loop: Header=BB12_49 Depth=1
	v_and_b32_e32 v5, 0xffff, v6
	v_or_b32_e32 v7, 0x10000, v6
	s_delay_alu instid0(VALU_DEP_2) | instskip(NEXT) | instid1(VALU_DEP_2)
	v_cmp_eq_u32_e32 vcc_lo, 0, v5
	v_cndmask_b32_e32 v5, v7, v6, vcc_lo
; %bb.845:                              ;   in Loop: Header=BB12_49 Depth=1
	s_or_b32 exec_lo, exec_lo, s11
	v_and_b32_e32 v6, 0xffff0000, v14
	v_and_b32_e32 v7, 0xffff0000, v52
	s_mov_b32 s11, exec_lo
                                        ; implicit-def: $vgpr14
	s_delay_alu instid0(VALU_DEP_1) | instskip(NEXT) | instid1(VALU_DEP_1)
	v_add_f32_e32 v6, v6, v7
	v_and_b32_e32 v7, 0x7f800000, v6
	s_delay_alu instid0(VALU_DEP_1)
	v_cmpx_ne_u32_e32 0x7f800000, v7
	s_xor_b32 s11, exec_lo, s11
; %bb.846:                              ;   in Loop: Header=BB12_49 Depth=1
	v_bfe_u32 v7, v6, 16, 1
	s_delay_alu instid0(VALU_DEP_1)
	v_add3_u32 v14, v6, v7, 0x7fff
                                        ; implicit-def: $vgpr6
; %bb.847:                              ;   in Loop: Header=BB12_49 Depth=1
	s_and_not1_saveexec_b32 s11, s11
; %bb.848:                              ;   in Loop: Header=BB12_49 Depth=1
	v_and_b32_e32 v7, 0xffff, v6
	v_or_b32_e32 v8, 0x10000, v6
	s_delay_alu instid0(VALU_DEP_2) | instskip(NEXT) | instid1(VALU_DEP_2)
	v_cmp_eq_u32_e32 vcc_lo, 0, v7
	v_cndmask_b32_e32 v14, v8, v6, vcc_lo
; %bb.849:                              ;   in Loop: Header=BB12_49 Depth=1
	s_or_b32 exec_lo, exec_lo, s11
	v_and_b32_e32 v6, 0xffff0000, v53
	v_lshlrev_b32_e32 v7, 16, v15
	s_mov_b32 s11, exec_lo
                                        ; implicit-def: $vgpr21
	s_delay_alu instid0(VALU_DEP_1) | instskip(NEXT) | instid1(VALU_DEP_1)
	v_add_f32_e32 v6, v7, v6
	v_and_b32_e32 v7, 0x7f800000, v6
	s_delay_alu instid0(VALU_DEP_1)
	v_cmpx_ne_u32_e32 0x7f800000, v7
	s_xor_b32 s11, exec_lo, s11
; %bb.850:                              ;   in Loop: Header=BB12_49 Depth=1
	v_bfe_u32 v7, v6, 16, 1
	s_delay_alu instid0(VALU_DEP_1)
	v_add3_u32 v21, v6, v7, 0x7fff
                                        ; implicit-def: $vgpr6
; %bb.851:                              ;   in Loop: Header=BB12_49 Depth=1
	s_and_not1_saveexec_b32 s11, s11
; %bb.852:                              ;   in Loop: Header=BB12_49 Depth=1
	v_and_b32_e32 v7, 0xffff, v6
	v_or_b32_e32 v8, 0x10000, v6
	s_delay_alu instid0(VALU_DEP_2) | instskip(NEXT) | instid1(VALU_DEP_2)
	v_cmp_eq_u32_e32 vcc_lo, 0, v7
	v_cndmask_b32_e32 v21, v8, v6, vcc_lo
; %bb.853:                              ;   in Loop: Header=BB12_49 Depth=1
	s_or_b32 exec_lo, exec_lo, s11
	v_and_b32_e32 v6, 0xffff0000, v15
	v_and_b32_e32 v7, 0xffff0000, v39
	s_mov_b32 s11, exec_lo
                                        ; implicit-def: $vgpr15
	s_delay_alu instid0(VALU_DEP_1) | instskip(NEXT) | instid1(VALU_DEP_1)
	v_add_f32_e32 v6, v6, v7
	v_and_b32_e32 v7, 0x7f800000, v6
	s_delay_alu instid0(VALU_DEP_1)
	v_cmpx_ne_u32_e32 0x7f800000, v7
	s_xor_b32 s11, exec_lo, s11
; %bb.854:                              ;   in Loop: Header=BB12_49 Depth=1
	v_bfe_u32 v7, v6, 16, 1
	s_delay_alu instid0(VALU_DEP_1)
	v_add3_u32 v15, v6, v7, 0x7fff
                                        ; implicit-def: $vgpr6
; %bb.855:                              ;   in Loop: Header=BB12_49 Depth=1
	s_and_not1_saveexec_b32 s11, s11
; %bb.856:                              ;   in Loop: Header=BB12_49 Depth=1
	v_and_b32_e32 v7, 0xffff, v6
	v_or_b32_e32 v8, 0x10000, v6
	s_delay_alu instid0(VALU_DEP_2) | instskip(NEXT) | instid1(VALU_DEP_2)
	v_cmp_eq_u32_e32 vcc_lo, 0, v7
	v_cndmask_b32_e32 v15, v8, v6, vcc_lo
; %bb.857:                              ;   in Loop: Header=BB12_49 Depth=1
	s_or_b32 exec_lo, exec_lo, s11
	v_and_b32_e32 v6, 0xffff0000, v48
	v_lshlrev_b32_e32 v7, 16, v16
	s_mov_b32 s11, exec_lo
                                        ; implicit-def: $vgpr39
	s_delay_alu instid0(VALU_DEP_1) | instskip(NEXT) | instid1(VALU_DEP_1)
	v_add_f32_e32 v6, v7, v6
	v_and_b32_e32 v7, 0x7f800000, v6
	s_delay_alu instid0(VALU_DEP_1)
	v_cmpx_ne_u32_e32 0x7f800000, v7
	s_xor_b32 s11, exec_lo, s11
; %bb.858:                              ;   in Loop: Header=BB12_49 Depth=1
	v_bfe_u32 v7, v6, 16, 1
	s_delay_alu instid0(VALU_DEP_1)
	v_add3_u32 v39, v6, v7, 0x7fff
                                        ; implicit-def: $vgpr6
; %bb.859:                              ;   in Loop: Header=BB12_49 Depth=1
	s_and_not1_saveexec_b32 s11, s11
; %bb.860:                              ;   in Loop: Header=BB12_49 Depth=1
	v_and_b32_e32 v7, 0xffff, v6
	v_or_b32_e32 v8, 0x10000, v6
	s_delay_alu instid0(VALU_DEP_2) | instskip(NEXT) | instid1(VALU_DEP_2)
	v_cmp_eq_u32_e32 vcc_lo, 0, v7
	v_cndmask_b32_e32 v39, v8, v6, vcc_lo
; %bb.861:                              ;   in Loop: Header=BB12_49 Depth=1
	s_or_b32 exec_lo, exec_lo, s11
	v_and_b32_e32 v6, 0xffff0000, v16
	v_and_b32_e32 v7, 0xffff0000, v37
	s_mov_b32 s11, exec_lo
                                        ; implicit-def: $vgpr16
	s_delay_alu instid0(VALU_DEP_1) | instskip(NEXT) | instid1(VALU_DEP_1)
	v_add_f32_e32 v6, v6, v7
	v_and_b32_e32 v7, 0x7f800000, v6
	s_delay_alu instid0(VALU_DEP_1)
	v_cmpx_ne_u32_e32 0x7f800000, v7
	s_xor_b32 s11, exec_lo, s11
; %bb.862:                              ;   in Loop: Header=BB12_49 Depth=1
	v_bfe_u32 v7, v6, 16, 1
	s_delay_alu instid0(VALU_DEP_1)
	v_add3_u32 v16, v6, v7, 0x7fff
                                        ; implicit-def: $vgpr6
; %bb.863:                              ;   in Loop: Header=BB12_49 Depth=1
	s_and_not1_saveexec_b32 s11, s11
; %bb.864:                              ;   in Loop: Header=BB12_49 Depth=1
	v_and_b32_e32 v7, 0xffff, v6
	v_or_b32_e32 v8, 0x10000, v6
	s_delay_alu instid0(VALU_DEP_2) | instskip(NEXT) | instid1(VALU_DEP_2)
	v_cmp_eq_u32_e32 vcc_lo, 0, v7
	v_cndmask_b32_e32 v16, v8, v6, vcc_lo
; %bb.865:                              ;   in Loop: Header=BB12_49 Depth=1
	s_or_b32 exec_lo, exec_lo, s11
	v_and_b32_e32 v6, 0xffff0000, v38
	v_lshlrev_b32_e32 v7, 16, v17
	s_mov_b32 s11, exec_lo
                                        ; implicit-def: $vgpr37
	s_delay_alu instid0(VALU_DEP_1) | instskip(NEXT) | instid1(VALU_DEP_1)
	v_add_f32_e32 v6, v7, v6
	v_and_b32_e32 v7, 0x7f800000, v6
	s_delay_alu instid0(VALU_DEP_1)
	v_cmpx_ne_u32_e32 0x7f800000, v7
	s_xor_b32 s11, exec_lo, s11
; %bb.866:                              ;   in Loop: Header=BB12_49 Depth=1
	v_bfe_u32 v7, v6, 16, 1
	s_delay_alu instid0(VALU_DEP_1)
	v_add3_u32 v37, v6, v7, 0x7fff
                                        ; implicit-def: $vgpr6
; %bb.867:                              ;   in Loop: Header=BB12_49 Depth=1
	s_and_not1_saveexec_b32 s11, s11
; %bb.868:                              ;   in Loop: Header=BB12_49 Depth=1
	v_and_b32_e32 v7, 0xffff, v6
	v_or_b32_e32 v8, 0x10000, v6
	s_delay_alu instid0(VALU_DEP_2) | instskip(NEXT) | instid1(VALU_DEP_2)
	v_cmp_eq_u32_e32 vcc_lo, 0, v7
	v_cndmask_b32_e32 v37, v8, v6, vcc_lo
; %bb.869:                              ;   in Loop: Header=BB12_49 Depth=1
	s_or_b32 exec_lo, exec_lo, s11
	v_and_b32_e32 v6, 0xffff0000, v17
	v_and_b32_e32 v7, 0xffff0000, v35
	s_mov_b32 s11, exec_lo
                                        ; implicit-def: $vgpr17
	s_delay_alu instid0(VALU_DEP_1) | instskip(NEXT) | instid1(VALU_DEP_1)
	v_add_f32_e32 v6, v6, v7
	v_and_b32_e32 v7, 0x7f800000, v6
	s_delay_alu instid0(VALU_DEP_1)
	v_cmpx_ne_u32_e32 0x7f800000, v7
	s_xor_b32 s11, exec_lo, s11
; %bb.870:                              ;   in Loop: Header=BB12_49 Depth=1
	v_bfe_u32 v7, v6, 16, 1
	s_delay_alu instid0(VALU_DEP_1)
	v_add3_u32 v17, v6, v7, 0x7fff
                                        ; implicit-def: $vgpr6
; %bb.871:                              ;   in Loop: Header=BB12_49 Depth=1
	s_and_not1_saveexec_b32 s11, s11
; %bb.872:                              ;   in Loop: Header=BB12_49 Depth=1
	v_and_b32_e32 v7, 0xffff, v6
	v_or_b32_e32 v8, 0x10000, v6
	s_delay_alu instid0(VALU_DEP_2) | instskip(NEXT) | instid1(VALU_DEP_2)
	v_cmp_eq_u32_e32 vcc_lo, 0, v7
	v_cndmask_b32_e32 v17, v8, v6, vcc_lo
; %bb.873:                              ;   in Loop: Header=BB12_49 Depth=1
	s_or_b32 exec_lo, exec_lo, s11
	v_and_b32_e32 v6, 0xffff0000, v36
	v_lshlrev_b32_e32 v7, 16, v10
	s_mov_b32 s11, exec_lo
                                        ; implicit-def: $vgpr35
	s_delay_alu instid0(VALU_DEP_1) | instskip(NEXT) | instid1(VALU_DEP_1)
	v_add_f32_e32 v6, v7, v6
	v_and_b32_e32 v7, 0x7f800000, v6
	s_delay_alu instid0(VALU_DEP_1)
	v_cmpx_ne_u32_e32 0x7f800000, v7
	s_xor_b32 s11, exec_lo, s11
; %bb.874:                              ;   in Loop: Header=BB12_49 Depth=1
	v_bfe_u32 v7, v6, 16, 1
	s_delay_alu instid0(VALU_DEP_1)
	v_add3_u32 v35, v6, v7, 0x7fff
                                        ; implicit-def: $vgpr6
; %bb.875:                              ;   in Loop: Header=BB12_49 Depth=1
	s_and_not1_saveexec_b32 s11, s11
; %bb.876:                              ;   in Loop: Header=BB12_49 Depth=1
	v_and_b32_e32 v7, 0xffff, v6
	v_or_b32_e32 v8, 0x10000, v6
	s_delay_alu instid0(VALU_DEP_2) | instskip(NEXT) | instid1(VALU_DEP_2)
	v_cmp_eq_u32_e32 vcc_lo, 0, v7
	v_cndmask_b32_e32 v35, v8, v6, vcc_lo
; %bb.877:                              ;   in Loop: Header=BB12_49 Depth=1
	s_or_b32 exec_lo, exec_lo, s11
	v_and_b32_e32 v6, 0xffff0000, v10
	v_and_b32_e32 v7, 0xffff0000, v33
	s_mov_b32 s11, exec_lo
                                        ; implicit-def: $vgpr10
	s_delay_alu instid0(VALU_DEP_1) | instskip(NEXT) | instid1(VALU_DEP_1)
	v_add_f32_e32 v6, v6, v7
	v_and_b32_e32 v7, 0x7f800000, v6
	s_delay_alu instid0(VALU_DEP_1)
	v_cmpx_ne_u32_e32 0x7f800000, v7
	s_xor_b32 s11, exec_lo, s11
; %bb.878:                              ;   in Loop: Header=BB12_49 Depth=1
	v_bfe_u32 v7, v6, 16, 1
	s_delay_alu instid0(VALU_DEP_1)
	v_add3_u32 v10, v6, v7, 0x7fff
                                        ; implicit-def: $vgpr6
; %bb.879:                              ;   in Loop: Header=BB12_49 Depth=1
	s_and_not1_saveexec_b32 s11, s11
; %bb.880:                              ;   in Loop: Header=BB12_49 Depth=1
	v_and_b32_e32 v7, 0xffff, v6
	v_or_b32_e32 v8, 0x10000, v6
	s_delay_alu instid0(VALU_DEP_2) | instskip(NEXT) | instid1(VALU_DEP_2)
	v_cmp_eq_u32_e32 vcc_lo, 0, v7
	v_cndmask_b32_e32 v10, v8, v6, vcc_lo
; %bb.881:                              ;   in Loop: Header=BB12_49 Depth=1
	s_or_b32 exec_lo, exec_lo, s11
	v_and_b32_e32 v6, 0xffff0000, v34
	v_lshlrev_b32_e32 v7, 16, v11
	s_mov_b32 s11, exec_lo
                                        ; implicit-def: $vgpr33
	s_delay_alu instid0(VALU_DEP_1) | instskip(NEXT) | instid1(VALU_DEP_1)
	v_add_f32_e32 v6, v7, v6
	v_and_b32_e32 v7, 0x7f800000, v6
	s_delay_alu instid0(VALU_DEP_1)
	v_cmpx_ne_u32_e32 0x7f800000, v7
	s_xor_b32 s11, exec_lo, s11
; %bb.882:                              ;   in Loop: Header=BB12_49 Depth=1
	v_bfe_u32 v7, v6, 16, 1
	s_delay_alu instid0(VALU_DEP_1)
	v_add3_u32 v33, v6, v7, 0x7fff
                                        ; implicit-def: $vgpr6
; %bb.883:                              ;   in Loop: Header=BB12_49 Depth=1
	s_and_not1_saveexec_b32 s11, s11
; %bb.884:                              ;   in Loop: Header=BB12_49 Depth=1
	v_and_b32_e32 v7, 0xffff, v6
	v_or_b32_e32 v8, 0x10000, v6
	s_delay_alu instid0(VALU_DEP_2) | instskip(NEXT) | instid1(VALU_DEP_2)
	v_cmp_eq_u32_e32 vcc_lo, 0, v7
	v_cndmask_b32_e32 v33, v8, v6, vcc_lo
; %bb.885:                              ;   in Loop: Header=BB12_49 Depth=1
	s_or_b32 exec_lo, exec_lo, s11
	v_and_b32_e32 v6, 0xffff0000, v11
	v_and_b32_e32 v7, 0xffff0000, v27
	s_mov_b32 s11, exec_lo
                                        ; implicit-def: $vgpr11
	s_delay_alu instid0(VALU_DEP_1) | instskip(NEXT) | instid1(VALU_DEP_1)
	v_add_f32_e32 v6, v6, v7
	v_and_b32_e32 v7, 0x7f800000, v6
	s_delay_alu instid0(VALU_DEP_1)
	v_cmpx_ne_u32_e32 0x7f800000, v7
	s_xor_b32 s11, exec_lo, s11
; %bb.886:                              ;   in Loop: Header=BB12_49 Depth=1
	v_bfe_u32 v7, v6, 16, 1
	s_delay_alu instid0(VALU_DEP_1)
	v_add3_u32 v11, v6, v7, 0x7fff
                                        ; implicit-def: $vgpr6
; %bb.887:                              ;   in Loop: Header=BB12_49 Depth=1
	s_and_not1_saveexec_b32 s11, s11
; %bb.888:                              ;   in Loop: Header=BB12_49 Depth=1
	v_and_b32_e32 v7, 0xffff, v6
	v_or_b32_e32 v8, 0x10000, v6
	s_delay_alu instid0(VALU_DEP_2) | instskip(NEXT) | instid1(VALU_DEP_2)
	v_cmp_eq_u32_e32 vcc_lo, 0, v7
	v_cndmask_b32_e32 v11, v8, v6, vcc_lo
; %bb.889:                              ;   in Loop: Header=BB12_49 Depth=1
	s_or_b32 exec_lo, exec_lo, s11
	v_and_b32_e32 v6, 0xffff0000, v32
	v_lshlrev_b32_e32 v7, 16, v12
	s_mov_b32 s11, exec_lo
                                        ; implicit-def: $vgpr27
	s_delay_alu instid0(VALU_DEP_1) | instskip(NEXT) | instid1(VALU_DEP_1)
	v_add_f32_e32 v6, v7, v6
	v_and_b32_e32 v7, 0x7f800000, v6
	s_delay_alu instid0(VALU_DEP_1)
	v_cmpx_ne_u32_e32 0x7f800000, v7
	s_xor_b32 s11, exec_lo, s11
; %bb.890:                              ;   in Loop: Header=BB12_49 Depth=1
	v_bfe_u32 v7, v6, 16, 1
	s_delay_alu instid0(VALU_DEP_1)
	v_add3_u32 v27, v6, v7, 0x7fff
                                        ; implicit-def: $vgpr6
; %bb.891:                              ;   in Loop: Header=BB12_49 Depth=1
	s_and_not1_saveexec_b32 s11, s11
; %bb.892:                              ;   in Loop: Header=BB12_49 Depth=1
	v_and_b32_e32 v7, 0xffff, v6
	v_or_b32_e32 v8, 0x10000, v6
	s_delay_alu instid0(VALU_DEP_2) | instskip(NEXT) | instid1(VALU_DEP_2)
	v_cmp_eq_u32_e32 vcc_lo, 0, v7
	v_cndmask_b32_e32 v27, v8, v6, vcc_lo
; %bb.893:                              ;   in Loop: Header=BB12_49 Depth=1
	s_or_b32 exec_lo, exec_lo, s11
	v_and_b32_e32 v6, 0xffff0000, v12
	v_and_b32_e32 v2, 0xffff0000, v2
	s_delay_alu instid0(VALU_DEP_1) | instskip(NEXT) | instid1(VALU_DEP_1)
	v_add_f32_e32 v6, v6, v2
	v_and_b32_e32 v2, 0x7f800000, v6
	s_delay_alu instid0(VALU_DEP_1) | instskip(SKIP_1) | instid1(SALU_CYCLE_1)
	v_cmp_ne_u32_e32 vcc_lo, 0x7f800000, v2
                                        ; implicit-def: $vgpr2
	s_and_saveexec_b32 s11, vcc_lo
	s_xor_b32 s11, exec_lo, s11
; %bb.894:                              ;   in Loop: Header=BB12_49 Depth=1
	v_bfe_u32 v2, v6, 16, 1
	s_delay_alu instid0(VALU_DEP_1)
	v_add3_u32 v2, v6, v2, 0x7fff
                                        ; implicit-def: $vgpr6
; %bb.895:                              ;   in Loop: Header=BB12_49 Depth=1
	s_and_not1_saveexec_b32 s11, s11
; %bb.896:                              ;   in Loop: Header=BB12_49 Depth=1
	v_and_b32_e32 v2, 0xffff, v6
	v_or_b32_e32 v7, 0x10000, v6
	s_delay_alu instid0(VALU_DEP_2) | instskip(NEXT) | instid1(VALU_DEP_2)
	v_cmp_eq_u32_e32 vcc_lo, 0, v2
	v_cndmask_b32_e32 v2, v7, v6, vcc_lo
; %bb.897:                              ;   in Loop: Header=BB12_49 Depth=1
	s_or_b32 exec_lo, exec_lo, s11
	v_and_b32_e32 v6, 0xffff0000, v26
	v_lshlrev_b32_e32 v7, 16, v13
	s_delay_alu instid0(VALU_DEP_1) | instskip(NEXT) | instid1(VALU_DEP_1)
	v_add_f32_e32 v7, v7, v6
	v_and_b32_e32 v6, 0x7f800000, v7
	s_delay_alu instid0(VALU_DEP_1) | instskip(SKIP_1) | instid1(SALU_CYCLE_1)
	v_cmp_ne_u32_e32 vcc_lo, 0x7f800000, v6
                                        ; implicit-def: $vgpr6
	s_and_saveexec_b32 s11, vcc_lo
	s_xor_b32 s11, exec_lo, s11
; %bb.898:                              ;   in Loop: Header=BB12_49 Depth=1
	v_bfe_u32 v6, v7, 16, 1
	s_delay_alu instid0(VALU_DEP_1)
	v_add3_u32 v6, v7, v6, 0x7fff
                                        ; implicit-def: $vgpr7
; %bb.899:                              ;   in Loop: Header=BB12_49 Depth=1
	s_and_not1_saveexec_b32 s11, s11
; %bb.900:                              ;   in Loop: Header=BB12_49 Depth=1
	v_and_b32_e32 v6, 0xffff, v7
	v_or_b32_e32 v8, 0x10000, v7
	s_delay_alu instid0(VALU_DEP_2) | instskip(NEXT) | instid1(VALU_DEP_2)
	v_cmp_eq_u32_e32 vcc_lo, 0, v6
	v_cndmask_b32_e32 v6, v8, v7, vcc_lo
; %bb.901:                              ;   in Loop: Header=BB12_49 Depth=1
	s_or_b32 exec_lo, exec_lo, s11
	v_and_b32_e32 v7, 0xffff0000, v13
	v_and_b32_e32 v1, 0xffff0000, v1
	s_delay_alu instid0(VALU_DEP_1) | instskip(NEXT) | instid1(VALU_DEP_1)
	v_add_f32_e32 v7, v7, v1
	v_and_b32_e32 v1, 0x7f800000, v7
	s_delay_alu instid0(VALU_DEP_1) | instskip(SKIP_1) | instid1(SALU_CYCLE_1)
	v_cmp_ne_u32_e32 vcc_lo, 0x7f800000, v1
                                        ; implicit-def: $vgpr1
	s_and_saveexec_b32 s11, vcc_lo
	s_xor_b32 s11, exec_lo, s11
; %bb.902:                              ;   in Loop: Header=BB12_49 Depth=1
	v_bfe_u32 v1, v7, 16, 1
	s_delay_alu instid0(VALU_DEP_1)
	v_add3_u32 v1, v7, v1, 0x7fff
                                        ; implicit-def: $vgpr7
; %bb.903:                              ;   in Loop: Header=BB12_49 Depth=1
	s_and_not1_saveexec_b32 s11, s11
; %bb.904:                              ;   in Loop: Header=BB12_49 Depth=1
	v_and_b32_e32 v1, 0xffff, v7
	v_or_b32_e32 v8, 0x10000, v7
	s_delay_alu instid0(VALU_DEP_2) | instskip(NEXT) | instid1(VALU_DEP_2)
	v_cmp_eq_u32_e32 vcc_lo, 0, v1
	v_cndmask_b32_e32 v1, v8, v7, vcc_lo
; %bb.905:                              ;   in Loop: Header=BB12_49 Depth=1
	s_or_b32 exec_lo, exec_lo, s11
	v_dual_lshrrev_b32 v7, 16, v21 :: v_dual_lshrrev_b32 v8, 16, v39
	v_lshrrev_b32_e32 v5, 16, v5
	v_lshrrev_b32_e32 v9, 16, v37
	;; [unrolled: 1-line block ×3, first 2 shown]
	s_delay_alu instid0(VALU_DEP_4)
	v_and_or_b32 v13, 0xffff0000, v15, v7
	v_lshrrev_b32_e32 v7, 16, v31
	v_and_or_b32 v12, 0xffff0000, v14, v5
	v_and_or_b32 v14, 0xffff0000, v16, v8
	v_lshrrev_b32_e32 v5, 16, v50
	v_dual_lshrrev_b32 v8, 16, v22 :: v_dual_lshrrev_b32 v0, 16, v0
	v_and_or_b32 v16, 0xffff0000, v18, v7
	v_lshrrev_b32_e32 v7, 16, v51
	v_and_or_b32 v15, 0xffff0000, v17, v9
	v_lshrrev_b32_e32 v9, 16, v28
	v_and_or_b32 v18, 0xffff0000, v20, v5
	v_and_or_b32 v20, 0xffff0000, v3, v0
	v_lshrrev_b32_e32 v0, 16, v29
	v_and_or_b32 v17, 0xffff0000, v19, v21
	v_and_or_b32 v19, 0xffff0000, v4, v7
	;; [unrolled: 1-line block ×3, first 2 shown]
	v_dual_lshrrev_b32 v3, 16, v33 :: v_dual_lshrrev_b32 v4, 16, v35
	v_dual_lshrrev_b32 v7, 16, v27 :: v_dual_lshrrev_b32 v8, 16, v6
	v_and_or_b32 v22, 0xffff0000, v24, v9
	v_and_or_b32 v23, 0xffff0000, v25, v0
	s_delay_alu instid0(VALU_DEP_4)
	v_and_or_b32 v5, 0xffff0000, v11, v3
	v_and_or_b32 v4, 0xffff0000, v10, v4
	;; [unrolled: 1-line block ×4, first 2 shown]
	s_clause 0x3
	global_store_b128 v[122:123], v[20:23], off th:TH_STORE_NT
	global_store_b128 v[122:123], v[16:19], off offset:512 th:TH_STORE_NT
	global_store_b128 v[122:123], v[12:15], off offset:1024 th:TH_STORE_NT
	;; [unrolled: 1-line block ×3, first 2 shown]
.LBB12_906:                             ;   in Loop: Header=BB12_49 Depth=1
	s_wait_xcnt 0x0
	s_or_b32 exec_lo, exec_lo, s10
	s_wait_loadcnt 0x0
	v_lshlrev_b32_e32 v20, 11, v113
	s_mov_b32 s28, exec_lo
                                        ; implicit-def: $vgpr18
                                        ; implicit-def: $vgpr0
                                        ; implicit-def: $vgpr19
	s_delay_alu instid0(VALU_DEP_1)
	v_cmpx_ne_u32_e64 v112, v20
	s_cbranch_execz .LBB12_1117
; %bb.907:                              ;   in Loop: Header=BB12_49 Depth=1
	v_dual_lshlrev_b32 v0, 5, v42 :: v_dual_sub_nc_u32 v2, v112, v20
	s_mov_b32 s12, 0
	s_mov_b32 s29, exec_lo
	s_delay_alu instid0(VALU_DEP_1) | instskip(NEXT) | instid1(VALU_DEP_1)
	v_dual_sub_nc_u32 v0, v121, v0 :: v_dual_ashrrev_i32 v4, 31, v2
	v_ashrrev_i32_e32 v1, 31, v0
	s_delay_alu instid0(VALU_DEP_1) | instskip(NEXT) | instid1(VALU_DEP_1)
	v_lshrrev_b32_e32 v1, 27, v1
	v_add_nc_u32_e32 v1, v0, v1
	s_delay_alu instid0(VALU_DEP_1) | instskip(NEXT) | instid1(VALU_DEP_1)
	v_and_b32_e32 v3, 0xffffffe0, v1
	v_dual_sub_nc_u32 v21, v0, v3 :: v_dual_lshrrev_b32 v0, 23, v4
	v_ashrrev_i32_e32 v1, 5, v1
	s_delay_alu instid0(VALU_DEP_2) | instskip(NEXT) | instid1(VALU_DEP_1)
	v_dual_lshlrev_b32 v3, 4, v21 :: v_dual_add_nc_u32 v0, v2, v0
	v_lshl_add_u32 v3, v1, 9, v3
	s_delay_alu instid0(VALU_DEP_2) | instskip(NEXT) | instid1(VALU_DEP_1)
	v_and_b32_e32 v22, 0xfffffe00, v0
	v_dual_add_nc_u32 v10, v3, v20 :: v_dual_sub_nc_u32 v23, v2, v22
	s_delay_alu instid0(VALU_DEP_1) | instskip(NEXT) | instid1(VALU_DEP_2)
	v_dual_ashrrev_i32 v0, 9, v0 :: v_dual_ashrrev_i32 v11, 31, v10
	v_cmp_lt_i32_e64 s10, 15, v23
	s_delay_alu instid0(VALU_DEP_1)
	v_add_co_ci_u32_e64 v4, null, 0, v0, s10
	v_sub_nc_u32_e32 v0, v2, v3
	scratch_load_b64 v[2:3], off, s33 offset:336 ; 8-byte Folded Reload
	v_sub_nc_u32_e32 v24, v4, v1
	s_wait_loadcnt 0x0
	v_add_nc_u64_e32 v[2:3], v[10:11], v[2:3]
	s_wait_xcnt 0x0
	v_cmpx_lt_i32_e32 15, v0
	s_cbranch_execz .LBB12_1048
; %bb.908:                              ;   in Loop: Header=BB12_49 Depth=1
	s_trap 2
	ds_load_b64 v[4:5], v0
	ds_load_b32 v1, v0
	scratch_load_b64 v[6:7], off, s33 offset:264 ; 8-byte Folded Reload
	s_mov_b32 s42, 0
	s_mov_b32 s40, 0
                                        ; implicit-def: $sgpr41
	s_wait_dscnt 0x1
	v_add_nc_u64_e32 v[16:17], v[4:5], v[10:11]
	s_wait_dscnt 0x0
	v_lshlrev_b32_e32 v1, 16, v1
	s_wait_loadcnt 0x0
	v_add_nc_u64_e32 v[14:15], v[10:11], v[6:7]
	s_branch .LBB12_910
.LBB12_909:                             ;   in Loop: Header=BB12_910 Depth=2
	s_or_b32 exec_lo, exec_lo, s11
	s_delay_alu instid0(VALU_DEP_2) | instskip(SKIP_3) | instid1(SALU_CYCLE_1)
	v_cmp_gt_i32_e32 vcc_lo, 16, v0
	s_or_b32 s40, vcc_lo, s40
	s_and_not1_b32 s11, s41, exec_lo
	s_and_b32 s12, s42, exec_lo
	s_or_b32 s41, s11, s12
	s_and_not1_b32 exec_lo, exec_lo, s40
	s_cbranch_execz .LBB12_1047
.LBB12_910:                             ;   Parent Loop BB12_49 Depth=1
                                        ; =>  This Loop Header: Depth=2
                                        ;       Child Loop BB12_911 Depth 3
                                        ;       Child Loop BB12_980 Depth 3
	s_add_co_i32 s11, s33, 0xc0
	s_mov_b64 s[14:15], 0
	s_mov_b32 s43, s11
	s_mov_b32 s44, -1
.LBB12_911:                             ;   Parent Loop BB12_49 Depth=1
                                        ;     Parent Loop BB12_910 Depth=2
                                        ; =>    This Inner Loop Header: Depth=3
	s_cmp_eq_u32 s14, 1
	s_cselect_b32 vcc_lo, -1, 0
	s_cmp_eq_u32 s14, 0
	v_dual_cndmask_b32 v9, v15, v17 :: v_dual_cndmask_b32 v8, v14, v16
	s_cselect_b32 s11, -1, 0
	s_and_b32 s12, exec_lo, s44
	s_mov_b64 s[14:15], 1
	s_mov_b32 s44, 0
	global_load_b128 v[4:7], v[8:9], off th:TH_LOAD_NT
	s_wait_xcnt 0x0
	v_add_nc_u64_e32 v[8:9], 0x200, v[8:9]
	s_delay_alu instid0(VALU_DEP_1)
	v_dual_cndmask_b32 v15, v15, v9, s11 :: v_dual_cndmask_b32 v14, v14, v8, s11
	v_dual_cndmask_b32 v17, v17, v9 :: v_dual_cndmask_b32 v16, v16, v8
	s_mov_b32 vcc_lo, s12
	s_wait_loadcnt 0x0
	scratch_store_b128 off, v[4:7], s43
	s_wait_xcnt 0x0
	s_mov_b32 s43, s24
	s_cbranch_vccnz .LBB12_911
; %bb.912:                              ;   in Loop: Header=BB12_910 Depth=2
	s_and_saveexec_b32 s11, s42
	s_cbranch_execz .LBB12_978
; %bb.913:                              ;   in Loop: Header=BB12_910 Depth=2
	scratch_load_b128 v[10:13], off, s33 offset:224
	s_wait_loadcnt 0x0
	v_lshlrev_b32_e32 v4, 16, v10
	s_delay_alu instid0(VALU_DEP_1) | instskip(NEXT) | instid1(VALU_DEP_1)
	v_mul_f32_e32 v4, v1, v4
	v_and_b32_e32 v5, 0x7f800000, v4
	s_delay_alu instid0(VALU_DEP_1) | instskip(SKIP_2) | instid1(SALU_CYCLE_1)
	v_cmp_ne_u32_e32 vcc_lo, 0x7f800000, v5
                                        ; implicit-def: $vgpr5
	s_wait_xcnt 0x0
	s_and_saveexec_b32 s12, vcc_lo
	s_xor_b32 s12, exec_lo, s12
; %bb.914:                              ;   in Loop: Header=BB12_910 Depth=2
	v_bfe_u32 v5, v4, 16, 1
	s_delay_alu instid0(VALU_DEP_1)
	v_add3_u32 v5, v4, v5, 0x7fff
                                        ; implicit-def: $vgpr4
; %bb.915:                              ;   in Loop: Header=BB12_910 Depth=2
	s_and_not1_saveexec_b32 s12, s12
; %bb.916:                              ;   in Loop: Header=BB12_910 Depth=2
	v_and_b32_e32 v5, 0xffff, v4
	v_or_b32_e32 v6, 0x10000, v4
	s_delay_alu instid0(VALU_DEP_2) | instskip(NEXT) | instid1(VALU_DEP_2)
	v_cmp_eq_u32_e32 vcc_lo, 0, v5
	v_cndmask_b32_e32 v5, v6, v4, vcc_lo
; %bb.917:                              ;   in Loop: Header=BB12_910 Depth=2
	s_or_b32 exec_lo, exec_lo, s12
	v_and_b32_e32 v4, 0xffff0000, v10
	s_mov_b32 s12, exec_lo
                                        ; implicit-def: $vgpr18
	s_delay_alu instid0(VALU_DEP_1) | instskip(NEXT) | instid1(VALU_DEP_1)
	v_mul_f32_e32 v4, v1, v4
	v_and_b32_e32 v6, 0x7f800000, v4
	s_delay_alu instid0(VALU_DEP_1)
	v_cmpx_ne_u32_e32 0x7f800000, v6
	s_xor_b32 s12, exec_lo, s12
; %bb.918:                              ;   in Loop: Header=BB12_910 Depth=2
	v_bfe_u32 v6, v4, 16, 1
	s_delay_alu instid0(VALU_DEP_1)
	v_add3_u32 v18, v4, v6, 0x7fff
                                        ; implicit-def: $vgpr4
; %bb.919:                              ;   in Loop: Header=BB12_910 Depth=2
	s_and_not1_saveexec_b32 s12, s12
; %bb.920:                              ;   in Loop: Header=BB12_910 Depth=2
	v_and_b32_e32 v6, 0xffff, v4
	v_or_b32_e32 v7, 0x10000, v4
	s_delay_alu instid0(VALU_DEP_2) | instskip(NEXT) | instid1(VALU_DEP_2)
	v_cmp_eq_u32_e32 vcc_lo, 0, v6
	v_cndmask_b32_e32 v18, v7, v4, vcc_lo
; %bb.921:                              ;   in Loop: Header=BB12_910 Depth=2
	s_or_b32 exec_lo, exec_lo, s12
	v_lshlrev_b32_e32 v4, 16, v11
	s_mov_b32 s12, exec_lo
                                        ; implicit-def: $vgpr29
	s_delay_alu instid0(VALU_DEP_1) | instskip(NEXT) | instid1(VALU_DEP_1)
	v_mul_f32_e32 v4, v1, v4
	v_and_b32_e32 v6, 0x7f800000, v4
	s_delay_alu instid0(VALU_DEP_1)
	v_cmpx_ne_u32_e32 0x7f800000, v6
	s_xor_b32 s12, exec_lo, s12
; %bb.922:                              ;   in Loop: Header=BB12_910 Depth=2
	v_bfe_u32 v6, v4, 16, 1
	s_delay_alu instid0(VALU_DEP_1)
	v_add3_u32 v29, v4, v6, 0x7fff
                                        ; implicit-def: $vgpr4
; %bb.923:                              ;   in Loop: Header=BB12_910 Depth=2
	s_and_not1_saveexec_b32 s12, s12
; %bb.924:                              ;   in Loop: Header=BB12_910 Depth=2
	v_and_b32_e32 v6, 0xffff, v4
	v_or_b32_e32 v7, 0x10000, v4
	s_delay_alu instid0(VALU_DEP_2) | instskip(NEXT) | instid1(VALU_DEP_2)
	v_cmp_eq_u32_e32 vcc_lo, 0, v6
	v_cndmask_b32_e32 v29, v7, v4, vcc_lo
; %bb.925:                              ;   in Loop: Header=BB12_910 Depth=2
	s_or_b32 exec_lo, exec_lo, s12
	v_and_b32_e32 v4, 0xffff0000, v11
	s_mov_b32 s12, exec_lo
                                        ; implicit-def: $vgpr27
	s_delay_alu instid0(VALU_DEP_1) | instskip(NEXT) | instid1(VALU_DEP_1)
	v_mul_f32_e32 v4, v1, v4
	v_and_b32_e32 v6, 0x7f800000, v4
	s_delay_alu instid0(VALU_DEP_1)
	v_cmpx_ne_u32_e32 0x7f800000, v6
	s_xor_b32 s12, exec_lo, s12
; %bb.926:                              ;   in Loop: Header=BB12_910 Depth=2
	v_bfe_u32 v6, v4, 16, 1
	s_delay_alu instid0(VALU_DEP_1)
	v_add3_u32 v27, v4, v6, 0x7fff
                                        ; implicit-def: $vgpr4
; %bb.927:                              ;   in Loop: Header=BB12_910 Depth=2
	s_and_not1_saveexec_b32 s12, s12
; %bb.928:                              ;   in Loop: Header=BB12_910 Depth=2
	v_and_b32_e32 v6, 0xffff, v4
	v_or_b32_e32 v7, 0x10000, v4
	s_delay_alu instid0(VALU_DEP_2) | instskip(NEXT) | instid1(VALU_DEP_2)
	v_cmp_eq_u32_e32 vcc_lo, 0, v6
	v_cndmask_b32_e32 v27, v7, v4, vcc_lo
; %bb.929:                              ;   in Loop: Header=BB12_910 Depth=2
	s_or_b32 exec_lo, exec_lo, s12
	v_lshlrev_b32_e32 v4, 16, v12
	s_mov_b32 s12, exec_lo
                                        ; implicit-def: $vgpr28
	s_delay_alu instid0(VALU_DEP_1) | instskip(NEXT) | instid1(VALU_DEP_1)
	v_mul_f32_e32 v4, v1, v4
	v_and_b32_e32 v6, 0x7f800000, v4
	s_delay_alu instid0(VALU_DEP_1)
	v_cmpx_ne_u32_e32 0x7f800000, v6
	s_xor_b32 s12, exec_lo, s12
; %bb.930:                              ;   in Loop: Header=BB12_910 Depth=2
	v_bfe_u32 v6, v4, 16, 1
	s_delay_alu instid0(VALU_DEP_1)
	v_add3_u32 v28, v4, v6, 0x7fff
                                        ; implicit-def: $vgpr4
; %bb.931:                              ;   in Loop: Header=BB12_910 Depth=2
	s_and_not1_saveexec_b32 s12, s12
; %bb.932:                              ;   in Loop: Header=BB12_910 Depth=2
	v_and_b32_e32 v6, 0xffff, v4
	v_or_b32_e32 v7, 0x10000, v4
	s_delay_alu instid0(VALU_DEP_2) | instskip(NEXT) | instid1(VALU_DEP_2)
	v_cmp_eq_u32_e32 vcc_lo, 0, v6
	v_cndmask_b32_e32 v28, v7, v4, vcc_lo
; %bb.933:                              ;   in Loop: Header=BB12_910 Depth=2
	s_or_b32 exec_lo, exec_lo, s12
	v_and_b32_e32 v4, 0xffff0000, v12
	s_mov_b32 s12, exec_lo
                                        ; implicit-def: $vgpr25
	s_delay_alu instid0(VALU_DEP_1) | instskip(NEXT) | instid1(VALU_DEP_1)
	v_mul_f32_e32 v4, v1, v4
	v_and_b32_e32 v6, 0x7f800000, v4
	s_delay_alu instid0(VALU_DEP_1)
	v_cmpx_ne_u32_e32 0x7f800000, v6
	s_xor_b32 s12, exec_lo, s12
; %bb.934:                              ;   in Loop: Header=BB12_910 Depth=2
	v_bfe_u32 v6, v4, 16, 1
	s_delay_alu instid0(VALU_DEP_1)
	v_add3_u32 v25, v4, v6, 0x7fff
                                        ; implicit-def: $vgpr4
; %bb.935:                              ;   in Loop: Header=BB12_910 Depth=2
	s_and_not1_saveexec_b32 s12, s12
; %bb.936:                              ;   in Loop: Header=BB12_910 Depth=2
	v_and_b32_e32 v6, 0xffff, v4
	v_or_b32_e32 v7, 0x10000, v4
	s_delay_alu instid0(VALU_DEP_2) | instskip(NEXT) | instid1(VALU_DEP_2)
	v_cmp_eq_u32_e32 vcc_lo, 0, v6
	v_cndmask_b32_e32 v25, v7, v4, vcc_lo
; %bb.937:                              ;   in Loop: Header=BB12_910 Depth=2
	s_or_b32 exec_lo, exec_lo, s12
	v_lshlrev_b32_e32 v4, 16, v13
	s_mov_b32 s12, exec_lo
                                        ; implicit-def: $vgpr26
	s_delay_alu instid0(VALU_DEP_1) | instskip(NEXT) | instid1(VALU_DEP_1)
	v_mul_f32_e32 v4, v1, v4
	v_and_b32_e32 v6, 0x7f800000, v4
	s_delay_alu instid0(VALU_DEP_1)
	v_cmpx_ne_u32_e32 0x7f800000, v6
	s_xor_b32 s12, exec_lo, s12
; %bb.938:                              ;   in Loop: Header=BB12_910 Depth=2
	v_bfe_u32 v6, v4, 16, 1
	s_delay_alu instid0(VALU_DEP_1)
	v_add3_u32 v26, v4, v6, 0x7fff
                                        ; implicit-def: $vgpr4
; %bb.939:                              ;   in Loop: Header=BB12_910 Depth=2
	s_and_not1_saveexec_b32 s12, s12
; %bb.940:                              ;   in Loop: Header=BB12_910 Depth=2
	v_and_b32_e32 v6, 0xffff, v4
	v_or_b32_e32 v7, 0x10000, v4
	s_delay_alu instid0(VALU_DEP_2) | instskip(NEXT) | instid1(VALU_DEP_2)
	v_cmp_eq_u32_e32 vcc_lo, 0, v6
	v_cndmask_b32_e32 v26, v7, v4, vcc_lo
; %bb.941:                              ;   in Loop: Header=BB12_910 Depth=2
	s_or_b32 exec_lo, exec_lo, s12
	v_and_b32_e32 v4, 0xffff0000, v13
	s_delay_alu instid0(VALU_DEP_1) | instskip(NEXT) | instid1(VALU_DEP_1)
	v_mul_f32_e32 v6, v1, v4
	v_and_b32_e32 v4, 0x7f800000, v6
	s_delay_alu instid0(VALU_DEP_1) | instskip(SKIP_1) | instid1(SALU_CYCLE_1)
	v_cmp_ne_u32_e32 vcc_lo, 0x7f800000, v4
                                        ; implicit-def: $vgpr4
	s_and_saveexec_b32 s12, vcc_lo
	s_xor_b32 s12, exec_lo, s12
; %bb.942:                              ;   in Loop: Header=BB12_910 Depth=2
	v_bfe_u32 v4, v6, 16, 1
	s_delay_alu instid0(VALU_DEP_1)
	v_add3_u32 v4, v6, v4, 0x7fff
                                        ; implicit-def: $vgpr6
; %bb.943:                              ;   in Loop: Header=BB12_910 Depth=2
	s_and_not1_saveexec_b32 s12, s12
; %bb.944:                              ;   in Loop: Header=BB12_910 Depth=2
	v_and_b32_e32 v4, 0xffff, v6
	v_or_b32_e32 v7, 0x10000, v6
	s_delay_alu instid0(VALU_DEP_2) | instskip(NEXT) | instid1(VALU_DEP_2)
	v_cmp_eq_u32_e32 vcc_lo, 0, v4
	v_cndmask_b32_e32 v4, v7, v6, vcc_lo
; %bb.945:                              ;   in Loop: Header=BB12_910 Depth=2
	s_or_b32 exec_lo, exec_lo, s12
	scratch_load_b128 v[10:13], off, s33 offset:240
	v_and_b32_e32 v5, 0xffff0000, v5
	s_wait_loadcnt 0x0
	v_lshlrev_b32_e32 v6, 16, v10
	s_delay_alu instid0(VALU_DEP_1) | instskip(NEXT) | instid1(VALU_DEP_1)
	v_add_f32_e32 v6, v5, v6
	v_and_b32_e32 v5, 0x7f800000, v6
	s_delay_alu instid0(VALU_DEP_1) | instskip(SKIP_2) | instid1(SALU_CYCLE_1)
	v_cmp_ne_u32_e32 vcc_lo, 0x7f800000, v5
                                        ; implicit-def: $vgpr5
	s_wait_xcnt 0x0
	s_and_saveexec_b32 s12, vcc_lo
	s_xor_b32 s12, exec_lo, s12
; %bb.946:                              ;   in Loop: Header=BB12_910 Depth=2
	v_bfe_u32 v5, v6, 16, 1
	s_delay_alu instid0(VALU_DEP_1)
	v_add3_u32 v5, v6, v5, 0x7fff
                                        ; implicit-def: $vgpr6
; %bb.947:                              ;   in Loop: Header=BB12_910 Depth=2
	s_and_not1_saveexec_b32 s12, s12
; %bb.948:                              ;   in Loop: Header=BB12_910 Depth=2
	v_and_b32_e32 v5, 0xffff, v6
	v_or_b32_e32 v7, 0x10000, v6
	s_delay_alu instid0(VALU_DEP_2) | instskip(NEXT) | instid1(VALU_DEP_2)
	v_cmp_eq_u32_e32 vcc_lo, 0, v5
	v_cndmask_b32_e32 v5, v7, v6, vcc_lo
; %bb.949:                              ;   in Loop: Header=BB12_910 Depth=2
	s_or_b32 exec_lo, exec_lo, s12
	v_and_b32_e32 v7, 0xffff0000, v10
	v_and_b32_e32 v6, 0xffff0000, v18
	s_mov_b32 s12, exec_lo
                                        ; implicit-def: $vgpr10
	s_delay_alu instid0(VALU_DEP_2) | instskip(NEXT) | instid1(VALU_DEP_1)
	v_mov_b32_e32 v8, v7
	v_pk_add_f32 v[18:19], v[8:9], v[6:7]
	s_delay_alu instid0(VALU_DEP_1) | instskip(NEXT) | instid1(VALU_DEP_1)
	v_and_b32_e32 v6, 0x7f800000, v18
	v_cmpx_ne_u32_e32 0x7f800000, v6
	s_xor_b32 s12, exec_lo, s12
; %bb.950:                              ;   in Loop: Header=BB12_910 Depth=2
	v_bfe_u32 v6, v18, 16, 1
	s_delay_alu instid0(VALU_DEP_1)
	v_add3_u32 v10, v18, v6, 0x7fff
                                        ; implicit-def: $vgpr18_vgpr19
; %bb.951:                              ;   in Loop: Header=BB12_910 Depth=2
	s_and_not1_saveexec_b32 s12, s12
; %bb.952:                              ;   in Loop: Header=BB12_910 Depth=2
	v_and_b32_e32 v6, 0xffff, v18
	v_or_b32_e32 v7, 0x10000, v18
	s_delay_alu instid0(VALU_DEP_2) | instskip(NEXT) | instid1(VALU_DEP_2)
	v_cmp_eq_u32_e32 vcc_lo, 0, v6
	v_cndmask_b32_e32 v10, v7, v18, vcc_lo
; %bb.953:                              ;   in Loop: Header=BB12_910 Depth=2
	s_or_b32 exec_lo, exec_lo, s12
	v_and_b32_e32 v6, 0xffff0000, v29
	v_lshlrev_b32_e32 v7, 16, v11
	s_mov_b32 s12, exec_lo
                                        ; implicit-def: $vgpr18
	s_delay_alu instid0(VALU_DEP_1) | instskip(NEXT) | instid1(VALU_DEP_1)
	v_add_f32_e32 v6, v6, v7
	v_and_b32_e32 v7, 0x7f800000, v6
	s_delay_alu instid0(VALU_DEP_1)
	v_cmpx_ne_u32_e32 0x7f800000, v7
	s_xor_b32 s12, exec_lo, s12
; %bb.954:                              ;   in Loop: Header=BB12_910 Depth=2
	v_bfe_u32 v7, v6, 16, 1
	s_delay_alu instid0(VALU_DEP_1)
	v_add3_u32 v18, v6, v7, 0x7fff
                                        ; implicit-def: $vgpr6
; %bb.955:                              ;   in Loop: Header=BB12_910 Depth=2
	s_and_not1_saveexec_b32 s12, s12
; %bb.956:                              ;   in Loop: Header=BB12_910 Depth=2
	v_and_b32_e32 v7, 0xffff, v6
	v_or_b32_e32 v8, 0x10000, v6
	s_delay_alu instid0(VALU_DEP_2) | instskip(NEXT) | instid1(VALU_DEP_2)
	v_cmp_eq_u32_e32 vcc_lo, 0, v7
	v_cndmask_b32_e32 v18, v8, v6, vcc_lo
; %bb.957:                              ;   in Loop: Header=BB12_910 Depth=2
	s_or_b32 exec_lo, exec_lo, s12
	v_and_b32_e32 v6, 0xffff0000, v11
	v_and_b32_e32 v7, 0xffff0000, v27
	s_mov_b32 s12, exec_lo
                                        ; implicit-def: $vgpr11
	s_delay_alu instid0(VALU_DEP_1) | instskip(NEXT) | instid1(VALU_DEP_1)
	v_add_f32_e32 v6, v7, v6
	v_and_b32_e32 v7, 0x7f800000, v6
	s_delay_alu instid0(VALU_DEP_1)
	v_cmpx_ne_u32_e32 0x7f800000, v7
	s_xor_b32 s12, exec_lo, s12
; %bb.958:                              ;   in Loop: Header=BB12_910 Depth=2
	v_bfe_u32 v7, v6, 16, 1
	s_delay_alu instid0(VALU_DEP_1)
	v_add3_u32 v11, v6, v7, 0x7fff
                                        ; implicit-def: $vgpr6
; %bb.959:                              ;   in Loop: Header=BB12_910 Depth=2
	s_and_not1_saveexec_b32 s12, s12
; %bb.960:                              ;   in Loop: Header=BB12_910 Depth=2
	v_and_b32_e32 v7, 0xffff, v6
	v_or_b32_e32 v8, 0x10000, v6
	s_delay_alu instid0(VALU_DEP_2) | instskip(NEXT) | instid1(VALU_DEP_2)
	v_cmp_eq_u32_e32 vcc_lo, 0, v7
	v_cndmask_b32_e32 v11, v8, v6, vcc_lo
; %bb.961:                              ;   in Loop: Header=BB12_910 Depth=2
	s_or_b32 exec_lo, exec_lo, s12
	v_and_b32_e32 v6, 0xffff0000, v28
	v_lshlrev_b32_e32 v7, 16, v12
	s_delay_alu instid0(VALU_DEP_1) | instskip(NEXT) | instid1(VALU_DEP_1)
	v_add_f32_e32 v7, v6, v7
	v_and_b32_e32 v6, 0x7f800000, v7
	s_delay_alu instid0(VALU_DEP_1) | instskip(SKIP_1) | instid1(SALU_CYCLE_1)
	v_cmp_ne_u32_e32 vcc_lo, 0x7f800000, v6
                                        ; implicit-def: $vgpr6
	s_and_saveexec_b32 s12, vcc_lo
	s_xor_b32 s12, exec_lo, s12
; %bb.962:                              ;   in Loop: Header=BB12_910 Depth=2
	v_bfe_u32 v6, v7, 16, 1
	s_delay_alu instid0(VALU_DEP_1)
	v_add3_u32 v6, v7, v6, 0x7fff
                                        ; implicit-def: $vgpr7
; %bb.963:                              ;   in Loop: Header=BB12_910 Depth=2
	s_and_not1_saveexec_b32 s12, s12
; %bb.964:                              ;   in Loop: Header=BB12_910 Depth=2
	v_and_b32_e32 v6, 0xffff, v7
	v_or_b32_e32 v8, 0x10000, v7
	s_delay_alu instid0(VALU_DEP_2) | instskip(NEXT) | instid1(VALU_DEP_2)
	v_cmp_eq_u32_e32 vcc_lo, 0, v6
	v_cndmask_b32_e32 v6, v8, v7, vcc_lo
; %bb.965:                              ;   in Loop: Header=BB12_910 Depth=2
	s_or_b32 exec_lo, exec_lo, s12
	v_and_b32_e32 v7, 0xffff0000, v12
	v_and_b32_e32 v8, 0xffff0000, v25
	s_delay_alu instid0(VALU_DEP_1) | instskip(NEXT) | instid1(VALU_DEP_1)
	v_add_f32_e32 v8, v8, v7
	v_and_b32_e32 v7, 0x7f800000, v8
	s_delay_alu instid0(VALU_DEP_1) | instskip(SKIP_1) | instid1(SALU_CYCLE_1)
	v_cmp_ne_u32_e32 vcc_lo, 0x7f800000, v7
                                        ; implicit-def: $vgpr7
	s_and_saveexec_b32 s12, vcc_lo
	s_xor_b32 s12, exec_lo, s12
; %bb.966:                              ;   in Loop: Header=BB12_910 Depth=2
	v_bfe_u32 v7, v8, 16, 1
	s_delay_alu instid0(VALU_DEP_1)
	v_add3_u32 v7, v8, v7, 0x7fff
                                        ; implicit-def: $vgpr8
; %bb.967:                              ;   in Loop: Header=BB12_910 Depth=2
	s_and_not1_saveexec_b32 s12, s12
; %bb.968:                              ;   in Loop: Header=BB12_910 Depth=2
	v_and_b32_e32 v7, 0xffff, v8
	v_or_b32_e32 v9, 0x10000, v8
	s_delay_alu instid0(VALU_DEP_2) | instskip(NEXT) | instid1(VALU_DEP_2)
	v_cmp_eq_u32_e32 vcc_lo, 0, v7
	v_cndmask_b32_e32 v7, v9, v8, vcc_lo
; %bb.969:                              ;   in Loop: Header=BB12_910 Depth=2
	s_or_b32 exec_lo, exec_lo, s12
	v_and_b32_e32 v8, 0xffff0000, v26
	v_lshlrev_b32_e32 v9, 16, v13
	s_delay_alu instid0(VALU_DEP_1) | instskip(NEXT) | instid1(VALU_DEP_1)
	v_add_f32_e32 v9, v8, v9
	v_and_b32_e32 v8, 0x7f800000, v9
	s_delay_alu instid0(VALU_DEP_1) | instskip(SKIP_1) | instid1(SALU_CYCLE_1)
	v_cmp_ne_u32_e32 vcc_lo, 0x7f800000, v8
                                        ; implicit-def: $vgpr8
	s_and_saveexec_b32 s12, vcc_lo
	s_xor_b32 s12, exec_lo, s12
; %bb.970:                              ;   in Loop: Header=BB12_910 Depth=2
	v_bfe_u32 v8, v9, 16, 1
	s_delay_alu instid0(VALU_DEP_1)
	v_add3_u32 v8, v9, v8, 0x7fff
                                        ; implicit-def: $vgpr9
; %bb.971:                              ;   in Loop: Header=BB12_910 Depth=2
	s_and_not1_saveexec_b32 s12, s12
; %bb.972:                              ;   in Loop: Header=BB12_910 Depth=2
	v_and_b32_e32 v8, 0xffff, v9
	v_or_b32_e32 v12, 0x10000, v9
	s_delay_alu instid0(VALU_DEP_2) | instskip(NEXT) | instid1(VALU_DEP_2)
	v_cmp_eq_u32_e32 vcc_lo, 0, v8
	v_cndmask_b32_e32 v8, v12, v9, vcc_lo
; %bb.973:                              ;   in Loop: Header=BB12_910 Depth=2
	s_or_b32 exec_lo, exec_lo, s12
	v_and_b32_e32 v9, 0xffff0000, v13
	v_and_b32_e32 v4, 0xffff0000, v4
	s_delay_alu instid0(VALU_DEP_1) | instskip(NEXT) | instid1(VALU_DEP_1)
	v_add_f32_e32 v9, v4, v9
	v_and_b32_e32 v4, 0x7f800000, v9
	s_delay_alu instid0(VALU_DEP_1) | instskip(SKIP_1) | instid1(SALU_CYCLE_1)
	v_cmp_ne_u32_e32 vcc_lo, 0x7f800000, v4
                                        ; implicit-def: $vgpr4
	s_and_saveexec_b32 s12, vcc_lo
	s_xor_b32 s12, exec_lo, s12
; %bb.974:                              ;   in Loop: Header=BB12_910 Depth=2
	v_bfe_u32 v4, v9, 16, 1
	s_delay_alu instid0(VALU_DEP_1)
	v_add3_u32 v4, v9, v4, 0x7fff
                                        ; implicit-def: $vgpr9
; %bb.975:                              ;   in Loop: Header=BB12_910 Depth=2
	s_and_not1_saveexec_b32 s12, s12
; %bb.976:                              ;   in Loop: Header=BB12_910 Depth=2
	v_and_b32_e32 v4, 0xffff, v9
	v_or_b32_e32 v12, 0x10000, v9
	s_delay_alu instid0(VALU_DEP_2) | instskip(NEXT) | instid1(VALU_DEP_2)
	v_cmp_eq_u32_e32 vcc_lo, 0, v4
	v_cndmask_b32_e32 v4, v12, v9, vcc_lo
; %bb.977:                              ;   in Loop: Header=BB12_910 Depth=2
	s_or_b32 exec_lo, exec_lo, s12
	v_dual_lshrrev_b32 v9, 16, v18 :: v_dual_lshrrev_b32 v5, 16, v5
	v_dual_lshrrev_b32 v6, 16, v6 :: v_dual_lshrrev_b32 v12, 16, v8
	s_delay_alu instid0(VALU_DEP_2) | instskip(NEXT) | instid1(VALU_DEP_3)
	v_and_or_b32 v9, 0xffff0000, v11, v9
	v_and_or_b32 v8, 0xffff0000, v10, v5
	s_delay_alu instid0(VALU_DEP_3)
	v_and_or_b32 v10, 0xffff0000, v7, v6
	v_add_nc_u64_e32 v[6:7], 0x200, v[104:105]
	v_and_or_b32 v11, 0xffff0000, v4, v12
	global_store_b128 v[2:3], v[8:11], off th:TH_STORE_NT
	s_wait_xcnt 0x0
	v_add_nc_u64_e32 v[2:3], v[6:7], v[2:3]
	scratch_store_b128 off, v[8:11], s33 offset:224
.LBB12_978:                             ;   in Loop: Header=BB12_910 Depth=2
	s_wait_xcnt 0x0
	s_or_b32 exec_lo, exec_lo, s11
	v_sub_nc_u32_e32 v0, v0, v59
	v_add_nc_u64_e32 v[14:15], v[14:15], v[104:105]
	v_add_nc_u64_e32 v[16:17], v[16:17], v[104:105]
	s_delay_alu instid0(VALU_DEP_3)
	v_cmp_lt_i32_e64 s42, 15, v0
	s_and_saveexec_b32 s43, s42
	s_cbranch_execz .LBB12_981
; %bb.979:                              ;   in Loop: Header=BB12_910 Depth=2
	s_add_co_i32 s11, s33, 0xe0
	s_mov_b64 s[14:15], 0
	s_mov_b32 s44, s11
	s_mov_b32 s45, -1
.LBB12_980:                             ;   Parent Loop BB12_49 Depth=1
                                        ;     Parent Loop BB12_910 Depth=2
                                        ; =>    This Inner Loop Header: Depth=3
	s_cmp_eq_u32 s14, 1
	s_cselect_b32 vcc_lo, -1, 0
	s_cmp_eq_u32 s14, 0
	v_dual_cndmask_b32 v9, v15, v17 :: v_dual_cndmask_b32 v8, v14, v16
	s_cselect_b32 s11, -1, 0
	s_and_b32 s12, exec_lo, s45
	s_mov_b64 s[14:15], 1
	s_mov_b32 s45, 0
	global_load_b128 v[4:7], v[8:9], off th:TH_LOAD_NT
	s_wait_xcnt 0x0
	v_add_nc_u64_e32 v[8:9], 0x200, v[8:9]
	s_delay_alu instid0(VALU_DEP_1)
	v_dual_cndmask_b32 v15, v15, v9, s11 :: v_dual_cndmask_b32 v14, v14, v8, s11
	v_dual_cndmask_b32 v17, v17, v9 :: v_dual_cndmask_b32 v16, v16, v8
	s_mov_b32 vcc_lo, s12
	s_wait_loadcnt 0x0
	scratch_store_b128 off, v[4:7], s44
	s_wait_xcnt 0x0
	s_mov_b32 s44, s23
	s_cbranch_vccnz .LBB12_980
.LBB12_981:                             ;   in Loop: Header=BB12_910 Depth=2
	s_or_b32 exec_lo, exec_lo, s43
	scratch_load_b128 v[10:13], off, s33 offset:192
	s_wait_loadcnt 0x0
	v_lshlrev_b32_e32 v4, 16, v10
	s_delay_alu instid0(VALU_DEP_1) | instskip(NEXT) | instid1(VALU_DEP_1)
	v_mul_f32_e32 v5, v1, v4
	v_and_b32_e32 v4, 0x7f800000, v5
	s_delay_alu instid0(VALU_DEP_1) | instskip(SKIP_2) | instid1(SALU_CYCLE_1)
	v_cmp_ne_u32_e32 vcc_lo, 0x7f800000, v4
                                        ; implicit-def: $vgpr4
	s_wait_xcnt 0x0
	s_and_saveexec_b32 s11, vcc_lo
	s_xor_b32 s11, exec_lo, s11
; %bb.982:                              ;   in Loop: Header=BB12_910 Depth=2
	v_bfe_u32 v4, v5, 16, 1
	s_delay_alu instid0(VALU_DEP_1)
	v_add3_u32 v4, v5, v4, 0x7fff
                                        ; implicit-def: $vgpr5
; %bb.983:                              ;   in Loop: Header=BB12_910 Depth=2
	s_and_not1_saveexec_b32 s11, s11
; %bb.984:                              ;   in Loop: Header=BB12_910 Depth=2
	v_and_b32_e32 v4, 0xffff, v5
	v_or_b32_e32 v6, 0x10000, v5
	s_delay_alu instid0(VALU_DEP_2) | instskip(NEXT) | instid1(VALU_DEP_2)
	v_cmp_eq_u32_e32 vcc_lo, 0, v4
	v_cndmask_b32_e32 v4, v6, v5, vcc_lo
; %bb.985:                              ;   in Loop: Header=BB12_910 Depth=2
	s_or_b32 exec_lo, exec_lo, s11
	v_and_b32_e32 v5, 0xffff0000, v10
	s_mov_b32 s11, exec_lo
                                        ; implicit-def: $vgpr18
	s_delay_alu instid0(VALU_DEP_1) | instskip(NEXT) | instid1(VALU_DEP_1)
	v_mul_f32_e32 v5, v1, v5
	v_and_b32_e32 v6, 0x7f800000, v5
	s_delay_alu instid0(VALU_DEP_1)
	v_cmpx_ne_u32_e32 0x7f800000, v6
	s_xor_b32 s11, exec_lo, s11
; %bb.986:                              ;   in Loop: Header=BB12_910 Depth=2
	v_bfe_u32 v6, v5, 16, 1
	s_delay_alu instid0(VALU_DEP_1)
	v_add3_u32 v18, v5, v6, 0x7fff
                                        ; implicit-def: $vgpr5
; %bb.987:                              ;   in Loop: Header=BB12_910 Depth=2
	s_and_not1_saveexec_b32 s11, s11
; %bb.988:                              ;   in Loop: Header=BB12_910 Depth=2
	v_and_b32_e32 v6, 0xffff, v5
	v_or_b32_e32 v7, 0x10000, v5
	s_delay_alu instid0(VALU_DEP_2) | instskip(NEXT) | instid1(VALU_DEP_2)
	v_cmp_eq_u32_e32 vcc_lo, 0, v6
	v_cndmask_b32_e32 v18, v7, v5, vcc_lo
; %bb.989:                              ;   in Loop: Header=BB12_910 Depth=2
	s_or_b32 exec_lo, exec_lo, s11
	v_lshlrev_b32_e32 v5, 16, v11
	s_mov_b32 s11, exec_lo
                                        ; implicit-def: $vgpr29
	s_delay_alu instid0(VALU_DEP_1) | instskip(NEXT) | instid1(VALU_DEP_1)
	v_mul_f32_e32 v5, v1, v5
	v_and_b32_e32 v6, 0x7f800000, v5
	s_delay_alu instid0(VALU_DEP_1)
	v_cmpx_ne_u32_e32 0x7f800000, v6
	s_xor_b32 s11, exec_lo, s11
; %bb.990:                              ;   in Loop: Header=BB12_910 Depth=2
	v_bfe_u32 v6, v5, 16, 1
	s_delay_alu instid0(VALU_DEP_1)
	v_add3_u32 v29, v5, v6, 0x7fff
                                        ; implicit-def: $vgpr5
; %bb.991:                              ;   in Loop: Header=BB12_910 Depth=2
	s_and_not1_saveexec_b32 s11, s11
; %bb.992:                              ;   in Loop: Header=BB12_910 Depth=2
	v_and_b32_e32 v6, 0xffff, v5
	v_or_b32_e32 v7, 0x10000, v5
	s_delay_alu instid0(VALU_DEP_2) | instskip(NEXT) | instid1(VALU_DEP_2)
	v_cmp_eq_u32_e32 vcc_lo, 0, v6
	v_cndmask_b32_e32 v29, v7, v5, vcc_lo
; %bb.993:                              ;   in Loop: Header=BB12_910 Depth=2
	s_or_b32 exec_lo, exec_lo, s11
	v_and_b32_e32 v5, 0xffff0000, v11
	s_mov_b32 s11, exec_lo
                                        ; implicit-def: $vgpr27
	s_delay_alu instid0(VALU_DEP_1) | instskip(NEXT) | instid1(VALU_DEP_1)
	v_mul_f32_e32 v5, v1, v5
	v_and_b32_e32 v6, 0x7f800000, v5
	s_delay_alu instid0(VALU_DEP_1)
	v_cmpx_ne_u32_e32 0x7f800000, v6
	s_xor_b32 s11, exec_lo, s11
; %bb.994:                              ;   in Loop: Header=BB12_910 Depth=2
	v_bfe_u32 v6, v5, 16, 1
	s_delay_alu instid0(VALU_DEP_1)
	v_add3_u32 v27, v5, v6, 0x7fff
                                        ; implicit-def: $vgpr5
; %bb.995:                              ;   in Loop: Header=BB12_910 Depth=2
	s_and_not1_saveexec_b32 s11, s11
; %bb.996:                              ;   in Loop: Header=BB12_910 Depth=2
	v_and_b32_e32 v6, 0xffff, v5
	v_or_b32_e32 v7, 0x10000, v5
	s_delay_alu instid0(VALU_DEP_2) | instskip(NEXT) | instid1(VALU_DEP_2)
	v_cmp_eq_u32_e32 vcc_lo, 0, v6
	v_cndmask_b32_e32 v27, v7, v5, vcc_lo
; %bb.997:                              ;   in Loop: Header=BB12_910 Depth=2
	s_or_b32 exec_lo, exec_lo, s11
	v_lshlrev_b32_e32 v5, 16, v12
	s_mov_b32 s11, exec_lo
                                        ; implicit-def: $vgpr28
	s_delay_alu instid0(VALU_DEP_1) | instskip(NEXT) | instid1(VALU_DEP_1)
	v_mul_f32_e32 v5, v1, v5
	v_and_b32_e32 v6, 0x7f800000, v5
	s_delay_alu instid0(VALU_DEP_1)
	v_cmpx_ne_u32_e32 0x7f800000, v6
	s_xor_b32 s11, exec_lo, s11
; %bb.998:                              ;   in Loop: Header=BB12_910 Depth=2
	v_bfe_u32 v6, v5, 16, 1
	s_delay_alu instid0(VALU_DEP_1)
	v_add3_u32 v28, v5, v6, 0x7fff
                                        ; implicit-def: $vgpr5
; %bb.999:                              ;   in Loop: Header=BB12_910 Depth=2
	s_and_not1_saveexec_b32 s11, s11
; %bb.1000:                             ;   in Loop: Header=BB12_910 Depth=2
	v_and_b32_e32 v6, 0xffff, v5
	v_or_b32_e32 v7, 0x10000, v5
	s_delay_alu instid0(VALU_DEP_2) | instskip(NEXT) | instid1(VALU_DEP_2)
	v_cmp_eq_u32_e32 vcc_lo, 0, v6
	v_cndmask_b32_e32 v28, v7, v5, vcc_lo
; %bb.1001:                             ;   in Loop: Header=BB12_910 Depth=2
	s_or_b32 exec_lo, exec_lo, s11
	v_and_b32_e32 v5, 0xffff0000, v12
	s_mov_b32 s11, exec_lo
                                        ; implicit-def: $vgpr25
	s_delay_alu instid0(VALU_DEP_1) | instskip(NEXT) | instid1(VALU_DEP_1)
	v_mul_f32_e32 v5, v1, v5
	v_and_b32_e32 v6, 0x7f800000, v5
	s_delay_alu instid0(VALU_DEP_1)
	v_cmpx_ne_u32_e32 0x7f800000, v6
	s_xor_b32 s11, exec_lo, s11
; %bb.1002:                             ;   in Loop: Header=BB12_910 Depth=2
	v_bfe_u32 v6, v5, 16, 1
	s_delay_alu instid0(VALU_DEP_1)
	v_add3_u32 v25, v5, v6, 0x7fff
                                        ; implicit-def: $vgpr5
; %bb.1003:                             ;   in Loop: Header=BB12_910 Depth=2
	s_and_not1_saveexec_b32 s11, s11
; %bb.1004:                             ;   in Loop: Header=BB12_910 Depth=2
	v_and_b32_e32 v6, 0xffff, v5
	v_or_b32_e32 v7, 0x10000, v5
	s_delay_alu instid0(VALU_DEP_2) | instskip(NEXT) | instid1(VALU_DEP_2)
	v_cmp_eq_u32_e32 vcc_lo, 0, v6
	v_cndmask_b32_e32 v25, v7, v5, vcc_lo
; %bb.1005:                             ;   in Loop: Header=BB12_910 Depth=2
	s_or_b32 exec_lo, exec_lo, s11
	v_lshlrev_b32_e32 v5, 16, v13
	s_mov_b32 s11, exec_lo
                                        ; implicit-def: $vgpr26
	s_delay_alu instid0(VALU_DEP_1) | instskip(NEXT) | instid1(VALU_DEP_1)
	v_mul_f32_e32 v5, v1, v5
	v_and_b32_e32 v6, 0x7f800000, v5
	s_delay_alu instid0(VALU_DEP_1)
	v_cmpx_ne_u32_e32 0x7f800000, v6
	s_xor_b32 s11, exec_lo, s11
; %bb.1006:                             ;   in Loop: Header=BB12_910 Depth=2
	v_bfe_u32 v6, v5, 16, 1
	s_delay_alu instid0(VALU_DEP_1)
	v_add3_u32 v26, v5, v6, 0x7fff
                                        ; implicit-def: $vgpr5
; %bb.1007:                             ;   in Loop: Header=BB12_910 Depth=2
	s_and_not1_saveexec_b32 s11, s11
; %bb.1008:                             ;   in Loop: Header=BB12_910 Depth=2
	v_and_b32_e32 v6, 0xffff, v5
	v_or_b32_e32 v7, 0x10000, v5
	s_delay_alu instid0(VALU_DEP_2) | instskip(NEXT) | instid1(VALU_DEP_2)
	v_cmp_eq_u32_e32 vcc_lo, 0, v6
	v_cndmask_b32_e32 v26, v7, v5, vcc_lo
; %bb.1009:                             ;   in Loop: Header=BB12_910 Depth=2
	s_or_b32 exec_lo, exec_lo, s11
	v_and_b32_e32 v5, 0xffff0000, v13
	s_delay_alu instid0(VALU_DEP_1) | instskip(NEXT) | instid1(VALU_DEP_1)
	v_mul_f32_e32 v6, v1, v5
	v_and_b32_e32 v5, 0x7f800000, v6
	s_delay_alu instid0(VALU_DEP_1) | instskip(SKIP_1) | instid1(SALU_CYCLE_1)
	v_cmp_ne_u32_e32 vcc_lo, 0x7f800000, v5
                                        ; implicit-def: $vgpr5
	s_and_saveexec_b32 s11, vcc_lo
	s_xor_b32 s11, exec_lo, s11
; %bb.1010:                             ;   in Loop: Header=BB12_910 Depth=2
	v_bfe_u32 v5, v6, 16, 1
	s_delay_alu instid0(VALU_DEP_1)
	v_add3_u32 v5, v6, v5, 0x7fff
                                        ; implicit-def: $vgpr6
; %bb.1011:                             ;   in Loop: Header=BB12_910 Depth=2
	s_and_not1_saveexec_b32 s11, s11
; %bb.1012:                             ;   in Loop: Header=BB12_910 Depth=2
	v_and_b32_e32 v5, 0xffff, v6
	v_or_b32_e32 v7, 0x10000, v6
	s_delay_alu instid0(VALU_DEP_2) | instskip(NEXT) | instid1(VALU_DEP_2)
	v_cmp_eq_u32_e32 vcc_lo, 0, v5
	v_cndmask_b32_e32 v5, v7, v6, vcc_lo
; %bb.1013:                             ;   in Loop: Header=BB12_910 Depth=2
	s_or_b32 exec_lo, exec_lo, s11
	scratch_load_b128 v[10:13], off, s33 offset:208
	v_and_b32_e32 v4, 0xffff0000, v4
	s_wait_loadcnt 0x0
	v_lshlrev_b32_e32 v6, 16, v10
	s_delay_alu instid0(VALU_DEP_1) | instskip(NEXT) | instid1(VALU_DEP_1)
	v_add_f32_e32 v6, v4, v6
	v_and_b32_e32 v4, 0x7f800000, v6
	s_delay_alu instid0(VALU_DEP_1) | instskip(SKIP_2) | instid1(SALU_CYCLE_1)
	v_cmp_ne_u32_e32 vcc_lo, 0x7f800000, v4
                                        ; implicit-def: $vgpr4
	s_wait_xcnt 0x0
	s_and_saveexec_b32 s11, vcc_lo
	s_xor_b32 s11, exec_lo, s11
; %bb.1014:                             ;   in Loop: Header=BB12_910 Depth=2
	v_bfe_u32 v4, v6, 16, 1
	s_delay_alu instid0(VALU_DEP_1)
	v_add3_u32 v4, v6, v4, 0x7fff
                                        ; implicit-def: $vgpr6
; %bb.1015:                             ;   in Loop: Header=BB12_910 Depth=2
	s_and_not1_saveexec_b32 s11, s11
; %bb.1016:                             ;   in Loop: Header=BB12_910 Depth=2
	v_and_b32_e32 v4, 0xffff, v6
	v_or_b32_e32 v7, 0x10000, v6
	s_delay_alu instid0(VALU_DEP_2) | instskip(NEXT) | instid1(VALU_DEP_2)
	v_cmp_eq_u32_e32 vcc_lo, 0, v4
	v_cndmask_b32_e32 v4, v7, v6, vcc_lo
; %bb.1017:                             ;   in Loop: Header=BB12_910 Depth=2
	s_or_b32 exec_lo, exec_lo, s11
	v_and_b32_e32 v7, 0xffff0000, v10
	v_and_b32_e32 v6, 0xffff0000, v18
	s_mov_b32 s11, exec_lo
                                        ; implicit-def: $vgpr10
	s_delay_alu instid0(VALU_DEP_2) | instskip(NEXT) | instid1(VALU_DEP_1)
	v_mov_b32_e32 v8, v7
	v_pk_add_f32 v[18:19], v[8:9], v[6:7]
	s_delay_alu instid0(VALU_DEP_1) | instskip(NEXT) | instid1(VALU_DEP_1)
	v_and_b32_e32 v6, 0x7f800000, v18
	v_cmpx_ne_u32_e32 0x7f800000, v6
	s_xor_b32 s11, exec_lo, s11
; %bb.1018:                             ;   in Loop: Header=BB12_910 Depth=2
	v_bfe_u32 v6, v18, 16, 1
	s_delay_alu instid0(VALU_DEP_1)
	v_add3_u32 v10, v18, v6, 0x7fff
                                        ; implicit-def: $vgpr18_vgpr19
; %bb.1019:                             ;   in Loop: Header=BB12_910 Depth=2
	s_and_not1_saveexec_b32 s11, s11
; %bb.1020:                             ;   in Loop: Header=BB12_910 Depth=2
	v_and_b32_e32 v6, 0xffff, v18
	v_or_b32_e32 v7, 0x10000, v18
	s_delay_alu instid0(VALU_DEP_2) | instskip(NEXT) | instid1(VALU_DEP_2)
	v_cmp_eq_u32_e32 vcc_lo, 0, v6
	v_cndmask_b32_e32 v10, v7, v18, vcc_lo
; %bb.1021:                             ;   in Loop: Header=BB12_910 Depth=2
	s_or_b32 exec_lo, exec_lo, s11
	v_and_b32_e32 v6, 0xffff0000, v29
	v_lshlrev_b32_e32 v7, 16, v11
	s_mov_b32 s11, exec_lo
                                        ; implicit-def: $vgpr18
	s_delay_alu instid0(VALU_DEP_1) | instskip(NEXT) | instid1(VALU_DEP_1)
	v_add_f32_e32 v6, v6, v7
	v_and_b32_e32 v7, 0x7f800000, v6
	s_delay_alu instid0(VALU_DEP_1)
	v_cmpx_ne_u32_e32 0x7f800000, v7
	s_xor_b32 s11, exec_lo, s11
; %bb.1022:                             ;   in Loop: Header=BB12_910 Depth=2
	v_bfe_u32 v7, v6, 16, 1
	s_delay_alu instid0(VALU_DEP_1)
	v_add3_u32 v18, v6, v7, 0x7fff
                                        ; implicit-def: $vgpr6
; %bb.1023:                             ;   in Loop: Header=BB12_910 Depth=2
	s_and_not1_saveexec_b32 s11, s11
; %bb.1024:                             ;   in Loop: Header=BB12_910 Depth=2
	v_and_b32_e32 v7, 0xffff, v6
	v_or_b32_e32 v8, 0x10000, v6
	s_delay_alu instid0(VALU_DEP_2) | instskip(NEXT) | instid1(VALU_DEP_2)
	v_cmp_eq_u32_e32 vcc_lo, 0, v7
	v_cndmask_b32_e32 v18, v8, v6, vcc_lo
; %bb.1025:                             ;   in Loop: Header=BB12_910 Depth=2
	s_or_b32 exec_lo, exec_lo, s11
	v_and_b32_e32 v6, 0xffff0000, v11
	v_and_b32_e32 v7, 0xffff0000, v27
	s_mov_b32 s11, exec_lo
                                        ; implicit-def: $vgpr11
	s_delay_alu instid0(VALU_DEP_1) | instskip(NEXT) | instid1(VALU_DEP_1)
	v_add_f32_e32 v6, v7, v6
	v_and_b32_e32 v7, 0x7f800000, v6
	s_delay_alu instid0(VALU_DEP_1)
	v_cmpx_ne_u32_e32 0x7f800000, v7
	s_xor_b32 s11, exec_lo, s11
; %bb.1026:                             ;   in Loop: Header=BB12_910 Depth=2
	v_bfe_u32 v7, v6, 16, 1
	s_delay_alu instid0(VALU_DEP_1)
	v_add3_u32 v11, v6, v7, 0x7fff
                                        ; implicit-def: $vgpr6
; %bb.1027:                             ;   in Loop: Header=BB12_910 Depth=2
	s_and_not1_saveexec_b32 s11, s11
; %bb.1028:                             ;   in Loop: Header=BB12_910 Depth=2
	v_and_b32_e32 v7, 0xffff, v6
	v_or_b32_e32 v8, 0x10000, v6
	s_delay_alu instid0(VALU_DEP_2) | instskip(NEXT) | instid1(VALU_DEP_2)
	v_cmp_eq_u32_e32 vcc_lo, 0, v7
	v_cndmask_b32_e32 v11, v8, v6, vcc_lo
; %bb.1029:                             ;   in Loop: Header=BB12_910 Depth=2
	s_or_b32 exec_lo, exec_lo, s11
	v_and_b32_e32 v6, 0xffff0000, v28
	v_lshlrev_b32_e32 v7, 16, v12
	s_delay_alu instid0(VALU_DEP_1) | instskip(NEXT) | instid1(VALU_DEP_1)
	v_add_f32_e32 v7, v6, v7
	v_and_b32_e32 v6, 0x7f800000, v7
	s_delay_alu instid0(VALU_DEP_1) | instskip(SKIP_1) | instid1(SALU_CYCLE_1)
	v_cmp_ne_u32_e32 vcc_lo, 0x7f800000, v6
                                        ; implicit-def: $vgpr6
	s_and_saveexec_b32 s11, vcc_lo
	s_xor_b32 s11, exec_lo, s11
; %bb.1030:                             ;   in Loop: Header=BB12_910 Depth=2
	v_bfe_u32 v6, v7, 16, 1
	s_delay_alu instid0(VALU_DEP_1)
	v_add3_u32 v6, v7, v6, 0x7fff
                                        ; implicit-def: $vgpr7
; %bb.1031:                             ;   in Loop: Header=BB12_910 Depth=2
	s_and_not1_saveexec_b32 s11, s11
; %bb.1032:                             ;   in Loop: Header=BB12_910 Depth=2
	v_and_b32_e32 v6, 0xffff, v7
	v_or_b32_e32 v8, 0x10000, v7
	s_delay_alu instid0(VALU_DEP_2) | instskip(NEXT) | instid1(VALU_DEP_2)
	v_cmp_eq_u32_e32 vcc_lo, 0, v6
	v_cndmask_b32_e32 v6, v8, v7, vcc_lo
; %bb.1033:                             ;   in Loop: Header=BB12_910 Depth=2
	s_or_b32 exec_lo, exec_lo, s11
	v_and_b32_e32 v7, 0xffff0000, v12
	v_and_b32_e32 v8, 0xffff0000, v25
	s_delay_alu instid0(VALU_DEP_1) | instskip(NEXT) | instid1(VALU_DEP_1)
	v_add_f32_e32 v8, v8, v7
	v_and_b32_e32 v7, 0x7f800000, v8
	s_delay_alu instid0(VALU_DEP_1) | instskip(SKIP_1) | instid1(SALU_CYCLE_1)
	v_cmp_ne_u32_e32 vcc_lo, 0x7f800000, v7
                                        ; implicit-def: $vgpr7
	s_and_saveexec_b32 s11, vcc_lo
	s_xor_b32 s11, exec_lo, s11
; %bb.1034:                             ;   in Loop: Header=BB12_910 Depth=2
	v_bfe_u32 v7, v8, 16, 1
	s_delay_alu instid0(VALU_DEP_1)
	v_add3_u32 v7, v8, v7, 0x7fff
                                        ; implicit-def: $vgpr8
; %bb.1035:                             ;   in Loop: Header=BB12_910 Depth=2
	s_and_not1_saveexec_b32 s11, s11
; %bb.1036:                             ;   in Loop: Header=BB12_910 Depth=2
	v_and_b32_e32 v7, 0xffff, v8
	v_or_b32_e32 v9, 0x10000, v8
	s_delay_alu instid0(VALU_DEP_2) | instskip(NEXT) | instid1(VALU_DEP_2)
	v_cmp_eq_u32_e32 vcc_lo, 0, v7
	v_cndmask_b32_e32 v7, v9, v8, vcc_lo
; %bb.1037:                             ;   in Loop: Header=BB12_910 Depth=2
	s_or_b32 exec_lo, exec_lo, s11
	v_and_b32_e32 v8, 0xffff0000, v26
	v_lshlrev_b32_e32 v9, 16, v13
	s_delay_alu instid0(VALU_DEP_1) | instskip(NEXT) | instid1(VALU_DEP_1)
	v_add_f32_e32 v9, v8, v9
	v_and_b32_e32 v8, 0x7f800000, v9
	s_delay_alu instid0(VALU_DEP_1) | instskip(SKIP_1) | instid1(SALU_CYCLE_1)
	v_cmp_ne_u32_e32 vcc_lo, 0x7f800000, v8
                                        ; implicit-def: $vgpr8
	s_and_saveexec_b32 s11, vcc_lo
	s_xor_b32 s11, exec_lo, s11
; %bb.1038:                             ;   in Loop: Header=BB12_910 Depth=2
	v_bfe_u32 v8, v9, 16, 1
	s_delay_alu instid0(VALU_DEP_1)
	v_add3_u32 v8, v9, v8, 0x7fff
                                        ; implicit-def: $vgpr9
; %bb.1039:                             ;   in Loop: Header=BB12_910 Depth=2
	s_and_not1_saveexec_b32 s11, s11
; %bb.1040:                             ;   in Loop: Header=BB12_910 Depth=2
	v_and_b32_e32 v8, 0xffff, v9
	v_or_b32_e32 v12, 0x10000, v9
	s_delay_alu instid0(VALU_DEP_2) | instskip(NEXT) | instid1(VALU_DEP_2)
	v_cmp_eq_u32_e32 vcc_lo, 0, v8
	v_cndmask_b32_e32 v8, v12, v9, vcc_lo
; %bb.1041:                             ;   in Loop: Header=BB12_910 Depth=2
	s_or_b32 exec_lo, exec_lo, s11
	v_and_b32_e32 v9, 0xffff0000, v13
	v_and_b32_e32 v5, 0xffff0000, v5
	s_delay_alu instid0(VALU_DEP_1) | instskip(NEXT) | instid1(VALU_DEP_1)
	v_add_f32_e32 v9, v5, v9
	v_and_b32_e32 v5, 0x7f800000, v9
	s_delay_alu instid0(VALU_DEP_1) | instskip(SKIP_1) | instid1(SALU_CYCLE_1)
	v_cmp_ne_u32_e32 vcc_lo, 0x7f800000, v5
                                        ; implicit-def: $vgpr5
	s_and_saveexec_b32 s11, vcc_lo
	s_xor_b32 s11, exec_lo, s11
; %bb.1042:                             ;   in Loop: Header=BB12_910 Depth=2
	v_bfe_u32 v5, v9, 16, 1
	s_delay_alu instid0(VALU_DEP_1)
	v_add3_u32 v5, v9, v5, 0x7fff
                                        ; implicit-def: $vgpr9
; %bb.1043:                             ;   in Loop: Header=BB12_910 Depth=2
	s_and_not1_saveexec_b32 s11, s11
; %bb.1044:                             ;   in Loop: Header=BB12_910 Depth=2
	v_and_b32_e32 v5, 0xffff, v9
	v_or_b32_e32 v12, 0x10000, v9
	s_delay_alu instid0(VALU_DEP_2) | instskip(NEXT) | instid1(VALU_DEP_2)
	v_cmp_eq_u32_e32 vcc_lo, 0, v5
	v_cndmask_b32_e32 v5, v12, v9, vcc_lo
; %bb.1045:                             ;   in Loop: Header=BB12_910 Depth=2
	s_or_b32 exec_lo, exec_lo, s11
	v_dual_lshrrev_b32 v9, 16, v18 :: v_dual_lshrrev_b32 v4, 16, v4
	v_dual_lshrrev_b32 v6, 16, v6 :: v_dual_lshrrev_b32 v12, 16, v8
	v_sub_nc_u32_e32 v24, v24, v72
	s_delay_alu instid0(VALU_DEP_3) | instskip(NEXT) | instid1(VALU_DEP_4)
	v_and_or_b32 v9, 0xffff0000, v11, v9
	v_and_or_b32 v8, 0xffff0000, v10, v4
	s_delay_alu instid0(VALU_DEP_4)
	v_and_or_b32 v10, 0xffff0000, v7, v6
	v_and_or_b32 v11, 0xffff0000, v5, v12
	global_store_b128 v[2:3], v[8:11], off th:TH_STORE_NT
	s_wait_xcnt 0x0
	v_add_nc_u64_e32 v[2:3], 0x200, v[2:3]
	scratch_store_b128 off, v[8:11], s33 offset:192
	s_wait_xcnt 0x0
	s_and_saveexec_b32 s11, s42
	s_cbranch_execz .LBB12_909
; %bb.1046:                             ;   in Loop: Header=BB12_910 Depth=2
	v_add_nc_u64_e32 v[14:15], v[14:15], v[104:105]
	v_add_nc_u64_e32 v[16:17], v[16:17], v[104:105]
	;; [unrolled: 1-line block ×3, first 2 shown]
	v_sub_nc_u32_e32 v0, v0, v59
	v_sub_nc_u32_e32 v24, v24, v72
	s_branch .LBB12_909
.LBB12_1047:                            ;   in Loop: Header=BB12_49 Depth=1
	s_or_b32 exec_lo, exec_lo, s40
	s_delay_alu instid0(SALU_CYCLE_1)
	s_and_b32 s12, s41, exec_lo
.LBB12_1048:                            ;   in Loop: Header=BB12_49 Depth=1
	s_or_b32 exec_lo, exec_lo, s29
	s_and_saveexec_b32 s11, s12
	s_cbranch_execz .LBB12_1114
; %bb.1049:                             ;   in Loop: Header=BB12_49 Depth=1
	s_trap 2
	scratch_load_b128 v[10:13], off, s33 offset:224
	ds_load_b32 v0, v0
	s_wait_loadcnt_dscnt 0x0
	v_dual_lshlrev_b32 v0, 16, v0 :: v_dual_lshlrev_b32 v1, 16, v10
	s_delay_alu instid0(VALU_DEP_1) | instskip(NEXT) | instid1(VALU_DEP_1)
	v_mul_f32_e32 v4, v0, v1
	v_and_b32_e32 v1, 0x7f800000, v4
	s_delay_alu instid0(VALU_DEP_1) | instskip(SKIP_2) | instid1(SALU_CYCLE_1)
	v_cmp_ne_u32_e32 vcc_lo, 0x7f800000, v1
                                        ; implicit-def: $vgpr1
	s_wait_xcnt 0x0
	s_and_saveexec_b32 s12, vcc_lo
	s_xor_b32 s12, exec_lo, s12
; %bb.1050:                             ;   in Loop: Header=BB12_49 Depth=1
	v_bfe_u32 v1, v4, 16, 1
	s_delay_alu instid0(VALU_DEP_1)
	v_add3_u32 v1, v4, v1, 0x7fff
                                        ; implicit-def: $vgpr4
; %bb.1051:                             ;   in Loop: Header=BB12_49 Depth=1
	s_and_not1_saveexec_b32 s12, s12
; %bb.1052:                             ;   in Loop: Header=BB12_49 Depth=1
	v_and_b32_e32 v1, 0xffff, v4
	v_or_b32_e32 v5, 0x10000, v4
	s_delay_alu instid0(VALU_DEP_2) | instskip(NEXT) | instid1(VALU_DEP_2)
	v_cmp_eq_u32_e32 vcc_lo, 0, v1
	v_cndmask_b32_e32 v1, v5, v4, vcc_lo
; %bb.1053:                             ;   in Loop: Header=BB12_49 Depth=1
	s_or_b32 exec_lo, exec_lo, s12
	v_and_b32_e32 v4, 0xffff0000, v10
	s_mov_b32 s12, exec_lo
                                        ; implicit-def: $vgpr14
	s_delay_alu instid0(VALU_DEP_1) | instskip(NEXT) | instid1(VALU_DEP_1)
	v_mul_f32_e32 v4, v0, v4
	v_and_b32_e32 v5, 0x7f800000, v4
	s_delay_alu instid0(VALU_DEP_1)
	v_cmpx_ne_u32_e32 0x7f800000, v5
	s_xor_b32 s12, exec_lo, s12
; %bb.1054:                             ;   in Loop: Header=BB12_49 Depth=1
	v_bfe_u32 v5, v4, 16, 1
	s_delay_alu instid0(VALU_DEP_1)
	v_add3_u32 v14, v4, v5, 0x7fff
                                        ; implicit-def: $vgpr4
; %bb.1055:                             ;   in Loop: Header=BB12_49 Depth=1
	s_and_not1_saveexec_b32 s12, s12
; %bb.1056:                             ;   in Loop: Header=BB12_49 Depth=1
	v_and_b32_e32 v5, 0xffff, v4
	v_or_b32_e32 v6, 0x10000, v4
	s_delay_alu instid0(VALU_DEP_2) | instskip(NEXT) | instid1(VALU_DEP_2)
	v_cmp_eq_u32_e32 vcc_lo, 0, v5
	v_cndmask_b32_e32 v14, v6, v4, vcc_lo
; %bb.1057:                             ;   in Loop: Header=BB12_49 Depth=1
	s_or_b32 exec_lo, exec_lo, s12
	v_lshlrev_b32_e32 v4, 16, v11
	s_mov_b32 s12, exec_lo
                                        ; implicit-def: $vgpr18
	s_delay_alu instid0(VALU_DEP_1) | instskip(NEXT) | instid1(VALU_DEP_1)
	v_mul_f32_e32 v4, v0, v4
	v_and_b32_e32 v5, 0x7f800000, v4
	s_delay_alu instid0(VALU_DEP_1)
	v_cmpx_ne_u32_e32 0x7f800000, v5
	s_xor_b32 s12, exec_lo, s12
; %bb.1058:                             ;   in Loop: Header=BB12_49 Depth=1
	v_bfe_u32 v5, v4, 16, 1
	s_delay_alu instid0(VALU_DEP_1)
	v_add3_u32 v18, v4, v5, 0x7fff
                                        ; implicit-def: $vgpr4
; %bb.1059:                             ;   in Loop: Header=BB12_49 Depth=1
	s_and_not1_saveexec_b32 s12, s12
; %bb.1060:                             ;   in Loop: Header=BB12_49 Depth=1
	v_and_b32_e32 v5, 0xffff, v4
	v_or_b32_e32 v6, 0x10000, v4
	s_delay_alu instid0(VALU_DEP_2) | instskip(NEXT) | instid1(VALU_DEP_2)
	v_cmp_eq_u32_e32 vcc_lo, 0, v5
	v_cndmask_b32_e32 v18, v6, v4, vcc_lo
; %bb.1061:                             ;   in Loop: Header=BB12_49 Depth=1
	s_or_b32 exec_lo, exec_lo, s12
	v_and_b32_e32 v4, 0xffff0000, v11
	s_mov_b32 s12, exec_lo
                                        ; implicit-def: $vgpr16
	s_delay_alu instid0(VALU_DEP_1) | instskip(NEXT) | instid1(VALU_DEP_1)
	v_mul_f32_e32 v4, v0, v4
	v_and_b32_e32 v5, 0x7f800000, v4
	s_delay_alu instid0(VALU_DEP_1)
	v_cmpx_ne_u32_e32 0x7f800000, v5
	s_xor_b32 s12, exec_lo, s12
; %bb.1062:                             ;   in Loop: Header=BB12_49 Depth=1
	v_bfe_u32 v5, v4, 16, 1
	s_delay_alu instid0(VALU_DEP_1)
	v_add3_u32 v16, v4, v5, 0x7fff
                                        ; implicit-def: $vgpr4
; %bb.1063:                             ;   in Loop: Header=BB12_49 Depth=1
	s_and_not1_saveexec_b32 s12, s12
; %bb.1064:                             ;   in Loop: Header=BB12_49 Depth=1
	v_and_b32_e32 v5, 0xffff, v4
	v_or_b32_e32 v6, 0x10000, v4
	s_delay_alu instid0(VALU_DEP_2) | instskip(NEXT) | instid1(VALU_DEP_2)
	v_cmp_eq_u32_e32 vcc_lo, 0, v5
	v_cndmask_b32_e32 v16, v6, v4, vcc_lo
; %bb.1065:                             ;   in Loop: Header=BB12_49 Depth=1
	s_or_b32 exec_lo, exec_lo, s12
	v_lshlrev_b32_e32 v4, 16, v12
	s_mov_b32 s12, exec_lo
                                        ; implicit-def: $vgpr17
	s_delay_alu instid0(VALU_DEP_1) | instskip(NEXT) | instid1(VALU_DEP_1)
	v_mul_f32_e32 v4, v0, v4
	v_and_b32_e32 v5, 0x7f800000, v4
	s_delay_alu instid0(VALU_DEP_1)
	v_cmpx_ne_u32_e32 0x7f800000, v5
	s_xor_b32 s12, exec_lo, s12
; %bb.1066:                             ;   in Loop: Header=BB12_49 Depth=1
	v_bfe_u32 v5, v4, 16, 1
	s_delay_alu instid0(VALU_DEP_1)
	v_add3_u32 v17, v4, v5, 0x7fff
                                        ; implicit-def: $vgpr4
; %bb.1067:                             ;   in Loop: Header=BB12_49 Depth=1
	s_and_not1_saveexec_b32 s12, s12
; %bb.1068:                             ;   in Loop: Header=BB12_49 Depth=1
	v_and_b32_e32 v5, 0xffff, v4
	v_or_b32_e32 v6, 0x10000, v4
	s_delay_alu instid0(VALU_DEP_2) | instskip(NEXT) | instid1(VALU_DEP_2)
	v_cmp_eq_u32_e32 vcc_lo, 0, v5
	v_cndmask_b32_e32 v17, v6, v4, vcc_lo
; %bb.1069:                             ;   in Loop: Header=BB12_49 Depth=1
	s_or_b32 exec_lo, exec_lo, s12
	v_and_b32_e32 v4, 0xffff0000, v12
	s_delay_alu instid0(VALU_DEP_1) | instskip(NEXT) | instid1(VALU_DEP_1)
	v_mul_f32_e32 v5, v0, v4
	v_and_b32_e32 v4, 0x7f800000, v5
	s_delay_alu instid0(VALU_DEP_1) | instskip(SKIP_1) | instid1(SALU_CYCLE_1)
	v_cmp_ne_u32_e32 vcc_lo, 0x7f800000, v4
                                        ; implicit-def: $vgpr4
	s_and_saveexec_b32 s12, vcc_lo
	s_xor_b32 s12, exec_lo, s12
; %bb.1070:                             ;   in Loop: Header=BB12_49 Depth=1
	v_bfe_u32 v4, v5, 16, 1
	s_delay_alu instid0(VALU_DEP_1)
	v_add3_u32 v4, v5, v4, 0x7fff
                                        ; implicit-def: $vgpr5
; %bb.1071:                             ;   in Loop: Header=BB12_49 Depth=1
	s_and_not1_saveexec_b32 s12, s12
; %bb.1072:                             ;   in Loop: Header=BB12_49 Depth=1
	v_and_b32_e32 v4, 0xffff, v5
	v_or_b32_e32 v6, 0x10000, v5
	s_delay_alu instid0(VALU_DEP_2) | instskip(NEXT) | instid1(VALU_DEP_2)
	v_cmp_eq_u32_e32 vcc_lo, 0, v4
	v_cndmask_b32_e32 v4, v6, v5, vcc_lo
; %bb.1073:                             ;   in Loop: Header=BB12_49 Depth=1
	s_or_b32 exec_lo, exec_lo, s12
	v_lshlrev_b32_e32 v5, 16, v13
	s_delay_alu instid0(VALU_DEP_1) | instskip(NEXT) | instid1(VALU_DEP_1)
	v_mul_f32_e32 v6, v0, v5
	v_and_b32_e32 v5, 0x7f800000, v6
	s_delay_alu instid0(VALU_DEP_1) | instskip(SKIP_1) | instid1(SALU_CYCLE_1)
	v_cmp_ne_u32_e32 vcc_lo, 0x7f800000, v5
                                        ; implicit-def: $vgpr5
	s_and_saveexec_b32 s12, vcc_lo
	s_xor_b32 s12, exec_lo, s12
; %bb.1074:                             ;   in Loop: Header=BB12_49 Depth=1
	v_bfe_u32 v5, v6, 16, 1
	s_delay_alu instid0(VALU_DEP_1)
	v_add3_u32 v5, v6, v5, 0x7fff
                                        ; implicit-def: $vgpr6
; %bb.1075:                             ;   in Loop: Header=BB12_49 Depth=1
	s_and_not1_saveexec_b32 s12, s12
; %bb.1076:                             ;   in Loop: Header=BB12_49 Depth=1
	v_and_b32_e32 v5, 0xffff, v6
	v_or_b32_e32 v7, 0x10000, v6
	s_delay_alu instid0(VALU_DEP_2) | instskip(NEXT) | instid1(VALU_DEP_2)
	v_cmp_eq_u32_e32 vcc_lo, 0, v5
	v_cndmask_b32_e32 v5, v7, v6, vcc_lo
; %bb.1077:                             ;   in Loop: Header=BB12_49 Depth=1
	s_or_b32 exec_lo, exec_lo, s12
	v_and_b32_e32 v6, 0xffff0000, v13
	s_delay_alu instid0(VALU_DEP_1) | instskip(NEXT) | instid1(VALU_DEP_1)
	v_mul_f32_e32 v6, v0, v6
	v_and_b32_e32 v0, 0x7f800000, v6
	s_delay_alu instid0(VALU_DEP_1) | instskip(SKIP_1) | instid1(SALU_CYCLE_1)
	v_cmp_ne_u32_e32 vcc_lo, 0x7f800000, v0
                                        ; implicit-def: $vgpr0
	s_and_saveexec_b32 s12, vcc_lo
	s_xor_b32 s12, exec_lo, s12
; %bb.1078:                             ;   in Loop: Header=BB12_49 Depth=1
	v_bfe_u32 v0, v6, 16, 1
	s_delay_alu instid0(VALU_DEP_1)
	v_add3_u32 v0, v6, v0, 0x7fff
                                        ; implicit-def: $vgpr6
; %bb.1079:                             ;   in Loop: Header=BB12_49 Depth=1
	s_and_not1_saveexec_b32 s12, s12
; %bb.1080:                             ;   in Loop: Header=BB12_49 Depth=1
	v_and_b32_e32 v0, 0xffff, v6
	v_or_b32_e32 v7, 0x10000, v6
	s_delay_alu instid0(VALU_DEP_2) | instskip(NEXT) | instid1(VALU_DEP_2)
	v_cmp_eq_u32_e32 vcc_lo, 0, v0
	v_cndmask_b32_e32 v0, v7, v6, vcc_lo
; %bb.1081:                             ;   in Loop: Header=BB12_49 Depth=1
	s_or_b32 exec_lo, exec_lo, s12
	scratch_load_b128 v[10:13], off, s33 offset:240
	v_and_b32_e32 v1, 0xffff0000, v1
	s_wait_loadcnt 0x0
	v_lshlrev_b32_e32 v6, 16, v10
	s_delay_alu instid0(VALU_DEP_1) | instskip(NEXT) | instid1(VALU_DEP_1)
	v_add_f32_e32 v6, v1, v6
	v_and_b32_e32 v1, 0x7f800000, v6
	s_delay_alu instid0(VALU_DEP_1) | instskip(SKIP_2) | instid1(SALU_CYCLE_1)
	v_cmp_ne_u32_e32 vcc_lo, 0x7f800000, v1
                                        ; implicit-def: $vgpr1
	s_wait_xcnt 0x0
	s_and_saveexec_b32 s12, vcc_lo
	s_xor_b32 s12, exec_lo, s12
; %bb.1082:                             ;   in Loop: Header=BB12_49 Depth=1
	v_bfe_u32 v1, v6, 16, 1
	s_delay_alu instid0(VALU_DEP_1)
	v_add3_u32 v1, v6, v1, 0x7fff
                                        ; implicit-def: $vgpr6
; %bb.1083:                             ;   in Loop: Header=BB12_49 Depth=1
	s_and_not1_saveexec_b32 s12, s12
; %bb.1084:                             ;   in Loop: Header=BB12_49 Depth=1
	v_and_b32_e32 v1, 0xffff, v6
	v_or_b32_e32 v7, 0x10000, v6
	s_delay_alu instid0(VALU_DEP_2) | instskip(NEXT) | instid1(VALU_DEP_2)
	v_cmp_eq_u32_e32 vcc_lo, 0, v1
	v_cndmask_b32_e32 v1, v7, v6, vcc_lo
; %bb.1085:                             ;   in Loop: Header=BB12_49 Depth=1
	s_or_b32 exec_lo, exec_lo, s12
	v_and_b32_e32 v7, 0xffff0000, v10
	v_and_b32_e32 v6, 0xffff0000, v14
	s_mov_b32 s12, exec_lo
                                        ; implicit-def: $vgpr10
	s_delay_alu instid0(VALU_DEP_2) | instskip(NEXT) | instid1(VALU_DEP_1)
	v_mov_b32_e32 v8, v7
	v_pk_add_f32 v[14:15], v[8:9], v[6:7]
	s_delay_alu instid0(VALU_DEP_1) | instskip(NEXT) | instid1(VALU_DEP_1)
	v_and_b32_e32 v6, 0x7f800000, v14
	v_cmpx_ne_u32_e32 0x7f800000, v6
	s_xor_b32 s12, exec_lo, s12
; %bb.1086:                             ;   in Loop: Header=BB12_49 Depth=1
	v_bfe_u32 v6, v14, 16, 1
	s_delay_alu instid0(VALU_DEP_1)
	v_add3_u32 v10, v14, v6, 0x7fff
                                        ; implicit-def: $vgpr14_vgpr15
; %bb.1087:                             ;   in Loop: Header=BB12_49 Depth=1
	s_and_not1_saveexec_b32 s12, s12
; %bb.1088:                             ;   in Loop: Header=BB12_49 Depth=1
	v_and_b32_e32 v6, 0xffff, v14
	v_or_b32_e32 v7, 0x10000, v14
	s_delay_alu instid0(VALU_DEP_2) | instskip(NEXT) | instid1(VALU_DEP_2)
	v_cmp_eq_u32_e32 vcc_lo, 0, v6
	v_cndmask_b32_e32 v10, v7, v14, vcc_lo
; %bb.1089:                             ;   in Loop: Header=BB12_49 Depth=1
	s_or_b32 exec_lo, exec_lo, s12
	v_and_b32_e32 v6, 0xffff0000, v18
	v_lshlrev_b32_e32 v7, 16, v11
	s_mov_b32 s12, exec_lo
                                        ; implicit-def: $vgpr14
	s_delay_alu instid0(VALU_DEP_1) | instskip(NEXT) | instid1(VALU_DEP_1)
	v_add_f32_e32 v6, v6, v7
	v_and_b32_e32 v7, 0x7f800000, v6
	s_delay_alu instid0(VALU_DEP_1)
	v_cmpx_ne_u32_e32 0x7f800000, v7
	s_xor_b32 s12, exec_lo, s12
; %bb.1090:                             ;   in Loop: Header=BB12_49 Depth=1
	v_bfe_u32 v7, v6, 16, 1
	s_delay_alu instid0(VALU_DEP_1)
	v_add3_u32 v14, v6, v7, 0x7fff
                                        ; implicit-def: $vgpr6
; %bb.1091:                             ;   in Loop: Header=BB12_49 Depth=1
	s_and_not1_saveexec_b32 s12, s12
; %bb.1092:                             ;   in Loop: Header=BB12_49 Depth=1
	v_and_b32_e32 v7, 0xffff, v6
	v_or_b32_e32 v8, 0x10000, v6
	s_delay_alu instid0(VALU_DEP_2) | instskip(NEXT) | instid1(VALU_DEP_2)
	v_cmp_eq_u32_e32 vcc_lo, 0, v7
	v_cndmask_b32_e32 v14, v8, v6, vcc_lo
; %bb.1093:                             ;   in Loop: Header=BB12_49 Depth=1
	s_or_b32 exec_lo, exec_lo, s12
	v_and_b32_e32 v6, 0xffff0000, v11
	v_and_b32_e32 v7, 0xffff0000, v16
	s_mov_b32 s12, exec_lo
                                        ; implicit-def: $vgpr11
	s_delay_alu instid0(VALU_DEP_1) | instskip(NEXT) | instid1(VALU_DEP_1)
	v_add_f32_e32 v6, v7, v6
	v_and_b32_e32 v7, 0x7f800000, v6
	s_delay_alu instid0(VALU_DEP_1)
	v_cmpx_ne_u32_e32 0x7f800000, v7
	s_xor_b32 s12, exec_lo, s12
; %bb.1094:                             ;   in Loop: Header=BB12_49 Depth=1
	v_bfe_u32 v7, v6, 16, 1
	s_delay_alu instid0(VALU_DEP_1)
	v_add3_u32 v11, v6, v7, 0x7fff
                                        ; implicit-def: $vgpr6
; %bb.1095:                             ;   in Loop: Header=BB12_49 Depth=1
	s_and_not1_saveexec_b32 s12, s12
; %bb.1096:                             ;   in Loop: Header=BB12_49 Depth=1
	v_and_b32_e32 v7, 0xffff, v6
	v_or_b32_e32 v8, 0x10000, v6
	s_delay_alu instid0(VALU_DEP_2) | instskip(NEXT) | instid1(VALU_DEP_2)
	v_cmp_eq_u32_e32 vcc_lo, 0, v7
	v_cndmask_b32_e32 v11, v8, v6, vcc_lo
; %bb.1097:                             ;   in Loop: Header=BB12_49 Depth=1
	s_or_b32 exec_lo, exec_lo, s12
	v_and_b32_e32 v6, 0xffff0000, v17
	v_lshlrev_b32_e32 v7, 16, v12
	s_delay_alu instid0(VALU_DEP_1) | instskip(NEXT) | instid1(VALU_DEP_1)
	v_add_f32_e32 v7, v6, v7
	v_and_b32_e32 v6, 0x7f800000, v7
	s_delay_alu instid0(VALU_DEP_1) | instskip(SKIP_1) | instid1(SALU_CYCLE_1)
	v_cmp_ne_u32_e32 vcc_lo, 0x7f800000, v6
                                        ; implicit-def: $vgpr6
	s_and_saveexec_b32 s12, vcc_lo
	s_xor_b32 s12, exec_lo, s12
; %bb.1098:                             ;   in Loop: Header=BB12_49 Depth=1
	v_bfe_u32 v6, v7, 16, 1
	s_delay_alu instid0(VALU_DEP_1)
	v_add3_u32 v6, v7, v6, 0x7fff
                                        ; implicit-def: $vgpr7
; %bb.1099:                             ;   in Loop: Header=BB12_49 Depth=1
	s_and_not1_saveexec_b32 s12, s12
; %bb.1100:                             ;   in Loop: Header=BB12_49 Depth=1
	v_and_b32_e32 v6, 0xffff, v7
	v_or_b32_e32 v8, 0x10000, v7
	s_delay_alu instid0(VALU_DEP_2) | instskip(NEXT) | instid1(VALU_DEP_2)
	v_cmp_eq_u32_e32 vcc_lo, 0, v6
	v_cndmask_b32_e32 v6, v8, v7, vcc_lo
; %bb.1101:                             ;   in Loop: Header=BB12_49 Depth=1
	s_or_b32 exec_lo, exec_lo, s12
	v_and_b32_e32 v7, 0xffff0000, v12
	v_and_b32_e32 v4, 0xffff0000, v4
	s_delay_alu instid0(VALU_DEP_1) | instskip(NEXT) | instid1(VALU_DEP_1)
	v_add_f32_e32 v7, v4, v7
	v_and_b32_e32 v4, 0x7f800000, v7
	s_delay_alu instid0(VALU_DEP_1) | instskip(SKIP_1) | instid1(SALU_CYCLE_1)
	v_cmp_ne_u32_e32 vcc_lo, 0x7f800000, v4
                                        ; implicit-def: $vgpr4
	s_and_saveexec_b32 s12, vcc_lo
	s_xor_b32 s12, exec_lo, s12
; %bb.1102:                             ;   in Loop: Header=BB12_49 Depth=1
	v_bfe_u32 v4, v7, 16, 1
	s_delay_alu instid0(VALU_DEP_1)
	v_add3_u32 v4, v7, v4, 0x7fff
                                        ; implicit-def: $vgpr7
; %bb.1103:                             ;   in Loop: Header=BB12_49 Depth=1
	s_and_not1_saveexec_b32 s12, s12
; %bb.1104:                             ;   in Loop: Header=BB12_49 Depth=1
	v_and_b32_e32 v4, 0xffff, v7
	v_or_b32_e32 v8, 0x10000, v7
	s_delay_alu instid0(VALU_DEP_2) | instskip(NEXT) | instid1(VALU_DEP_2)
	v_cmp_eq_u32_e32 vcc_lo, 0, v4
	v_cndmask_b32_e32 v4, v8, v7, vcc_lo
; %bb.1105:                             ;   in Loop: Header=BB12_49 Depth=1
	s_or_b32 exec_lo, exec_lo, s12
	v_and_b32_e32 v5, 0xffff0000, v5
	v_lshlrev_b32_e32 v7, 16, v13
	s_delay_alu instid0(VALU_DEP_1) | instskip(NEXT) | instid1(VALU_DEP_1)
	v_add_f32_e32 v7, v5, v7
	v_and_b32_e32 v5, 0x7f800000, v7
	s_delay_alu instid0(VALU_DEP_1) | instskip(SKIP_1) | instid1(SALU_CYCLE_1)
	v_cmp_ne_u32_e32 vcc_lo, 0x7f800000, v5
                                        ; implicit-def: $vgpr5
	s_and_saveexec_b32 s12, vcc_lo
	s_xor_b32 s12, exec_lo, s12
; %bb.1106:                             ;   in Loop: Header=BB12_49 Depth=1
	v_bfe_u32 v5, v7, 16, 1
	s_delay_alu instid0(VALU_DEP_1)
	v_add3_u32 v5, v7, v5, 0x7fff
                                        ; implicit-def: $vgpr7
; %bb.1107:                             ;   in Loop: Header=BB12_49 Depth=1
	s_and_not1_saveexec_b32 s12, s12
; %bb.1108:                             ;   in Loop: Header=BB12_49 Depth=1
	v_and_b32_e32 v5, 0xffff, v7
	v_or_b32_e32 v8, 0x10000, v7
	s_delay_alu instid0(VALU_DEP_2) | instskip(NEXT) | instid1(VALU_DEP_2)
	v_cmp_eq_u32_e32 vcc_lo, 0, v5
	v_cndmask_b32_e32 v5, v8, v7, vcc_lo
; %bb.1109:                             ;   in Loop: Header=BB12_49 Depth=1
	s_or_b32 exec_lo, exec_lo, s12
	v_and_b32_e32 v7, 0xffff0000, v13
	v_and_b32_e32 v0, 0xffff0000, v0
	s_delay_alu instid0(VALU_DEP_1) | instskip(NEXT) | instid1(VALU_DEP_1)
	v_add_f32_e32 v7, v0, v7
	v_and_b32_e32 v0, 0x7f800000, v7
	s_delay_alu instid0(VALU_DEP_1) | instskip(SKIP_1) | instid1(SALU_CYCLE_1)
	v_cmp_ne_u32_e32 vcc_lo, 0x7f800000, v0
                                        ; implicit-def: $vgpr0
	s_and_saveexec_b32 s12, vcc_lo
	s_xor_b32 s12, exec_lo, s12
; %bb.1110:                             ;   in Loop: Header=BB12_49 Depth=1
	v_bfe_u32 v0, v7, 16, 1
	s_delay_alu instid0(VALU_DEP_1)
	v_add3_u32 v0, v7, v0, 0x7fff
                                        ; implicit-def: $vgpr7
; %bb.1111:                             ;   in Loop: Header=BB12_49 Depth=1
	s_and_not1_saveexec_b32 s12, s12
; %bb.1112:                             ;   in Loop: Header=BB12_49 Depth=1
	v_and_b32_e32 v0, 0xffff, v7
	v_or_b32_e32 v8, 0x10000, v7
	s_delay_alu instid0(VALU_DEP_2) | instskip(NEXT) | instid1(VALU_DEP_2)
	v_cmp_eq_u32_e32 vcc_lo, 0, v0
	v_cndmask_b32_e32 v0, v8, v7, vcc_lo
; %bb.1113:                             ;   in Loop: Header=BB12_49 Depth=1
	s_or_b32 exec_lo, exec_lo, s12
	v_dual_lshrrev_b32 v7, 16, v14 :: v_dual_lshrrev_b32 v1, 16, v1
	v_dual_lshrrev_b32 v8, 16, v6 :: v_dual_lshrrev_b32 v5, 16, v5
	s_delay_alu instid0(VALU_DEP_2) | instskip(NEXT) | instid1(VALU_DEP_3)
	v_and_or_b32 v7, 0xffff0000, v11, v7
	v_and_or_b32 v6, 0xffff0000, v10, v1
	s_delay_alu instid0(VALU_DEP_3) | instskip(NEXT) | instid1(VALU_DEP_4)
	v_and_or_b32 v8, 0xffff0000, v4, v8
	v_and_or_b32 v9, 0xffff0000, v0, v5
	global_store_b128 v[2:3], v[6:9], off th:TH_STORE_NT
.LBB12_1114:                            ;   in Loop: Header=BB12_49 Depth=1
	s_wait_xcnt 0x0
	s_or_b32 exec_lo, exec_lo, s11
	v_and_b32_e32 v1, 14, v112
	s_mov_b32 s12, s13
	s_mov_b32 s11, exec_lo
                                        ; implicit-def: $vgpr18
                                        ; implicit-def: $vgpr0
                                        ; implicit-def: $vgpr19
	s_delay_alu instid0(VALU_DEP_1) | instskip(NEXT) | instid1(VALU_DEP_1)
	v_cndmask_b32_e64 v112, v23, v1, s10
	v_cmpx_ne_u32_e32 0, v112
	s_cbranch_execz .LBB12_1116
; %bb.1115:                             ;   in Loop: Header=BB12_49 Depth=1
	v_cmp_lt_i32_e32 vcc_lo, 0, v24
	s_or_b32 s12, s13, exec_lo
	v_dual_cndmask_b32 v0, 0, v72 :: v_dual_sub_nc_u32 v1, v23, v1
	s_delay_alu instid0(VALU_DEP_1) | instskip(NEXT) | instid1(VALU_DEP_1)
	v_dual_cndmask_b32 v1, 0, v1, s10 :: v_dual_sub_nc_u32 v0, v0, v24
	v_add3_u32 v18, v22, v20, v1
	s_delay_alu instid0(VALU_DEP_2) | instskip(NEXT) | instid1(VALU_DEP_1)
	v_lshl_add_u32 v0, v0, 5, v21
	v_ashrrev_i32_e32 v2, 31, v0
	s_delay_alu instid0(VALU_DEP_1) | instskip(NEXT) | instid1(VALU_DEP_1)
	v_lshrrev_b32_e32 v2, 27, v2
	v_add_nc_u32_e32 v2, v0, v2
	s_delay_alu instid0(VALU_DEP_1) | instskip(NEXT) | instid1(VALU_DEP_1)
	v_and_b32_e32 v2, 0xffffffe0, v2
	v_sub_nc_u32_e32 v19, v0, v2
.LBB12_1116:                            ;   in Loop: Header=BB12_49 Depth=1
	s_or_b32 exec_lo, exec_lo, s11
	s_delay_alu instid0(SALU_CYCLE_1) | instskip(SKIP_1) | instid1(SALU_CYCLE_1)
	s_and_not1_b32 s10, s13, exec_lo
	s_and_b32 s11, s12, exec_lo
	s_or_b32 s13, s10, s11
.LBB12_1117:                            ;   in Loop: Header=BB12_49 Depth=1
	s_or_b32 exec_lo, exec_lo, s28
	s_and_saveexec_b32 s14, s13
	s_cbranch_execz .LBB12_1549
.LBB12_1118:                            ;   in Loop: Header=BB12_49 Depth=1
	s_delay_alu instid0(VALU_DEP_1) | instskip(SKIP_1) | instid1(VALU_DEP_2)
	v_dual_ashrrev_i32 v1, 31, v0 :: v_dual_lshlrev_b32 v2, 1, v19
	v_dual_ashrrev_i32 v3, 31, v112 :: v_dual_mov_b32 v87, 0
	v_dual_mov_b32 v53, 0 :: v_dual_lshrrev_b32 v1, 27, v1
	v_dual_mov_b32 v85, 0 :: v_dual_mov_b32 v83, 0
	v_dual_mov_b32 v81, 0 :: v_dual_mov_b32 v71, 0
	s_delay_alu instid0(VALU_DEP_3) | instskip(SKIP_1) | instid1(VALU_DEP_2)
	v_dual_add_nc_u32 v0, v0, v1 :: v_dual_mov_b32 v68, 0
	v_dual_lshrrev_b32 v1, 22, v3 :: v_dual_mov_b32 v67, 0
	v_dual_mov_b32 v66, 0 :: v_dual_ashrrev_i32 v0, 5, v0
	s_delay_alu instid0(VALU_DEP_2) | instskip(SKIP_1) | instid1(VALU_DEP_3)
	v_dual_mov_b32 v54, 0 :: v_dual_add_nc_u32 v1, v112, v1
	v_dual_mov_b32 v65, 0 :: v_dual_mov_b32 v64, 0
	v_dual_mov_b32 v52, 0 :: v_dual_lshlrev_b32 v3, 10, v0
	s_delay_alu instid0(VALU_DEP_3) | instskip(SKIP_1) | instid1(VALU_DEP_3)
	v_dual_ashrrev_i32 v20, 10, v1 :: v_dual_mov_b32 v4, 0
	v_dual_mov_b32 v51, 0 :: v_dual_mov_b32 v5, 0
	v_add3_u32 v12, v18, v2, v3
	s_delay_alu instid0(VALU_DEP_3)
	v_dual_mov_b32 v48, 0 :: v_dual_sub_nc_u32 v39, v20, v0
	scratch_load_b64 v[0:1], off, s33 offset:336 ; 8-byte Folded Reload
	v_dual_mov_b32 v31, 0 :: v_dual_ashrrev_i32 v13, 31, v12
	v_dual_mov_b32 v50, 0 :: v_dual_mov_b32 v49, 0
	v_dual_mov_b32 v24, 0 :: v_dual_mov_b32 v23, 0
	;; [unrolled: 1-line block ×6, first 2 shown]
	s_mov_b32 s11, 0
	s_mov_b32 s10, exec_lo
	s_wait_loadcnt 0x0
	v_add_nc_u64_e32 v[10:11], v[0:1], v[12:13]
	v_dual_mov_b32 v1, 0 :: v_dual_mov_b32 v0, 0
	s_wait_xcnt 0x0
	v_cmpx_lt_i32_e32 0, v39
	s_cbranch_execz .LBB12_1382
; %bb.1119:                             ;   in Loop: Header=BB12_49 Depth=1
	s_trap 2
	scratch_load_b64 v[2:3], off, s33 offset:264 ; 8-byte Folded Reload
	ds_load_b64 v[0:1], v0
	v_dual_mov_b32 v91, v112 :: v_dual_mov_b32 v62, v103
	s_mov_b32 s13, 0
	s_mov_b32 s12, 0
                                        ; implicit-def: $sgpr11
                                        ; implicit-def: $vgpr42
                                        ; implicit-def: $vgpr118
                                        ; implicit-def: $vgpr116
                                        ; implicit-def: $vgpr114
                                        ; implicit-def: $vgpr112
                                        ; implicit-def: $vgpr102
                                        ; implicit-def: $vgpr100
                                        ; implicit-def: $vgpr98
                                        ; implicit-def: $vgpr96
                                        ; implicit-def: $vgpr86
                                        ; implicit-def: $vgpr84
                                        ; implicit-def: $vgpr82
                                        ; implicit-def: $vgpr80
                                        ; implicit-def: $vgpr70
                                        ; implicit-def: $vgpr69
                                        ; implicit-def: $vgpr21
                                        ; implicit-def: $vgpr22
                                        ; implicit-def: $vgpr23
                                        ; implicit-def: $vgpr24
                                        ; implicit-def: $vgpr25
                                        ; implicit-def: $vgpr26
                                        ; implicit-def: $vgpr27
                                        ; implicit-def: $vgpr28
                                        ; implicit-def: $vgpr29
                                        ; implicit-def: $vgpr32
                                        ; implicit-def: $vgpr33
                                        ; implicit-def: $vgpr34
                                        ; implicit-def: $vgpr35
                                        ; implicit-def: $vgpr36
                                        ; implicit-def: $vgpr37
                                        ; implicit-def: $vgpr38
	s_wait_loadcnt 0x0
	v_add_nc_u64_e32 v[2:3], v[12:13], v[2:3]
	s_wait_dscnt 0x0
	v_add_nc_u64_e32 v[12:13], v[0:1], v[12:13]
                                        ; implicit-def: $vgpr1
	s_branch .LBB12_1121
.LBB12_1120:                            ;   in Loop: Header=BB12_1121 Depth=2
	s_or_b32 exec_lo, exec_lo, s15
	s_clause 0x7
	flat_store_d16_hi_b16 v[10:11], v4 th:TH_STORE_NT
	flat_store_d16_hi_b16 v[10:11], v15 offset:64 th:TH_STORE_NT
	flat_store_d16_hi_b16 v[10:11], v71 offset:128 th:TH_STORE_NT
	;; [unrolled: 1-line block ×7, first 2 shown]
	s_wait_xcnt 0x7
	v_dual_cndmask_b32 v4, 0, v72, s13 :: v_dual_cndmask_b32 v49, 0, v95, s13
	s_wait_xcnt 0x6
	v_add_nc_u64_e32 v[14:15], v[12:13], v[78:79]
	v_add_nc_u64_e32 v[8:9], v[2:3], v[78:79]
	v_cndmask_b32_e64 v48, 0x400, v94, s13
	v_sub_nc_u32_e32 v39, v39, v4
	s_clause 0x7
	flat_store_d16_hi_b16 v[10:11], v55 offset:512 th:TH_STORE_NT
	flat_store_d16_hi_b16 v[10:11], v54 offset:576 th:TH_STORE_NT
	;; [unrolled: 1-line block ×8, first 2 shown]
	v_cndmask_b32_e64 v13, v13, v15, s13
	v_cmp_gt_i32_e32 vcc_lo, 1, v39
	s_wait_xcnt 0x0
	v_add_nc_u64_e32 v[10:11], v[10:11], v[48:49]
	v_dual_cndmask_b32 v3, v3, v9, s13 :: v_dual_cndmask_b32 v2, v2, v8, s13
	v_cndmask_b32_e64 v12, v12, v14, s13
	s_or_b32 s12, vcc_lo, s12
	s_and_not1_b32 s11, s11, exec_lo
	s_and_b32 s15, s13, exec_lo
	s_delay_alu instid0(SALU_CYCLE_1)
	s_or_b32 s11, s11, s15
	s_and_not1_b32 exec_lo, exec_lo, s12
	s_cbranch_execz .LBB12_1381
.LBB12_1121:                            ;   Parent Loop BB12_49 Depth=1
                                        ; =>  This Inner Loop Header: Depth=2
	s_clause 0xf
	flat_load_u16 v61, v[2:3] th:TH_LOAD_NT
	flat_load_u16 v60, v[2:3] offset:64 th:TH_LOAD_NT
	flat_load_u16 v45, v[2:3] offset:128 th:TH_LOAD_NT
	;; [unrolled: 1-line block ×15, first 2 shown]
	s_clause 0xf
	flat_load_u16 v83, v[12:13] th:TH_LOAD_NT
	flat_load_u16 v81, v[12:13] offset:64 th:TH_LOAD_NT
	flat_load_u16 v71, v[12:13] offset:128 th:TH_LOAD_NT
	;; [unrolled: 1-line block ×15, first 2 shown]
	s_wait_xcnt 0x0
	s_and_saveexec_b32 s15, s13
	s_cbranch_execz .LBB12_1251
; %bb.1122:                             ;   in Loop: Header=BB12_1121 Depth=2
	s_trap 2
	s_wait_loadcnt_dscnt 0x1414
	ds_load_b32 v4, v0
	s_wait_dscnt 0x0
	v_dual_lshlrev_b32 v14, 16, v42 :: v_dual_lshlrev_b32 v15, 16, v4
	s_delay_alu instid0(VALU_DEP_1) | instskip(NEXT) | instid1(VALU_DEP_1)
	v_mov_b32_e32 v4, v15
	v_pk_mul_f32 v[16:17], v[4:5], v[14:15]
	s_delay_alu instid0(VALU_DEP_1) | instskip(NEXT) | instid1(VALU_DEP_1)
	v_and_b32_e32 v4, 0x7f800000, v16
	v_cmp_ne_u32_e32 vcc_lo, 0x7f800000, v4
                                        ; implicit-def: $vgpr4
	s_and_saveexec_b32 s13, vcc_lo
	s_delay_alu instid0(SALU_CYCLE_1)
	s_xor_b32 s13, exec_lo, s13
; %bb.1123:                             ;   in Loop: Header=BB12_1121 Depth=2
	v_bfe_u32 v4, v16, 16, 1
	s_delay_alu instid0(VALU_DEP_1)
	v_add3_u32 v4, v16, v4, 0x7fff
                                        ; implicit-def: $vgpr16_vgpr17
; %bb.1124:                             ;   in Loop: Header=BB12_1121 Depth=2
	s_and_not1_saveexec_b32 s13, s13
; %bb.1125:                             ;   in Loop: Header=BB12_1121 Depth=2
	v_and_b32_e32 v4, 0xffff, v16
	v_or_b32_e32 v5, 0x10000, v16
	s_delay_alu instid0(VALU_DEP_2) | instskip(NEXT) | instid1(VALU_DEP_2)
	v_cmp_eq_u32_e32 vcc_lo, 0, v4
	v_cndmask_b32_e32 v4, v5, v16, vcc_lo
; %bb.1126:                             ;   in Loop: Header=BB12_1121 Depth=2
	s_or_b32 exec_lo, exec_lo, s13
	v_lshlrev_b32_e32 v5, 16, v118
	s_mov_b32 s13, exec_lo
                                        ; implicit-def: $vgpr42
	s_delay_alu instid0(VALU_DEP_1) | instskip(NEXT) | instid1(VALU_DEP_1)
	v_mul_f32_e32 v5, v15, v5
	v_and_b32_e32 v6, 0x7f800000, v5
	s_delay_alu instid0(VALU_DEP_1)
	v_cmpx_ne_u32_e32 0x7f800000, v6
	s_xor_b32 s13, exec_lo, s13
; %bb.1127:                             ;   in Loop: Header=BB12_1121 Depth=2
	v_bfe_u32 v6, v5, 16, 1
	s_delay_alu instid0(VALU_DEP_1)
	v_add3_u32 v42, v5, v6, 0x7fff
                                        ; implicit-def: $vgpr5
; %bb.1128:                             ;   in Loop: Header=BB12_1121 Depth=2
	s_and_not1_saveexec_b32 s13, s13
; %bb.1129:                             ;   in Loop: Header=BB12_1121 Depth=2
	v_and_b32_e32 v6, 0xffff, v5
	v_or_b32_e32 v7, 0x10000, v5
	s_delay_alu instid0(VALU_DEP_2) | instskip(NEXT) | instid1(VALU_DEP_2)
	v_cmp_eq_u32_e32 vcc_lo, 0, v6
	v_cndmask_b32_e32 v42, v7, v5, vcc_lo
; %bb.1130:                             ;   in Loop: Header=BB12_1121 Depth=2
	s_or_b32 exec_lo, exec_lo, s13
	v_lshlrev_b32_e32 v5, 16, v116
	s_mov_b32 s13, exec_lo
                                        ; implicit-def: $vgpr118
	s_delay_alu instid0(VALU_DEP_1) | instskip(NEXT) | instid1(VALU_DEP_1)
	v_mul_f32_e32 v5, v15, v5
	v_and_b32_e32 v6, 0x7f800000, v5
	s_delay_alu instid0(VALU_DEP_1)
	v_cmpx_ne_u32_e32 0x7f800000, v6
	s_xor_b32 s13, exec_lo, s13
; %bb.1131:                             ;   in Loop: Header=BB12_1121 Depth=2
	v_bfe_u32 v6, v5, 16, 1
	s_delay_alu instid0(VALU_DEP_1)
	v_add3_u32 v118, v5, v6, 0x7fff
                                        ; implicit-def: $vgpr5
; %bb.1132:                             ;   in Loop: Header=BB12_1121 Depth=2
	s_and_not1_saveexec_b32 s13, s13
; %bb.1133:                             ;   in Loop: Header=BB12_1121 Depth=2
	v_and_b32_e32 v6, 0xffff, v5
	v_or_b32_e32 v7, 0x10000, v5
	s_delay_alu instid0(VALU_DEP_2) | instskip(NEXT) | instid1(VALU_DEP_2)
	v_cmp_eq_u32_e32 vcc_lo, 0, v6
	v_cndmask_b32_e32 v118, v7, v5, vcc_lo
; %bb.1134:                             ;   in Loop: Header=BB12_1121 Depth=2
	s_or_b32 exec_lo, exec_lo, s13
	v_lshlrev_b32_e32 v5, 16, v114
	s_mov_b32 s13, exec_lo
                                        ; implicit-def: $vgpr116
	s_delay_alu instid0(VALU_DEP_1) | instskip(NEXT) | instid1(VALU_DEP_1)
	v_mul_f32_e32 v5, v15, v5
	v_and_b32_e32 v6, 0x7f800000, v5
	s_delay_alu instid0(VALU_DEP_1)
	v_cmpx_ne_u32_e32 0x7f800000, v6
	s_xor_b32 s13, exec_lo, s13
; %bb.1135:                             ;   in Loop: Header=BB12_1121 Depth=2
	v_bfe_u32 v6, v5, 16, 1
	s_delay_alu instid0(VALU_DEP_1)
	v_add3_u32 v116, v5, v6, 0x7fff
                                        ; implicit-def: $vgpr5
; %bb.1136:                             ;   in Loop: Header=BB12_1121 Depth=2
	s_and_not1_saveexec_b32 s13, s13
; %bb.1137:                             ;   in Loop: Header=BB12_1121 Depth=2
	v_and_b32_e32 v6, 0xffff, v5
	v_or_b32_e32 v7, 0x10000, v5
	s_delay_alu instid0(VALU_DEP_2) | instskip(NEXT) | instid1(VALU_DEP_2)
	v_cmp_eq_u32_e32 vcc_lo, 0, v6
	v_cndmask_b32_e32 v116, v7, v5, vcc_lo
; %bb.1138:                             ;   in Loop: Header=BB12_1121 Depth=2
	s_or_b32 exec_lo, exec_lo, s13
	v_lshlrev_b32_e32 v5, 16, v112
	s_mov_b32 s13, exec_lo
                                        ; implicit-def: $vgpr114
	s_delay_alu instid0(VALU_DEP_1) | instskip(NEXT) | instid1(VALU_DEP_1)
	v_mul_f32_e32 v5, v15, v5
	v_and_b32_e32 v6, 0x7f800000, v5
	s_delay_alu instid0(VALU_DEP_1)
	v_cmpx_ne_u32_e32 0x7f800000, v6
	s_xor_b32 s13, exec_lo, s13
; %bb.1139:                             ;   in Loop: Header=BB12_1121 Depth=2
	v_bfe_u32 v6, v5, 16, 1
	s_delay_alu instid0(VALU_DEP_1)
	v_add3_u32 v114, v5, v6, 0x7fff
                                        ; implicit-def: $vgpr5
; %bb.1140:                             ;   in Loop: Header=BB12_1121 Depth=2
	s_and_not1_saveexec_b32 s13, s13
; %bb.1141:                             ;   in Loop: Header=BB12_1121 Depth=2
	v_and_b32_e32 v6, 0xffff, v5
	v_or_b32_e32 v7, 0x10000, v5
	s_delay_alu instid0(VALU_DEP_2) | instskip(NEXT) | instid1(VALU_DEP_2)
	v_cmp_eq_u32_e32 vcc_lo, 0, v6
	v_cndmask_b32_e32 v114, v7, v5, vcc_lo
; %bb.1142:                             ;   in Loop: Header=BB12_1121 Depth=2
	s_or_b32 exec_lo, exec_lo, s13
	v_lshlrev_b32_e32 v5, 16, v102
	s_mov_b32 s13, exec_lo
                                        ; implicit-def: $vgpr112
	s_delay_alu instid0(VALU_DEP_1) | instskip(NEXT) | instid1(VALU_DEP_1)
	v_mul_f32_e32 v5, v15, v5
	v_and_b32_e32 v6, 0x7f800000, v5
	s_delay_alu instid0(VALU_DEP_1)
	v_cmpx_ne_u32_e32 0x7f800000, v6
	s_xor_b32 s13, exec_lo, s13
; %bb.1143:                             ;   in Loop: Header=BB12_1121 Depth=2
	v_bfe_u32 v6, v5, 16, 1
	s_delay_alu instid0(VALU_DEP_1)
	v_add3_u32 v112, v5, v6, 0x7fff
                                        ; implicit-def: $vgpr5
; %bb.1144:                             ;   in Loop: Header=BB12_1121 Depth=2
	s_and_not1_saveexec_b32 s13, s13
; %bb.1145:                             ;   in Loop: Header=BB12_1121 Depth=2
	v_and_b32_e32 v6, 0xffff, v5
	v_or_b32_e32 v7, 0x10000, v5
	s_delay_alu instid0(VALU_DEP_2) | instskip(NEXT) | instid1(VALU_DEP_2)
	v_cmp_eq_u32_e32 vcc_lo, 0, v6
	v_cndmask_b32_e32 v112, v7, v5, vcc_lo
; %bb.1146:                             ;   in Loop: Header=BB12_1121 Depth=2
	s_or_b32 exec_lo, exec_lo, s13
	v_lshlrev_b32_e32 v1, 16, v1
	s_mov_b32 s13, exec_lo
                                        ; implicit-def: $vgpr102
	s_delay_alu instid0(VALU_DEP_1) | instskip(NEXT) | instid1(VALU_DEP_1)
	v_mul_f32_e32 v1, v15, v1
	v_and_b32_e32 v5, 0x7f800000, v1
	s_delay_alu instid0(VALU_DEP_1)
	v_cmpx_ne_u32_e32 0x7f800000, v5
	s_xor_b32 s13, exec_lo, s13
; %bb.1147:                             ;   in Loop: Header=BB12_1121 Depth=2
	v_bfe_u32 v5, v1, 16, 1
	s_delay_alu instid0(VALU_DEP_1)
	v_add3_u32 v102, v1, v5, 0x7fff
                                        ; implicit-def: $vgpr1
; %bb.1148:                             ;   in Loop: Header=BB12_1121 Depth=2
	s_and_not1_saveexec_b32 s13, s13
; %bb.1149:                             ;   in Loop: Header=BB12_1121 Depth=2
	v_and_b32_e32 v5, 0xffff, v1
	v_or_b32_e32 v6, 0x10000, v1
	s_delay_alu instid0(VALU_DEP_2) | instskip(NEXT) | instid1(VALU_DEP_2)
	v_cmp_eq_u32_e32 vcc_lo, 0, v5
	v_cndmask_b32_e32 v102, v6, v1, vcc_lo
; %bb.1150:                             ;   in Loop: Header=BB12_1121 Depth=2
	s_or_b32 exec_lo, exec_lo, s13
	v_lshlrev_b32_e32 v1, 16, v100
	s_mov_b32 s13, exec_lo
                                        ; implicit-def: $vgpr100
	s_delay_alu instid0(VALU_DEP_1) | instskip(NEXT) | instid1(VALU_DEP_1)
	v_mul_f32_e32 v1, v15, v1
	v_and_b32_e32 v5, 0x7f800000, v1
	s_delay_alu instid0(VALU_DEP_1)
	v_cmpx_ne_u32_e32 0x7f800000, v5
	s_xor_b32 s13, exec_lo, s13
; %bb.1151:                             ;   in Loop: Header=BB12_1121 Depth=2
	v_bfe_u32 v5, v1, 16, 1
	s_delay_alu instid0(VALU_DEP_1)
	v_add3_u32 v100, v1, v5, 0x7fff
                                        ; implicit-def: $vgpr1
; %bb.1152:                             ;   in Loop: Header=BB12_1121 Depth=2
	s_and_not1_saveexec_b32 s13, s13
; %bb.1153:                             ;   in Loop: Header=BB12_1121 Depth=2
	v_and_b32_e32 v5, 0xffff, v1
	v_or_b32_e32 v6, 0x10000, v1
	s_delay_alu instid0(VALU_DEP_2) | instskip(NEXT) | instid1(VALU_DEP_2)
	v_cmp_eq_u32_e32 vcc_lo, 0, v5
	v_cndmask_b32_e32 v100, v6, v1, vcc_lo
; %bb.1154:                             ;   in Loop: Header=BB12_1121 Depth=2
	s_or_b32 exec_lo, exec_lo, s13
	v_lshlrev_b32_e32 v1, 16, v98
	s_mov_b32 s13, exec_lo
                                        ; implicit-def: $vgpr98
	s_delay_alu instid0(VALU_DEP_1) | instskip(NEXT) | instid1(VALU_DEP_1)
	v_mul_f32_e32 v1, v15, v1
	v_and_b32_e32 v5, 0x7f800000, v1
	s_delay_alu instid0(VALU_DEP_1)
	v_cmpx_ne_u32_e32 0x7f800000, v5
	s_xor_b32 s13, exec_lo, s13
; %bb.1155:                             ;   in Loop: Header=BB12_1121 Depth=2
	v_bfe_u32 v5, v1, 16, 1
	s_delay_alu instid0(VALU_DEP_1)
	v_add3_u32 v98, v1, v5, 0x7fff
                                        ; implicit-def: $vgpr1
; %bb.1156:                             ;   in Loop: Header=BB12_1121 Depth=2
	s_and_not1_saveexec_b32 s13, s13
; %bb.1157:                             ;   in Loop: Header=BB12_1121 Depth=2
	v_and_b32_e32 v5, 0xffff, v1
	v_or_b32_e32 v6, 0x10000, v1
	s_delay_alu instid0(VALU_DEP_2) | instskip(NEXT) | instid1(VALU_DEP_2)
	v_cmp_eq_u32_e32 vcc_lo, 0, v5
	v_cndmask_b32_e32 v98, v6, v1, vcc_lo
; %bb.1158:                             ;   in Loop: Header=BB12_1121 Depth=2
	s_or_b32 exec_lo, exec_lo, s13
	v_lshlrev_b32_e32 v1, 16, v96
	s_mov_b32 s13, exec_lo
                                        ; implicit-def: $vgpr96
	s_delay_alu instid0(VALU_DEP_1) | instskip(NEXT) | instid1(VALU_DEP_1)
	v_mul_f32_e32 v1, v15, v1
	v_and_b32_e32 v5, 0x7f800000, v1
	s_delay_alu instid0(VALU_DEP_1)
	v_cmpx_ne_u32_e32 0x7f800000, v5
	s_xor_b32 s13, exec_lo, s13
; %bb.1159:                             ;   in Loop: Header=BB12_1121 Depth=2
	v_bfe_u32 v5, v1, 16, 1
	s_delay_alu instid0(VALU_DEP_1)
	v_add3_u32 v96, v1, v5, 0x7fff
                                        ; implicit-def: $vgpr1
; %bb.1160:                             ;   in Loop: Header=BB12_1121 Depth=2
	s_and_not1_saveexec_b32 s13, s13
; %bb.1161:                             ;   in Loop: Header=BB12_1121 Depth=2
	v_and_b32_e32 v5, 0xffff, v1
	v_or_b32_e32 v6, 0x10000, v1
	s_delay_alu instid0(VALU_DEP_2) | instskip(NEXT) | instid1(VALU_DEP_2)
	v_cmp_eq_u32_e32 vcc_lo, 0, v5
	v_cndmask_b32_e32 v96, v6, v1, vcc_lo
; %bb.1162:                             ;   in Loop: Header=BB12_1121 Depth=2
	s_or_b32 exec_lo, exec_lo, s13
	v_lshlrev_b32_e32 v1, 16, v86
	s_mov_b32 s13, exec_lo
                                        ; implicit-def: $vgpr31
	s_delay_alu instid0(VALU_DEP_1) | instskip(NEXT) | instid1(VALU_DEP_1)
	v_mul_f32_e32 v1, v15, v1
	v_and_b32_e32 v5, 0x7f800000, v1
	s_delay_alu instid0(VALU_DEP_1)
	v_cmpx_ne_u32_e32 0x7f800000, v5
	s_xor_b32 s13, exec_lo, s13
; %bb.1163:                             ;   in Loop: Header=BB12_1121 Depth=2
	v_bfe_u32 v5, v1, 16, 1
	s_delay_alu instid0(VALU_DEP_1)
	v_add3_u32 v31, v1, v5, 0x7fff
                                        ; implicit-def: $vgpr1
; %bb.1164:                             ;   in Loop: Header=BB12_1121 Depth=2
	s_and_not1_saveexec_b32 s13, s13
; %bb.1165:                             ;   in Loop: Header=BB12_1121 Depth=2
	v_and_b32_e32 v5, 0xffff, v1
	v_or_b32_e32 v6, 0x10000, v1
	s_delay_alu instid0(VALU_DEP_2) | instskip(NEXT) | instid1(VALU_DEP_2)
	v_cmp_eq_u32_e32 vcc_lo, 0, v5
	v_cndmask_b32_e32 v31, v6, v1, vcc_lo
; %bb.1166:                             ;   in Loop: Header=BB12_1121 Depth=2
	s_or_b32 exec_lo, exec_lo, s13
	v_lshlrev_b32_e32 v1, 16, v84
	s_mov_b32 s13, exec_lo
                                        ; implicit-def: $vgpr17
	s_delay_alu instid0(VALU_DEP_1) | instskip(NEXT) | instid1(VALU_DEP_1)
	v_mul_f32_e32 v1, v15, v1
	v_and_b32_e32 v5, 0x7f800000, v1
	s_delay_alu instid0(VALU_DEP_1)
	v_cmpx_ne_u32_e32 0x7f800000, v5
	s_xor_b32 s13, exec_lo, s13
; %bb.1167:                             ;   in Loop: Header=BB12_1121 Depth=2
	v_bfe_u32 v5, v1, 16, 1
	s_delay_alu instid0(VALU_DEP_1)
	v_add3_u32 v17, v1, v5, 0x7fff
                                        ; implicit-def: $vgpr1
; %bb.1168:                             ;   in Loop: Header=BB12_1121 Depth=2
	s_and_not1_saveexec_b32 s13, s13
; %bb.1169:                             ;   in Loop: Header=BB12_1121 Depth=2
	v_and_b32_e32 v5, 0xffff, v1
	v_or_b32_e32 v6, 0x10000, v1
	s_delay_alu instid0(VALU_DEP_2) | instskip(NEXT) | instid1(VALU_DEP_2)
	v_cmp_eq_u32_e32 vcc_lo, 0, v5
	v_cndmask_b32_e32 v17, v6, v1, vcc_lo
; %bb.1170:                             ;   in Loop: Header=BB12_1121 Depth=2
	s_or_b32 exec_lo, exec_lo, s13
	v_lshlrev_b32_e32 v1, 16, v82
	s_mov_b32 s13, exec_lo
                                        ; implicit-def: $vgpr16
	s_delay_alu instid0(VALU_DEP_1) | instskip(NEXT) | instid1(VALU_DEP_1)
	v_mul_f32_e32 v1, v15, v1
	v_and_b32_e32 v5, 0x7f800000, v1
	s_delay_alu instid0(VALU_DEP_1)
	v_cmpx_ne_u32_e32 0x7f800000, v5
	s_xor_b32 s13, exec_lo, s13
; %bb.1171:                             ;   in Loop: Header=BB12_1121 Depth=2
	v_bfe_u32 v5, v1, 16, 1
	s_delay_alu instid0(VALU_DEP_1)
	v_add3_u32 v16, v1, v5, 0x7fff
                                        ; implicit-def: $vgpr1
; %bb.1172:                             ;   in Loop: Header=BB12_1121 Depth=2
	s_and_not1_saveexec_b32 s13, s13
; %bb.1173:                             ;   in Loop: Header=BB12_1121 Depth=2
	v_and_b32_e32 v5, 0xffff, v1
	v_or_b32_e32 v6, 0x10000, v1
	s_delay_alu instid0(VALU_DEP_2) | instskip(NEXT) | instid1(VALU_DEP_2)
	v_cmp_eq_u32_e32 vcc_lo, 0, v5
	v_cndmask_b32_e32 v16, v6, v1, vcc_lo
; %bb.1174:                             ;   in Loop: Header=BB12_1121 Depth=2
	s_or_b32 exec_lo, exec_lo, s13
	v_lshlrev_b32_e32 v1, 16, v80
	s_mov_b32 s13, exec_lo
                                        ; implicit-def: $vgpr14
	s_delay_alu instid0(VALU_DEP_1) | instskip(NEXT) | instid1(VALU_DEP_1)
	v_mul_f32_e32 v1, v15, v1
	v_and_b32_e32 v5, 0x7f800000, v1
	s_delay_alu instid0(VALU_DEP_1)
	v_cmpx_ne_u32_e32 0x7f800000, v5
	s_xor_b32 s13, exec_lo, s13
; %bb.1175:                             ;   in Loop: Header=BB12_1121 Depth=2
	v_bfe_u32 v5, v1, 16, 1
	s_delay_alu instid0(VALU_DEP_1)
	v_add3_u32 v14, v1, v5, 0x7fff
                                        ; implicit-def: $vgpr1
; %bb.1176:                             ;   in Loop: Header=BB12_1121 Depth=2
	s_and_not1_saveexec_b32 s13, s13
; %bb.1177:                             ;   in Loop: Header=BB12_1121 Depth=2
	v_and_b32_e32 v5, 0xffff, v1
	v_or_b32_e32 v6, 0x10000, v1
	s_delay_alu instid0(VALU_DEP_2) | instskip(NEXT) | instid1(VALU_DEP_2)
	v_cmp_eq_u32_e32 vcc_lo, 0, v5
	v_cndmask_b32_e32 v14, v6, v1, vcc_lo
; %bb.1178:                             ;   in Loop: Header=BB12_1121 Depth=2
	s_or_b32 exec_lo, exec_lo, s13
	v_lshlrev_b32_e32 v1, 16, v70
	s_delay_alu instid0(VALU_DEP_1) | instskip(NEXT) | instid1(VALU_DEP_1)
	v_mul_f32_e32 v1, v15, v1
	v_and_b32_e32 v5, 0x7f800000, v1
	s_delay_alu instid0(VALU_DEP_1) | instskip(SKIP_1) | instid1(SALU_CYCLE_1)
	v_cmp_ne_u32_e32 vcc_lo, 0x7f800000, v5
                                        ; implicit-def: $vgpr5
	s_and_saveexec_b32 s13, vcc_lo
	s_xor_b32 s13, exec_lo, s13
; %bb.1179:                             ;   in Loop: Header=BB12_1121 Depth=2
	v_bfe_u32 v5, v1, 16, 1
	s_delay_alu instid0(VALU_DEP_1)
	v_add3_u32 v5, v1, v5, 0x7fff
                                        ; implicit-def: $vgpr1
; %bb.1180:                             ;   in Loop: Header=BB12_1121 Depth=2
	s_and_not1_saveexec_b32 s13, s13
; %bb.1181:                             ;   in Loop: Header=BB12_1121 Depth=2
	v_and_b32_e32 v5, 0xffff, v1
	v_or_b32_e32 v6, 0x10000, v1
	s_delay_alu instid0(VALU_DEP_2) | instskip(NEXT) | instid1(VALU_DEP_2)
	v_cmp_eq_u32_e32 vcc_lo, 0, v5
	v_cndmask_b32_e32 v5, v6, v1, vcc_lo
; %bb.1182:                             ;   in Loop: Header=BB12_1121 Depth=2
	s_or_b32 exec_lo, exec_lo, s13
	v_lshlrev_b32_e32 v1, 16, v69
	s_delay_alu instid0(VALU_DEP_1) | instskip(NEXT) | instid1(VALU_DEP_1)
	v_mul_f32_e32 v6, v15, v1
	v_and_b32_e32 v1, 0x7f800000, v6
	s_delay_alu instid0(VALU_DEP_1) | instskip(SKIP_1) | instid1(SALU_CYCLE_1)
	v_cmp_ne_u32_e32 vcc_lo, 0x7f800000, v1
                                        ; implicit-def: $vgpr1
	s_and_saveexec_b32 s13, vcc_lo
	s_xor_b32 s13, exec_lo, s13
; %bb.1183:                             ;   in Loop: Header=BB12_1121 Depth=2
	v_bfe_u32 v1, v6, 16, 1
	s_delay_alu instid0(VALU_DEP_1)
	v_add3_u32 v1, v6, v1, 0x7fff
                                        ; implicit-def: $vgpr6
; %bb.1184:                             ;   in Loop: Header=BB12_1121 Depth=2
	s_and_not1_saveexec_b32 s13, s13
; %bb.1185:                             ;   in Loop: Header=BB12_1121 Depth=2
	v_and_b32_e32 v1, 0xffff, v6
	v_or_b32_e32 v7, 0x10000, v6
	s_delay_alu instid0(VALU_DEP_2) | instskip(NEXT) | instid1(VALU_DEP_2)
	v_cmp_eq_u32_e32 vcc_lo, 0, v1
	v_cndmask_b32_e32 v1, v7, v6, vcc_lo
; %bb.1186:                             ;   in Loop: Header=BB12_1121 Depth=2
	s_or_b32 exec_lo, exec_lo, s13
	v_and_b32_e32 v4, 0xffff0000, v4
	v_lshlrev_b32_e32 v6, 16, v21
	s_delay_alu instid0(VALU_DEP_1) | instskip(NEXT) | instid1(VALU_DEP_1)
	v_add_f32_e32 v6, v6, v4
	v_and_b32_e32 v4, 0x7f800000, v6
	s_delay_alu instid0(VALU_DEP_1) | instskip(SKIP_1) | instid1(SALU_CYCLE_1)
	v_cmp_ne_u32_e32 vcc_lo, 0x7f800000, v4
                                        ; implicit-def: $vgpr4
	s_and_saveexec_b32 s13, vcc_lo
	s_xor_b32 s13, exec_lo, s13
; %bb.1187:                             ;   in Loop: Header=BB12_1121 Depth=2
	v_bfe_u32 v4, v6, 16, 1
	s_delay_alu instid0(VALU_DEP_1)
	v_add3_u32 v4, v6, v4, 0x7fff
                                        ; implicit-def: $vgpr6
; %bb.1188:                             ;   in Loop: Header=BB12_1121 Depth=2
	s_and_not1_saveexec_b32 s13, s13
; %bb.1189:                             ;   in Loop: Header=BB12_1121 Depth=2
	v_and_b32_e32 v4, 0xffff, v6
	v_or_b32_e32 v7, 0x10000, v6
	s_delay_alu instid0(VALU_DEP_2) | instskip(NEXT) | instid1(VALU_DEP_2)
	v_cmp_eq_u32_e32 vcc_lo, 0, v4
	v_cndmask_b32_e32 v4, v7, v6, vcc_lo
; %bb.1190:                             ;   in Loop: Header=BB12_1121 Depth=2
	s_or_b32 exec_lo, exec_lo, s13
	v_and_b32_e32 v6, 0xffff0000, v42
	v_lshlrev_b32_e32 v7, 16, v22
	s_mov_b32 s13, exec_lo
                                        ; implicit-def: $vgpr15
	s_delay_alu instid0(VALU_DEP_1) | instskip(NEXT) | instid1(VALU_DEP_1)
	v_add_f32_e32 v6, v7, v6
	v_and_b32_e32 v7, 0x7f800000, v6
	s_delay_alu instid0(VALU_DEP_1)
	v_cmpx_ne_u32_e32 0x7f800000, v7
	s_xor_b32 s13, exec_lo, s13
; %bb.1191:                             ;   in Loop: Header=BB12_1121 Depth=2
	v_bfe_u32 v7, v6, 16, 1
	s_delay_alu instid0(VALU_DEP_1)
	v_add3_u32 v15, v6, v7, 0x7fff
                                        ; implicit-def: $vgpr6
; %bb.1192:                             ;   in Loop: Header=BB12_1121 Depth=2
	s_and_not1_saveexec_b32 s13, s13
; %bb.1193:                             ;   in Loop: Header=BB12_1121 Depth=2
	v_and_b32_e32 v7, 0xffff, v6
	v_or_b32_e32 v8, 0x10000, v6
	s_delay_alu instid0(VALU_DEP_2) | instskip(NEXT) | instid1(VALU_DEP_2)
	v_cmp_eq_u32_e32 vcc_lo, 0, v7
	v_cndmask_b32_e32 v15, v8, v6, vcc_lo
; %bb.1194:                             ;   in Loop: Header=BB12_1121 Depth=2
	s_or_b32 exec_lo, exec_lo, s13
	v_and_b32_e32 v6, 0xffff0000, v118
	v_lshlrev_b32_e32 v7, 16, v23
	s_mov_b32 s13, exec_lo
                                        ; implicit-def: $vgpr69
	s_delay_alu instid0(VALU_DEP_1) | instskip(NEXT) | instid1(VALU_DEP_1)
	v_add_f32_e32 v6, v7, v6
	v_and_b32_e32 v7, 0x7f800000, v6
	s_delay_alu instid0(VALU_DEP_1)
	v_cmpx_ne_u32_e32 0x7f800000, v7
	s_xor_b32 s13, exec_lo, s13
; %bb.1195:                             ;   in Loop: Header=BB12_1121 Depth=2
	v_bfe_u32 v7, v6, 16, 1
	s_delay_alu instid0(VALU_DEP_1)
	v_add3_u32 v69, v6, v7, 0x7fff
                                        ; implicit-def: $vgpr6
; %bb.1196:                             ;   in Loop: Header=BB12_1121 Depth=2
	s_and_not1_saveexec_b32 s13, s13
; %bb.1197:                             ;   in Loop: Header=BB12_1121 Depth=2
	v_and_b32_e32 v7, 0xffff, v6
	v_or_b32_e32 v8, 0x10000, v6
	s_delay_alu instid0(VALU_DEP_2) | instskip(NEXT) | instid1(VALU_DEP_2)
	v_cmp_eq_u32_e32 vcc_lo, 0, v7
	v_cndmask_b32_e32 v69, v8, v6, vcc_lo
; %bb.1198:                             ;   in Loop: Header=BB12_1121 Depth=2
	s_or_b32 exec_lo, exec_lo, s13
	v_and_b32_e32 v6, 0xffff0000, v116
	v_lshlrev_b32_e32 v7, 16, v24
	s_mov_b32 s13, exec_lo
                                        ; implicit-def: $vgpr58
	s_delay_alu instid0(VALU_DEP_1) | instskip(NEXT) | instid1(VALU_DEP_1)
	v_add_f32_e32 v6, v7, v6
	v_and_b32_e32 v7, 0x7f800000, v6
	s_delay_alu instid0(VALU_DEP_1)
	v_cmpx_ne_u32_e32 0x7f800000, v7
	s_xor_b32 s13, exec_lo, s13
; %bb.1199:                             ;   in Loop: Header=BB12_1121 Depth=2
	v_bfe_u32 v7, v6, 16, 1
	s_delay_alu instid0(VALU_DEP_1)
	v_add3_u32 v58, v6, v7, 0x7fff
                                        ; implicit-def: $vgpr6
; %bb.1200:                             ;   in Loop: Header=BB12_1121 Depth=2
	s_and_not1_saveexec_b32 s13, s13
; %bb.1201:                             ;   in Loop: Header=BB12_1121 Depth=2
	v_and_b32_e32 v7, 0xffff, v6
	v_or_b32_e32 v8, 0x10000, v6
	s_delay_alu instid0(VALU_DEP_2) | instskip(NEXT) | instid1(VALU_DEP_2)
	v_cmp_eq_u32_e32 vcc_lo, 0, v7
	v_cndmask_b32_e32 v58, v8, v6, vcc_lo
; %bb.1202:                             ;   in Loop: Header=BB12_1121 Depth=2
	s_or_b32 exec_lo, exec_lo, s13
	v_and_b32_e32 v6, 0xffff0000, v114
	v_lshlrev_b32_e32 v7, 16, v25
	s_mov_b32 s13, exec_lo
                                        ; implicit-def: $vgpr114
	s_delay_alu instid0(VALU_DEP_1) | instskip(NEXT) | instid1(VALU_DEP_1)
	v_add_f32_e32 v6, v7, v6
	v_and_b32_e32 v7, 0x7f800000, v6
	s_delay_alu instid0(VALU_DEP_1)
	v_cmpx_ne_u32_e32 0x7f800000, v7
	s_xor_b32 s13, exec_lo, s13
; %bb.1203:                             ;   in Loop: Header=BB12_1121 Depth=2
	v_bfe_u32 v7, v6, 16, 1
	s_delay_alu instid0(VALU_DEP_1)
	v_add3_u32 v114, v6, v7, 0x7fff
                                        ; implicit-def: $vgpr6
; %bb.1204:                             ;   in Loop: Header=BB12_1121 Depth=2
	s_and_not1_saveexec_b32 s13, s13
; %bb.1205:                             ;   in Loop: Header=BB12_1121 Depth=2
	v_and_b32_e32 v7, 0xffff, v6
	v_or_b32_e32 v8, 0x10000, v6
	s_delay_alu instid0(VALU_DEP_2) | instskip(NEXT) | instid1(VALU_DEP_2)
	v_cmp_eq_u32_e32 vcc_lo, 0, v7
	v_cndmask_b32_e32 v114, v8, v6, vcc_lo
; %bb.1206:                             ;   in Loop: Header=BB12_1121 Depth=2
	s_or_b32 exec_lo, exec_lo, s13
	v_and_b32_e32 v6, 0xffff0000, v112
	v_lshlrev_b32_e32 v7, 16, v26
	s_mov_b32 s13, exec_lo
                                        ; implicit-def: $vgpr112
	s_delay_alu instid0(VALU_DEP_1) | instskip(NEXT) | instid1(VALU_DEP_1)
	v_add_f32_e32 v6, v7, v6
	v_and_b32_e32 v7, 0x7f800000, v6
	s_delay_alu instid0(VALU_DEP_1)
	v_cmpx_ne_u32_e32 0x7f800000, v7
	s_xor_b32 s13, exec_lo, s13
; %bb.1207:                             ;   in Loop: Header=BB12_1121 Depth=2
	v_bfe_u32 v7, v6, 16, 1
	s_delay_alu instid0(VALU_DEP_1)
	v_add3_u32 v112, v6, v7, 0x7fff
                                        ; implicit-def: $vgpr6
; %bb.1208:                             ;   in Loop: Header=BB12_1121 Depth=2
	s_and_not1_saveexec_b32 s13, s13
; %bb.1209:                             ;   in Loop: Header=BB12_1121 Depth=2
	v_and_b32_e32 v7, 0xffff, v6
	v_or_b32_e32 v8, 0x10000, v6
	s_delay_alu instid0(VALU_DEP_2) | instskip(NEXT) | instid1(VALU_DEP_2)
	v_cmp_eq_u32_e32 vcc_lo, 0, v7
	v_cndmask_b32_e32 v112, v8, v6, vcc_lo
; %bb.1210:                             ;   in Loop: Header=BB12_1121 Depth=2
	s_or_b32 exec_lo, exec_lo, s13
	v_and_b32_e32 v6, 0xffff0000, v102
	v_lshlrev_b32_e32 v7, 16, v27
	s_mov_b32 s13, exec_lo
                                        ; implicit-def: $vgpr102
	s_delay_alu instid0(VALU_DEP_1) | instskip(NEXT) | instid1(VALU_DEP_1)
	v_add_f32_e32 v6, v7, v6
	v_and_b32_e32 v7, 0x7f800000, v6
	s_delay_alu instid0(VALU_DEP_1)
	v_cmpx_ne_u32_e32 0x7f800000, v7
	s_xor_b32 s13, exec_lo, s13
; %bb.1211:                             ;   in Loop: Header=BB12_1121 Depth=2
	v_bfe_u32 v7, v6, 16, 1
	s_delay_alu instid0(VALU_DEP_1)
	v_add3_u32 v102, v6, v7, 0x7fff
                                        ; implicit-def: $vgpr6
; %bb.1212:                             ;   in Loop: Header=BB12_1121 Depth=2
	s_and_not1_saveexec_b32 s13, s13
; %bb.1213:                             ;   in Loop: Header=BB12_1121 Depth=2
	v_and_b32_e32 v7, 0xffff, v6
	v_or_b32_e32 v8, 0x10000, v6
	s_delay_alu instid0(VALU_DEP_2) | instskip(NEXT) | instid1(VALU_DEP_2)
	v_cmp_eq_u32_e32 vcc_lo, 0, v7
	v_cndmask_b32_e32 v102, v8, v6, vcc_lo
; %bb.1214:                             ;   in Loop: Header=BB12_1121 Depth=2
	s_or_b32 exec_lo, exec_lo, s13
	v_and_b32_e32 v6, 0xffff0000, v100
	v_lshlrev_b32_e32 v7, 16, v28
	s_mov_b32 s13, exec_lo
                                        ; implicit-def: $vgpr100
	s_delay_alu instid0(VALU_DEP_1) | instskip(NEXT) | instid1(VALU_DEP_1)
	v_add_f32_e32 v6, v7, v6
	v_and_b32_e32 v7, 0x7f800000, v6
	s_delay_alu instid0(VALU_DEP_1)
	v_cmpx_ne_u32_e32 0x7f800000, v7
	s_xor_b32 s13, exec_lo, s13
; %bb.1215:                             ;   in Loop: Header=BB12_1121 Depth=2
	v_bfe_u32 v7, v6, 16, 1
	s_delay_alu instid0(VALU_DEP_1)
	v_add3_u32 v100, v6, v7, 0x7fff
                                        ; implicit-def: $vgpr6
; %bb.1216:                             ;   in Loop: Header=BB12_1121 Depth=2
	s_and_not1_saveexec_b32 s13, s13
; %bb.1217:                             ;   in Loop: Header=BB12_1121 Depth=2
	v_and_b32_e32 v7, 0xffff, v6
	v_or_b32_e32 v8, 0x10000, v6
	s_delay_alu instid0(VALU_DEP_2) | instskip(NEXT) | instid1(VALU_DEP_2)
	v_cmp_eq_u32_e32 vcc_lo, 0, v7
	v_cndmask_b32_e32 v100, v8, v6, vcc_lo
; %bb.1218:                             ;   in Loop: Header=BB12_1121 Depth=2
	s_or_b32 exec_lo, exec_lo, s13
	v_and_b32_e32 v6, 0xffff0000, v98
	v_lshlrev_b32_e32 v7, 16, v29
	s_mov_b32 s13, exec_lo
                                        ; implicit-def: $vgpr98
	s_delay_alu instid0(VALU_DEP_1) | instskip(NEXT) | instid1(VALU_DEP_1)
	v_add_f32_e32 v6, v7, v6
	v_and_b32_e32 v7, 0x7f800000, v6
	s_delay_alu instid0(VALU_DEP_1)
	v_cmpx_ne_u32_e32 0x7f800000, v7
	s_xor_b32 s13, exec_lo, s13
; %bb.1219:                             ;   in Loop: Header=BB12_1121 Depth=2
	v_bfe_u32 v7, v6, 16, 1
	s_delay_alu instid0(VALU_DEP_1)
	v_add3_u32 v98, v6, v7, 0x7fff
                                        ; implicit-def: $vgpr6
; %bb.1220:                             ;   in Loop: Header=BB12_1121 Depth=2
	s_and_not1_saveexec_b32 s13, s13
; %bb.1221:                             ;   in Loop: Header=BB12_1121 Depth=2
	v_and_b32_e32 v7, 0xffff, v6
	v_or_b32_e32 v8, 0x10000, v6
	s_delay_alu instid0(VALU_DEP_2) | instskip(NEXT) | instid1(VALU_DEP_2)
	v_cmp_eq_u32_e32 vcc_lo, 0, v7
	v_cndmask_b32_e32 v98, v8, v6, vcc_lo
; %bb.1222:                             ;   in Loop: Header=BB12_1121 Depth=2
	s_or_b32 exec_lo, exec_lo, s13
	v_and_b32_e32 v6, 0xffff0000, v96
	v_lshlrev_b32_e32 v7, 16, v32
	s_mov_b32 s13, exec_lo
                                        ; implicit-def: $vgpr96
	s_delay_alu instid0(VALU_DEP_1) | instskip(NEXT) | instid1(VALU_DEP_1)
	v_add_f32_e32 v6, v7, v6
	v_and_b32_e32 v7, 0x7f800000, v6
	s_delay_alu instid0(VALU_DEP_1)
	v_cmpx_ne_u32_e32 0x7f800000, v7
	s_xor_b32 s13, exec_lo, s13
; %bb.1223:                             ;   in Loop: Header=BB12_1121 Depth=2
	v_bfe_u32 v7, v6, 16, 1
	s_delay_alu instid0(VALU_DEP_1)
	v_add3_u32 v96, v6, v7, 0x7fff
                                        ; implicit-def: $vgpr6
; %bb.1224:                             ;   in Loop: Header=BB12_1121 Depth=2
	s_and_not1_saveexec_b32 s13, s13
; %bb.1225:                             ;   in Loop: Header=BB12_1121 Depth=2
	v_and_b32_e32 v7, 0xffff, v6
	v_or_b32_e32 v8, 0x10000, v6
	s_delay_alu instid0(VALU_DEP_2) | instskip(NEXT) | instid1(VALU_DEP_2)
	v_cmp_eq_u32_e32 vcc_lo, 0, v7
	v_cndmask_b32_e32 v96, v8, v6, vcc_lo
; %bb.1226:                             ;   in Loop: Header=BB12_1121 Depth=2
	s_or_b32 exec_lo, exec_lo, s13
	v_and_b32_e32 v6, 0xffff0000, v31
	v_lshlrev_b32_e32 v7, 16, v33
	s_mov_b32 s13, exec_lo
                                        ; implicit-def: $vgpr31
	s_delay_alu instid0(VALU_DEP_1) | instskip(NEXT) | instid1(VALU_DEP_1)
	v_add_f32_e32 v6, v7, v6
	v_and_b32_e32 v7, 0x7f800000, v6
	s_delay_alu instid0(VALU_DEP_1)
	v_cmpx_ne_u32_e32 0x7f800000, v7
	s_xor_b32 s13, exec_lo, s13
; %bb.1227:                             ;   in Loop: Header=BB12_1121 Depth=2
	v_bfe_u32 v7, v6, 16, 1
	s_delay_alu instid0(VALU_DEP_1)
	v_add3_u32 v31, v6, v7, 0x7fff
                                        ; implicit-def: $vgpr6
; %bb.1228:                             ;   in Loop: Header=BB12_1121 Depth=2
	s_and_not1_saveexec_b32 s13, s13
; %bb.1229:                             ;   in Loop: Header=BB12_1121 Depth=2
	v_and_b32_e32 v7, 0xffff, v6
	v_or_b32_e32 v8, 0x10000, v6
	s_delay_alu instid0(VALU_DEP_2) | instskip(NEXT) | instid1(VALU_DEP_2)
	v_cmp_eq_u32_e32 vcc_lo, 0, v7
	v_cndmask_b32_e32 v31, v8, v6, vcc_lo
; %bb.1230:                             ;   in Loop: Header=BB12_1121 Depth=2
	s_or_b32 exec_lo, exec_lo, s13
	v_and_b32_e32 v6, 0xffff0000, v17
	v_lshlrev_b32_e32 v7, 16, v34
	s_mov_b32 s13, exec_lo
                                        ; implicit-def: $vgpr17
	s_delay_alu instid0(VALU_DEP_1) | instskip(NEXT) | instid1(VALU_DEP_1)
	v_add_f32_e32 v6, v7, v6
	v_and_b32_e32 v7, 0x7f800000, v6
	s_delay_alu instid0(VALU_DEP_1)
	v_cmpx_ne_u32_e32 0x7f800000, v7
	s_xor_b32 s13, exec_lo, s13
; %bb.1231:                             ;   in Loop: Header=BB12_1121 Depth=2
	v_bfe_u32 v7, v6, 16, 1
	s_delay_alu instid0(VALU_DEP_1)
	v_add3_u32 v17, v6, v7, 0x7fff
                                        ; implicit-def: $vgpr6
; %bb.1232:                             ;   in Loop: Header=BB12_1121 Depth=2
	s_and_not1_saveexec_b32 s13, s13
; %bb.1233:                             ;   in Loop: Header=BB12_1121 Depth=2
	v_and_b32_e32 v7, 0xffff, v6
	v_or_b32_e32 v8, 0x10000, v6
	s_delay_alu instid0(VALU_DEP_2) | instskip(NEXT) | instid1(VALU_DEP_2)
	v_cmp_eq_u32_e32 vcc_lo, 0, v7
	v_cndmask_b32_e32 v17, v8, v6, vcc_lo
; %bb.1234:                             ;   in Loop: Header=BB12_1121 Depth=2
	s_or_b32 exec_lo, exec_lo, s13
	v_and_b32_e32 v6, 0xffff0000, v16
	v_lshlrev_b32_e32 v7, 16, v35
	s_delay_alu instid0(VALU_DEP_1) | instskip(NEXT) | instid1(VALU_DEP_1)
	v_add_f32_e32 v7, v7, v6
	v_and_b32_e32 v6, 0x7f800000, v7
	s_delay_alu instid0(VALU_DEP_1) | instskip(SKIP_1) | instid1(SALU_CYCLE_1)
	v_cmp_ne_u32_e32 vcc_lo, 0x7f800000, v6
                                        ; implicit-def: $vgpr6
	s_and_saveexec_b32 s13, vcc_lo
	s_xor_b32 s13, exec_lo, s13
; %bb.1235:                             ;   in Loop: Header=BB12_1121 Depth=2
	v_bfe_u32 v6, v7, 16, 1
	s_delay_alu instid0(VALU_DEP_1)
	v_add3_u32 v6, v7, v6, 0x7fff
                                        ; implicit-def: $vgpr7
; %bb.1236:                             ;   in Loop: Header=BB12_1121 Depth=2
	s_and_not1_saveexec_b32 s13, s13
; %bb.1237:                             ;   in Loop: Header=BB12_1121 Depth=2
	v_and_b32_e32 v6, 0xffff, v7
	v_or_b32_e32 v8, 0x10000, v7
	s_delay_alu instid0(VALU_DEP_2) | instskip(NEXT) | instid1(VALU_DEP_2)
	v_cmp_eq_u32_e32 vcc_lo, 0, v6
	v_cndmask_b32_e32 v6, v8, v7, vcc_lo
; %bb.1238:                             ;   in Loop: Header=BB12_1121 Depth=2
	s_or_b32 exec_lo, exec_lo, s13
	v_and_b32_e32 v7, 0xffff0000, v14
	v_lshlrev_b32_e32 v8, 16, v36
	s_delay_alu instid0(VALU_DEP_1) | instskip(NEXT) | instid1(VALU_DEP_1)
	v_add_f32_e32 v8, v8, v7
	v_and_b32_e32 v7, 0x7f800000, v8
	s_delay_alu instid0(VALU_DEP_1) | instskip(SKIP_1) | instid1(SALU_CYCLE_1)
	v_cmp_ne_u32_e32 vcc_lo, 0x7f800000, v7
                                        ; implicit-def: $vgpr7
	s_and_saveexec_b32 s13, vcc_lo
	s_xor_b32 s13, exec_lo, s13
; %bb.1239:                             ;   in Loop: Header=BB12_1121 Depth=2
	v_bfe_u32 v7, v8, 16, 1
	s_delay_alu instid0(VALU_DEP_1)
	v_add3_u32 v7, v8, v7, 0x7fff
                                        ; implicit-def: $vgpr8
; %bb.1240:                             ;   in Loop: Header=BB12_1121 Depth=2
	s_and_not1_saveexec_b32 s13, s13
; %bb.1241:                             ;   in Loop: Header=BB12_1121 Depth=2
	v_and_b32_e32 v7, 0xffff, v8
	v_or_b32_e32 v9, 0x10000, v8
	s_delay_alu instid0(VALU_DEP_2) | instskip(NEXT) | instid1(VALU_DEP_2)
	v_cmp_eq_u32_e32 vcc_lo, 0, v7
	v_cndmask_b32_e32 v7, v9, v8, vcc_lo
; %bb.1242:                             ;   in Loop: Header=BB12_1121 Depth=2
	s_or_b32 exec_lo, exec_lo, s13
	v_and_b32_e32 v5, 0xffff0000, v5
	v_lshlrev_b32_e32 v8, 16, v37
	s_delay_alu instid0(VALU_DEP_1) | instskip(NEXT) | instid1(VALU_DEP_1)
	v_add_f32_e32 v8, v8, v5
	v_and_b32_e32 v5, 0x7f800000, v8
	s_delay_alu instid0(VALU_DEP_1) | instskip(SKIP_1) | instid1(SALU_CYCLE_1)
	v_cmp_ne_u32_e32 vcc_lo, 0x7f800000, v5
                                        ; implicit-def: $vgpr5
	s_and_saveexec_b32 s13, vcc_lo
	s_xor_b32 s13, exec_lo, s13
; %bb.1243:                             ;   in Loop: Header=BB12_1121 Depth=2
	v_bfe_u32 v5, v8, 16, 1
	s_delay_alu instid0(VALU_DEP_1)
	v_add3_u32 v5, v8, v5, 0x7fff
                                        ; implicit-def: $vgpr8
; %bb.1244:                             ;   in Loop: Header=BB12_1121 Depth=2
	s_and_not1_saveexec_b32 s13, s13
; %bb.1245:                             ;   in Loop: Header=BB12_1121 Depth=2
	v_and_b32_e32 v5, 0xffff, v8
	v_or_b32_e32 v9, 0x10000, v8
	s_delay_alu instid0(VALU_DEP_2) | instskip(NEXT) | instid1(VALU_DEP_2)
	v_cmp_eq_u32_e32 vcc_lo, 0, v5
	v_cndmask_b32_e32 v5, v9, v8, vcc_lo
; %bb.1246:                             ;   in Loop: Header=BB12_1121 Depth=2
	s_or_b32 exec_lo, exec_lo, s13
	v_and_b32_e32 v1, 0xffff0000, v1
	v_lshlrev_b32_e32 v8, 16, v38
	s_delay_alu instid0(VALU_DEP_1) | instskip(NEXT) | instid1(VALU_DEP_1)
	v_add_f32_e32 v1, v8, v1
	v_and_b32_e32 v8, 0x7f800000, v1
	s_delay_alu instid0(VALU_DEP_1) | instskip(SKIP_1) | instid1(SALU_CYCLE_1)
	v_cmp_ne_u32_e32 vcc_lo, 0x7f800000, v8
                                        ; implicit-def: $vgpr8
	s_and_saveexec_b32 s13, vcc_lo
	s_xor_b32 s13, exec_lo, s13
; %bb.1247:                             ;   in Loop: Header=BB12_1121 Depth=2
	v_bfe_u32 v8, v1, 16, 1
	s_delay_alu instid0(VALU_DEP_1)
	v_add3_u32 v8, v1, v8, 0x7fff
                                        ; implicit-def: $vgpr1
; %bb.1248:                             ;   in Loop: Header=BB12_1121 Depth=2
	s_and_not1_saveexec_b32 s13, s13
; %bb.1249:                             ;   in Loop: Header=BB12_1121 Depth=2
	v_and_b32_e32 v8, 0xffff, v1
	v_or_b32_e32 v9, 0x10000, v1
	s_delay_alu instid0(VALU_DEP_2) | instskip(NEXT) | instid1(VALU_DEP_2)
	v_cmp_eq_u32_e32 vcc_lo, 0, v8
	v_cndmask_b32_e32 v8, v9, v1, vcc_lo
; %bb.1250:                             ;   in Loop: Header=BB12_1121 Depth=2
	s_or_b32 exec_lo, exec_lo, s13
	v_dual_lshrrev_b32 v1, 16, v102 :: v_dual_lshrrev_b32 v102, 16, v112
	v_dual_lshrrev_b32 v112, 16, v114 :: v_dual_lshrrev_b32 v42, 16, v4
	;; [unrolled: 1-line block ×8, first 2 shown]
	s_clause 0xf
	flat_store_b16 v[10:11], v42 th:TH_STORE_NT
	flat_store_b16 v[10:11], v118 offset:64 th:TH_STORE_NT
	flat_store_b16 v[10:11], v116 offset:128 th:TH_STORE_NT
	;; [unrolled: 1-line block ×15, first 2 shown]
	s_wait_xcnt 0x0
	v_add_nc_u64_e32 v[10:11], v[10:11], v[94:95]
.LBB12_1251:                            ;   in Loop: Header=BB12_1121 Depth=2
	s_or_b32 exec_lo, exec_lo, s15
	v_sub_nc_u32_e32 v39, v39, v72
	v_add_nc_u64_e32 v[2:3], v[2:3], v[94:95]
	v_add_nc_u64_e32 v[12:13], v[12:13], v[94:95]
	s_delay_alu instid0(VALU_DEP_3)
	v_cmp_lt_i32_e64 s13, 0, v39
	s_and_saveexec_b32 s15, s13
	s_cbranch_execz .LBB12_1253
; %bb.1252:                             ;   in Loop: Header=BB12_1121 Depth=2
	s_clause 0xf
	flat_load_u16 v42, v[2:3] th:TH_LOAD_NT
	flat_load_u16 v118, v[2:3] offset:64 th:TH_LOAD_NT
	flat_load_u16 v116, v[2:3] offset:128 th:TH_LOAD_NT
	;; [unrolled: 1-line block ×15, first 2 shown]
	s_clause 0xf
	flat_load_u16 v21, v[12:13] th:TH_LOAD_NT
	flat_load_u16 v22, v[12:13] offset:64 th:TH_LOAD_NT
	flat_load_u16 v23, v[12:13] offset:128 th:TH_LOAD_NT
	;; [unrolled: 1-line block ×15, first 2 shown]
	s_wait_xcnt 0x10
	v_add_nc_u64_e32 v[2:3], 0x400, v[2:3]
	s_wait_xcnt 0x0
	v_add_nc_u64_e32 v[12:13], 0x400, v[12:13]
.LBB12_1253:                            ;   in Loop: Header=BB12_1121 Depth=2
	s_or_b32 exec_lo, exec_lo, s15
	s_trap 2
	s_wait_loadcnt_dscnt 0x1414
	ds_load_b32 v4, v0
	s_wait_dscnt 0x0
	v_dual_lshlrev_b32 v14, 16, v61 :: v_dual_lshlrev_b32 v15, 16, v4
	s_delay_alu instid0(VALU_DEP_1) | instskip(NEXT) | instid1(VALU_DEP_1)
	v_mov_b32_e32 v4, v15
	v_pk_mul_f32 v[16:17], v[4:5], v[14:15]
	s_delay_alu instid0(VALU_DEP_1) | instskip(NEXT) | instid1(VALU_DEP_1)
	v_and_b32_e32 v4, 0x7f800000, v16
	v_cmp_ne_u32_e32 vcc_lo, 0x7f800000, v4
                                        ; implicit-def: $vgpr4
	s_and_saveexec_b32 s15, vcc_lo
	s_delay_alu instid0(SALU_CYCLE_1)
	s_xor_b32 s15, exec_lo, s15
; %bb.1254:                             ;   in Loop: Header=BB12_1121 Depth=2
	v_bfe_u32 v4, v16, 16, 1
	s_delay_alu instid0(VALU_DEP_1)
	v_add3_u32 v4, v16, v4, 0x7fff
                                        ; implicit-def: $vgpr16_vgpr17
; %bb.1255:                             ;   in Loop: Header=BB12_1121 Depth=2
	s_and_not1_saveexec_b32 s15, s15
; %bb.1256:                             ;   in Loop: Header=BB12_1121 Depth=2
	v_and_b32_e32 v4, 0xffff, v16
	v_or_b32_e32 v5, 0x10000, v16
	s_delay_alu instid0(VALU_DEP_2) | instskip(NEXT) | instid1(VALU_DEP_2)
	v_cmp_eq_u32_e32 vcc_lo, 0, v4
	v_cndmask_b32_e32 v4, v5, v16, vcc_lo
; %bb.1257:                             ;   in Loop: Header=BB12_1121 Depth=2
	s_or_b32 exec_lo, exec_lo, s15
	v_lshlrev_b32_e32 v5, 16, v60
	s_mov_b32 s15, exec_lo
                                        ; implicit-def: $vgpr58
	s_delay_alu instid0(VALU_DEP_1) | instskip(NEXT) | instid1(VALU_DEP_1)
	v_mul_f32_e32 v5, v15, v5
	v_and_b32_e32 v6, 0x7f800000, v5
	s_delay_alu instid0(VALU_DEP_1)
	v_cmpx_ne_u32_e32 0x7f800000, v6
	s_xor_b32 s15, exec_lo, s15
; %bb.1258:                             ;   in Loop: Header=BB12_1121 Depth=2
	v_bfe_u32 v6, v5, 16, 1
	s_delay_alu instid0(VALU_DEP_1)
	v_add3_u32 v58, v5, v6, 0x7fff
                                        ; implicit-def: $vgpr5
; %bb.1259:                             ;   in Loop: Header=BB12_1121 Depth=2
	s_and_not1_saveexec_b32 s15, s15
; %bb.1260:                             ;   in Loop: Header=BB12_1121 Depth=2
	v_and_b32_e32 v6, 0xffff, v5
	v_or_b32_e32 v7, 0x10000, v5
	s_delay_alu instid0(VALU_DEP_2) | instskip(NEXT) | instid1(VALU_DEP_2)
	v_cmp_eq_u32_e32 vcc_lo, 0, v6
	v_cndmask_b32_e32 v58, v7, v5, vcc_lo
; %bb.1261:                             ;   in Loop: Header=BB12_1121 Depth=2
	s_or_b32 exec_lo, exec_lo, s15
	v_lshlrev_b32_e32 v5, 16, v45
	s_mov_b32 s15, exec_lo
                                        ; implicit-def: $vgpr45
	s_delay_alu instid0(VALU_DEP_1) | instskip(NEXT) | instid1(VALU_DEP_1)
	v_mul_f32_e32 v5, v15, v5
	v_and_b32_e32 v6, 0x7f800000, v5
	s_delay_alu instid0(VALU_DEP_1)
	v_cmpx_ne_u32_e32 0x7f800000, v6
	s_xor_b32 s15, exec_lo, s15
; %bb.1262:                             ;   in Loop: Header=BB12_1121 Depth=2
	v_bfe_u32 v6, v5, 16, 1
	s_delay_alu instid0(VALU_DEP_1)
	v_add3_u32 v45, v5, v6, 0x7fff
                                        ; implicit-def: $vgpr5
; %bb.1263:                             ;   in Loop: Header=BB12_1121 Depth=2
	s_and_not1_saveexec_b32 s15, s15
; %bb.1264:                             ;   in Loop: Header=BB12_1121 Depth=2
	v_and_b32_e32 v6, 0xffff, v5
	v_or_b32_e32 v7, 0x10000, v5
	s_delay_alu instid0(VALU_DEP_2) | instskip(NEXT) | instid1(VALU_DEP_2)
	v_cmp_eq_u32_e32 vcc_lo, 0, v6
	v_cndmask_b32_e32 v45, v7, v5, vcc_lo
; %bb.1265:                             ;   in Loop: Header=BB12_1121 Depth=2
	s_or_b32 exec_lo, exec_lo, s15
	v_lshlrev_b32_e32 v5, 16, v44
	s_mov_b32 s15, exec_lo
                                        ; implicit-def: $vgpr44
	s_delay_alu instid0(VALU_DEP_1) | instskip(NEXT) | instid1(VALU_DEP_1)
	v_mul_f32_e32 v5, v15, v5
	v_and_b32_e32 v6, 0x7f800000, v5
	s_delay_alu instid0(VALU_DEP_1)
	v_cmpx_ne_u32_e32 0x7f800000, v6
	s_xor_b32 s15, exec_lo, s15
; %bb.1266:                             ;   in Loop: Header=BB12_1121 Depth=2
	v_bfe_u32 v6, v5, 16, 1
	s_delay_alu instid0(VALU_DEP_1)
	v_add3_u32 v44, v5, v6, 0x7fff
                                        ; implicit-def: $vgpr5
; %bb.1267:                             ;   in Loop: Header=BB12_1121 Depth=2
	s_and_not1_saveexec_b32 s15, s15
; %bb.1268:                             ;   in Loop: Header=BB12_1121 Depth=2
	v_and_b32_e32 v6, 0xffff, v5
	v_or_b32_e32 v7, 0x10000, v5
	s_delay_alu instid0(VALU_DEP_2) | instskip(NEXT) | instid1(VALU_DEP_2)
	v_cmp_eq_u32_e32 vcc_lo, 0, v6
	v_cndmask_b32_e32 v44, v7, v5, vcc_lo
; %bb.1269:                             ;   in Loop: Header=BB12_1121 Depth=2
	s_or_b32 exec_lo, exec_lo, s15
	v_lshlrev_b32_e32 v5, 16, v43
	s_mov_b32 s15, exec_lo
                                        ; implicit-def: $vgpr43
	s_delay_alu instid0(VALU_DEP_1) | instskip(NEXT) | instid1(VALU_DEP_1)
	v_mul_f32_e32 v5, v15, v5
	v_and_b32_e32 v6, 0x7f800000, v5
	s_delay_alu instid0(VALU_DEP_1)
	v_cmpx_ne_u32_e32 0x7f800000, v6
	s_xor_b32 s15, exec_lo, s15
; %bb.1270:                             ;   in Loop: Header=BB12_1121 Depth=2
	v_bfe_u32 v6, v5, 16, 1
	s_delay_alu instid0(VALU_DEP_1)
	v_add3_u32 v43, v5, v6, 0x7fff
                                        ; implicit-def: $vgpr5
; %bb.1271:                             ;   in Loop: Header=BB12_1121 Depth=2
	s_and_not1_saveexec_b32 s15, s15
; %bb.1272:                             ;   in Loop: Header=BB12_1121 Depth=2
	v_and_b32_e32 v6, 0xffff, v5
	v_or_b32_e32 v7, 0x10000, v5
	s_delay_alu instid0(VALU_DEP_2) | instskip(NEXT) | instid1(VALU_DEP_2)
	v_cmp_eq_u32_e32 vcc_lo, 0, v6
	v_cndmask_b32_e32 v43, v7, v5, vcc_lo
; %bb.1273:                             ;   in Loop: Header=BB12_1121 Depth=2
	s_or_b32 exec_lo, exec_lo, s15
	v_lshlrev_b32_e32 v5, 16, v119
	s_mov_b32 s15, exec_lo
                                        ; implicit-def: $vgpr119
	s_delay_alu instid0(VALU_DEP_1) | instskip(NEXT) | instid1(VALU_DEP_1)
	v_mul_f32_e32 v5, v15, v5
	v_and_b32_e32 v6, 0x7f800000, v5
	s_delay_alu instid0(VALU_DEP_1)
	v_cmpx_ne_u32_e32 0x7f800000, v6
	s_xor_b32 s15, exec_lo, s15
; %bb.1274:                             ;   in Loop: Header=BB12_1121 Depth=2
	v_bfe_u32 v6, v5, 16, 1
	s_delay_alu instid0(VALU_DEP_1)
	v_add3_u32 v119, v5, v6, 0x7fff
                                        ; implicit-def: $vgpr5
; %bb.1275:                             ;   in Loop: Header=BB12_1121 Depth=2
	s_and_not1_saveexec_b32 s15, s15
; %bb.1276:                             ;   in Loop: Header=BB12_1121 Depth=2
	v_and_b32_e32 v6, 0xffff, v5
	v_or_b32_e32 v7, 0x10000, v5
	s_delay_alu instid0(VALU_DEP_2) | instskip(NEXT) | instid1(VALU_DEP_2)
	v_cmp_eq_u32_e32 vcc_lo, 0, v6
	v_cndmask_b32_e32 v119, v7, v5, vcc_lo
; %bb.1277:                             ;   in Loop: Header=BB12_1121 Depth=2
	s_or_b32 exec_lo, exec_lo, s15
	v_lshlrev_b32_e32 v5, 16, v117
	s_mov_b32 s15, exec_lo
                                        ; implicit-def: $vgpr117
	s_delay_alu instid0(VALU_DEP_1) | instskip(NEXT) | instid1(VALU_DEP_1)
	v_mul_f32_e32 v5, v15, v5
	v_and_b32_e32 v6, 0x7f800000, v5
	s_delay_alu instid0(VALU_DEP_1)
	v_cmpx_ne_u32_e32 0x7f800000, v6
	s_xor_b32 s15, exec_lo, s15
; %bb.1278:                             ;   in Loop: Header=BB12_1121 Depth=2
	v_bfe_u32 v6, v5, 16, 1
	s_delay_alu instid0(VALU_DEP_1)
	v_add3_u32 v117, v5, v6, 0x7fff
                                        ; implicit-def: $vgpr5
; %bb.1279:                             ;   in Loop: Header=BB12_1121 Depth=2
	s_and_not1_saveexec_b32 s15, s15
; %bb.1280:                             ;   in Loop: Header=BB12_1121 Depth=2
	v_and_b32_e32 v6, 0xffff, v5
	v_or_b32_e32 v7, 0x10000, v5
	s_delay_alu instid0(VALU_DEP_2) | instskip(NEXT) | instid1(VALU_DEP_2)
	v_cmp_eq_u32_e32 vcc_lo, 0, v6
	v_cndmask_b32_e32 v117, v7, v5, vcc_lo
; %bb.1281:                             ;   in Loop: Header=BB12_1121 Depth=2
	s_or_b32 exec_lo, exec_lo, s15
	v_lshlrev_b32_e32 v5, 16, v115
	s_mov_b32 s15, exec_lo
                                        ; implicit-def: $vgpr115
	s_delay_alu instid0(VALU_DEP_1) | instskip(NEXT) | instid1(VALU_DEP_1)
	v_mul_f32_e32 v5, v15, v5
	v_and_b32_e32 v6, 0x7f800000, v5
	s_delay_alu instid0(VALU_DEP_1)
	v_cmpx_ne_u32_e32 0x7f800000, v6
	s_xor_b32 s15, exec_lo, s15
; %bb.1282:                             ;   in Loop: Header=BB12_1121 Depth=2
	v_bfe_u32 v6, v5, 16, 1
	s_delay_alu instid0(VALU_DEP_1)
	v_add3_u32 v115, v5, v6, 0x7fff
                                        ; implicit-def: $vgpr5
; %bb.1283:                             ;   in Loop: Header=BB12_1121 Depth=2
	s_and_not1_saveexec_b32 s15, s15
; %bb.1284:                             ;   in Loop: Header=BB12_1121 Depth=2
	v_and_b32_e32 v6, 0xffff, v5
	v_or_b32_e32 v7, 0x10000, v5
	s_delay_alu instid0(VALU_DEP_2) | instskip(NEXT) | instid1(VALU_DEP_2)
	v_cmp_eq_u32_e32 vcc_lo, 0, v6
	v_cndmask_b32_e32 v115, v7, v5, vcc_lo
; %bb.1285:                             ;   in Loop: Header=BB12_1121 Depth=2
	s_or_b32 exec_lo, exec_lo, s15
	v_lshlrev_b32_e32 v5, 16, v113
	s_mov_b32 s15, exec_lo
                                        ; implicit-def: $vgpr113
	s_delay_alu instid0(VALU_DEP_1) | instskip(NEXT) | instid1(VALU_DEP_1)
	v_mul_f32_e32 v5, v15, v5
	v_and_b32_e32 v6, 0x7f800000, v5
	s_delay_alu instid0(VALU_DEP_1)
	v_cmpx_ne_u32_e32 0x7f800000, v6
	s_xor_b32 s15, exec_lo, s15
; %bb.1286:                             ;   in Loop: Header=BB12_1121 Depth=2
	v_bfe_u32 v6, v5, 16, 1
	s_delay_alu instid0(VALU_DEP_1)
	v_add3_u32 v113, v5, v6, 0x7fff
                                        ; implicit-def: $vgpr5
; %bb.1287:                             ;   in Loop: Header=BB12_1121 Depth=2
	s_and_not1_saveexec_b32 s15, s15
; %bb.1288:                             ;   in Loop: Header=BB12_1121 Depth=2
	v_and_b32_e32 v6, 0xffff, v5
	v_or_b32_e32 v7, 0x10000, v5
	s_delay_alu instid0(VALU_DEP_2) | instskip(NEXT) | instid1(VALU_DEP_2)
	v_cmp_eq_u32_e32 vcc_lo, 0, v6
	v_cndmask_b32_e32 v113, v7, v5, vcc_lo
; %bb.1289:                             ;   in Loop: Header=BB12_1121 Depth=2
	s_or_b32 exec_lo, exec_lo, s15
	v_lshlrev_b32_e32 v5, 16, v103
	s_mov_b32 s15, exec_lo
                                        ; implicit-def: $vgpr103
	s_delay_alu instid0(VALU_DEP_1) | instskip(NEXT) | instid1(VALU_DEP_1)
	v_mul_f32_e32 v5, v15, v5
	v_and_b32_e32 v6, 0x7f800000, v5
	s_delay_alu instid0(VALU_DEP_1)
	v_cmpx_ne_u32_e32 0x7f800000, v6
	s_xor_b32 s15, exec_lo, s15
; %bb.1290:                             ;   in Loop: Header=BB12_1121 Depth=2
	v_bfe_u32 v6, v5, 16, 1
	s_delay_alu instid0(VALU_DEP_1)
	v_add3_u32 v103, v5, v6, 0x7fff
                                        ; implicit-def: $vgpr5
; %bb.1291:                             ;   in Loop: Header=BB12_1121 Depth=2
	s_and_not1_saveexec_b32 s15, s15
; %bb.1292:                             ;   in Loop: Header=BB12_1121 Depth=2
	v_and_b32_e32 v6, 0xffff, v5
	v_or_b32_e32 v7, 0x10000, v5
	s_delay_alu instid0(VALU_DEP_2) | instskip(NEXT) | instid1(VALU_DEP_2)
	v_cmp_eq_u32_e32 vcc_lo, 0, v6
	v_cndmask_b32_e32 v103, v7, v5, vcc_lo
; %bb.1293:                             ;   in Loop: Header=BB12_1121 Depth=2
	s_or_b32 exec_lo, exec_lo, s15
	v_lshlrev_b32_e32 v5, 16, v101
	s_mov_b32 s15, exec_lo
                                        ; implicit-def: $vgpr31
	s_delay_alu instid0(VALU_DEP_1) | instskip(NEXT) | instid1(VALU_DEP_1)
	v_mul_f32_e32 v5, v15, v5
	v_and_b32_e32 v6, 0x7f800000, v5
	s_delay_alu instid0(VALU_DEP_1)
	v_cmpx_ne_u32_e32 0x7f800000, v6
	s_xor_b32 s15, exec_lo, s15
; %bb.1294:                             ;   in Loop: Header=BB12_1121 Depth=2
	v_bfe_u32 v6, v5, 16, 1
	s_delay_alu instid0(VALU_DEP_1)
	v_add3_u32 v31, v5, v6, 0x7fff
                                        ; implicit-def: $vgpr5
; %bb.1295:                             ;   in Loop: Header=BB12_1121 Depth=2
	s_and_not1_saveexec_b32 s15, s15
; %bb.1296:                             ;   in Loop: Header=BB12_1121 Depth=2
	v_and_b32_e32 v6, 0xffff, v5
	v_or_b32_e32 v7, 0x10000, v5
	s_delay_alu instid0(VALU_DEP_2) | instskip(NEXT) | instid1(VALU_DEP_2)
	v_cmp_eq_u32_e32 vcc_lo, 0, v6
	v_cndmask_b32_e32 v31, v7, v5, vcc_lo
; %bb.1297:                             ;   in Loop: Header=BB12_1121 Depth=2
	s_or_b32 exec_lo, exec_lo, s15
	v_lshlrev_b32_e32 v0, 16, v0
	s_mov_b32 s15, exec_lo
                                        ; implicit-def: $vgpr17
	s_delay_alu instid0(VALU_DEP_1) | instskip(NEXT) | instid1(VALU_DEP_1)
	v_mul_f32_e32 v0, v15, v0
	v_and_b32_e32 v5, 0x7f800000, v0
	s_delay_alu instid0(VALU_DEP_1)
	v_cmpx_ne_u32_e32 0x7f800000, v5
	s_xor_b32 s15, exec_lo, s15
; %bb.1298:                             ;   in Loop: Header=BB12_1121 Depth=2
	v_bfe_u32 v5, v0, 16, 1
	s_delay_alu instid0(VALU_DEP_1)
	v_add3_u32 v17, v0, v5, 0x7fff
                                        ; implicit-def: $vgpr0
; %bb.1299:                             ;   in Loop: Header=BB12_1121 Depth=2
	s_and_not1_saveexec_b32 s15, s15
; %bb.1300:                             ;   in Loop: Header=BB12_1121 Depth=2
	v_and_b32_e32 v5, 0xffff, v0
	v_or_b32_e32 v6, 0x10000, v0
	s_delay_alu instid0(VALU_DEP_2) | instskip(NEXT) | instid1(VALU_DEP_2)
	v_cmp_eq_u32_e32 vcc_lo, 0, v5
	v_cndmask_b32_e32 v17, v6, v0, vcc_lo
; %bb.1301:                             ;   in Loop: Header=BB12_1121 Depth=2
	s_or_b32 exec_lo, exec_lo, s15
	s_wait_loadcnt 0x13
	v_lshlrev_b32_e32 v0, 16, v99
	s_mov_b32 s15, exec_lo
                                        ; implicit-def: $vgpr16
	s_delay_alu instid0(VALU_DEP_1) | instskip(NEXT) | instid1(VALU_DEP_1)
	v_mul_f32_e32 v0, v15, v0
	v_and_b32_e32 v5, 0x7f800000, v0
	s_delay_alu instid0(VALU_DEP_1)
	v_cmpx_ne_u32_e32 0x7f800000, v5
	s_xor_b32 s15, exec_lo, s15
; %bb.1302:                             ;   in Loop: Header=BB12_1121 Depth=2
	v_bfe_u32 v5, v0, 16, 1
	s_delay_alu instid0(VALU_DEP_1)
	v_add3_u32 v16, v0, v5, 0x7fff
                                        ; implicit-def: $vgpr0
; %bb.1303:                             ;   in Loop: Header=BB12_1121 Depth=2
	s_and_not1_saveexec_b32 s15, s15
; %bb.1304:                             ;   in Loop: Header=BB12_1121 Depth=2
	v_and_b32_e32 v5, 0xffff, v0
	v_or_b32_e32 v6, 0x10000, v0
	s_delay_alu instid0(VALU_DEP_2) | instskip(NEXT) | instid1(VALU_DEP_2)
	v_cmp_eq_u32_e32 vcc_lo, 0, v5
	v_cndmask_b32_e32 v16, v6, v0, vcc_lo
; %bb.1305:                             ;   in Loop: Header=BB12_1121 Depth=2
	s_or_b32 exec_lo, exec_lo, s15
	s_wait_loadcnt 0x12
	v_lshlrev_b32_e32 v0, 16, v97
	s_mov_b32 s15, exec_lo
                                        ; implicit-def: $vgpr14
	s_delay_alu instid0(VALU_DEP_1) | instskip(NEXT) | instid1(VALU_DEP_1)
	v_mul_f32_e32 v0, v15, v0
	v_and_b32_e32 v5, 0x7f800000, v0
	s_delay_alu instid0(VALU_DEP_1)
	v_cmpx_ne_u32_e32 0x7f800000, v5
	s_xor_b32 s15, exec_lo, s15
; %bb.1306:                             ;   in Loop: Header=BB12_1121 Depth=2
	v_bfe_u32 v5, v0, 16, 1
	s_delay_alu instid0(VALU_DEP_1)
	v_add3_u32 v14, v0, v5, 0x7fff
                                        ; implicit-def: $vgpr0
; %bb.1307:                             ;   in Loop: Header=BB12_1121 Depth=2
	s_and_not1_saveexec_b32 s15, s15
; %bb.1308:                             ;   in Loop: Header=BB12_1121 Depth=2
	v_and_b32_e32 v5, 0xffff, v0
	v_or_b32_e32 v6, 0x10000, v0
	s_delay_alu instid0(VALU_DEP_2) | instskip(NEXT) | instid1(VALU_DEP_2)
	v_cmp_eq_u32_e32 vcc_lo, 0, v5
	v_cndmask_b32_e32 v14, v6, v0, vcc_lo
; %bb.1309:                             ;   in Loop: Header=BB12_1121 Depth=2
	s_or_b32 exec_lo, exec_lo, s15
	s_wait_loadcnt 0x11
	v_lshlrev_b32_e32 v0, 16, v87
	s_delay_alu instid0(VALU_DEP_1) | instskip(NEXT) | instid1(VALU_DEP_1)
	v_mul_f32_e32 v0, v15, v0
	v_and_b32_e32 v5, 0x7f800000, v0
	s_delay_alu instid0(VALU_DEP_1) | instskip(SKIP_1) | instid1(SALU_CYCLE_1)
	v_cmp_ne_u32_e32 vcc_lo, 0x7f800000, v5
                                        ; implicit-def: $vgpr5
	s_and_saveexec_b32 s15, vcc_lo
	s_xor_b32 s15, exec_lo, s15
; %bb.1310:                             ;   in Loop: Header=BB12_1121 Depth=2
	v_bfe_u32 v5, v0, 16, 1
	s_delay_alu instid0(VALU_DEP_1)
	v_add3_u32 v5, v0, v5, 0x7fff
                                        ; implicit-def: $vgpr0
; %bb.1311:                             ;   in Loop: Header=BB12_1121 Depth=2
	s_and_not1_saveexec_b32 s15, s15
; %bb.1312:                             ;   in Loop: Header=BB12_1121 Depth=2
	v_and_b32_e32 v5, 0xffff, v0
	v_or_b32_e32 v6, 0x10000, v0
	s_delay_alu instid0(VALU_DEP_2) | instskip(NEXT) | instid1(VALU_DEP_2)
	v_cmp_eq_u32_e32 vcc_lo, 0, v5
	v_cndmask_b32_e32 v5, v6, v0, vcc_lo
; %bb.1313:                             ;   in Loop: Header=BB12_1121 Depth=2
	s_or_b32 exec_lo, exec_lo, s15
	s_wait_loadcnt 0x10
	v_lshlrev_b32_e32 v0, 16, v85
	s_delay_alu instid0(VALU_DEP_1) | instskip(NEXT) | instid1(VALU_DEP_1)
	v_mul_f32_e32 v6, v15, v0
	v_and_b32_e32 v0, 0x7f800000, v6
	s_delay_alu instid0(VALU_DEP_1) | instskip(SKIP_1) | instid1(SALU_CYCLE_1)
	v_cmp_ne_u32_e32 vcc_lo, 0x7f800000, v0
                                        ; implicit-def: $vgpr0
	s_and_saveexec_b32 s15, vcc_lo
	s_xor_b32 s15, exec_lo, s15
; %bb.1314:                             ;   in Loop: Header=BB12_1121 Depth=2
	v_bfe_u32 v0, v6, 16, 1
	s_delay_alu instid0(VALU_DEP_1)
	v_add3_u32 v0, v6, v0, 0x7fff
                                        ; implicit-def: $vgpr6
; %bb.1315:                             ;   in Loop: Header=BB12_1121 Depth=2
	s_and_not1_saveexec_b32 s15, s15
; %bb.1316:                             ;   in Loop: Header=BB12_1121 Depth=2
	v_and_b32_e32 v0, 0xffff, v6
	v_or_b32_e32 v7, 0x10000, v6
	s_delay_alu instid0(VALU_DEP_2) | instskip(NEXT) | instid1(VALU_DEP_2)
	v_cmp_eq_u32_e32 vcc_lo, 0, v0
	v_cndmask_b32_e32 v0, v7, v6, vcc_lo
; %bb.1317:                             ;   in Loop: Header=BB12_1121 Depth=2
	s_or_b32 exec_lo, exec_lo, s15
	v_and_b32_e32 v4, 0xffff0000, v4
	s_wait_loadcnt 0xf
	v_lshlrev_b32_e32 v6, 16, v83
	s_delay_alu instid0(VALU_DEP_1) | instskip(NEXT) | instid1(VALU_DEP_1)
	v_add_f32_e32 v6, v6, v4
	v_and_b32_e32 v4, 0x7f800000, v6
	s_delay_alu instid0(VALU_DEP_1) | instskip(SKIP_1) | instid1(SALU_CYCLE_1)
	v_cmp_ne_u32_e32 vcc_lo, 0x7f800000, v4
                                        ; implicit-def: $vgpr4
	s_and_saveexec_b32 s15, vcc_lo
	s_xor_b32 s15, exec_lo, s15
; %bb.1318:                             ;   in Loop: Header=BB12_1121 Depth=2
	v_bfe_u32 v4, v6, 16, 1
	s_delay_alu instid0(VALU_DEP_1)
	v_add3_u32 v4, v6, v4, 0x7fff
                                        ; implicit-def: $vgpr6
; %bb.1319:                             ;   in Loop: Header=BB12_1121 Depth=2
	s_and_not1_saveexec_b32 s15, s15
; %bb.1320:                             ;   in Loop: Header=BB12_1121 Depth=2
	v_and_b32_e32 v4, 0xffff, v6
	v_or_b32_e32 v7, 0x10000, v6
	s_delay_alu instid0(VALU_DEP_2) | instskip(NEXT) | instid1(VALU_DEP_2)
	v_cmp_eq_u32_e32 vcc_lo, 0, v4
	v_cndmask_b32_e32 v4, v7, v6, vcc_lo
; %bb.1321:                             ;   in Loop: Header=BB12_1121 Depth=2
	s_or_b32 exec_lo, exec_lo, s15
	v_and_b32_e32 v6, 0xffff0000, v58
	s_wait_loadcnt 0xe
	v_lshlrev_b32_e32 v7, 16, v81
	s_mov_b32 s15, exec_lo
                                        ; implicit-def: $vgpr15
	s_delay_alu instid0(VALU_DEP_1) | instskip(NEXT) | instid1(VALU_DEP_1)
	v_add_f32_e32 v6, v7, v6
	v_and_b32_e32 v7, 0x7f800000, v6
	s_delay_alu instid0(VALU_DEP_1)
	v_cmpx_ne_u32_e32 0x7f800000, v7
	s_xor_b32 s15, exec_lo, s15
; %bb.1322:                             ;   in Loop: Header=BB12_1121 Depth=2
	v_bfe_u32 v7, v6, 16, 1
	s_delay_alu instid0(VALU_DEP_1)
	v_add3_u32 v15, v6, v7, 0x7fff
                                        ; implicit-def: $vgpr6
; %bb.1323:                             ;   in Loop: Header=BB12_1121 Depth=2
	s_and_not1_saveexec_b32 s15, s15
; %bb.1324:                             ;   in Loop: Header=BB12_1121 Depth=2
	v_and_b32_e32 v7, 0xffff, v6
	v_or_b32_e32 v8, 0x10000, v6
	s_delay_alu instid0(VALU_DEP_2) | instskip(NEXT) | instid1(VALU_DEP_2)
	v_cmp_eq_u32_e32 vcc_lo, 0, v7
	v_cndmask_b32_e32 v15, v8, v6, vcc_lo
; %bb.1325:                             ;   in Loop: Header=BB12_1121 Depth=2
	s_or_b32 exec_lo, exec_lo, s15
	v_and_b32_e32 v6, 0xffff0000, v45
	s_wait_loadcnt 0xd
	v_lshlrev_b32_e32 v7, 16, v71
	s_mov_b32 s15, exec_lo
                                        ; implicit-def: $vgpr71
	s_delay_alu instid0(VALU_DEP_1) | instskip(NEXT) | instid1(VALU_DEP_1)
	v_add_f32_e32 v6, v7, v6
	v_and_b32_e32 v7, 0x7f800000, v6
	s_delay_alu instid0(VALU_DEP_1)
	v_cmpx_ne_u32_e32 0x7f800000, v7
	s_xor_b32 s15, exec_lo, s15
; %bb.1326:                             ;   in Loop: Header=BB12_1121 Depth=2
	v_bfe_u32 v7, v6, 16, 1
	s_delay_alu instid0(VALU_DEP_1)
	v_add3_u32 v71, v6, v7, 0x7fff
                                        ; implicit-def: $vgpr6
; %bb.1327:                             ;   in Loop: Header=BB12_1121 Depth=2
	s_and_not1_saveexec_b32 s15, s15
; %bb.1328:                             ;   in Loop: Header=BB12_1121 Depth=2
	v_and_b32_e32 v7, 0xffff, v6
	v_or_b32_e32 v8, 0x10000, v6
	s_delay_alu instid0(VALU_DEP_2) | instskip(NEXT) | instid1(VALU_DEP_2)
	v_cmp_eq_u32_e32 vcc_lo, 0, v7
	v_cndmask_b32_e32 v71, v8, v6, vcc_lo
; %bb.1329:                             ;   in Loop: Header=BB12_1121 Depth=2
	s_or_b32 exec_lo, exec_lo, s15
	v_and_b32_e32 v6, 0xffff0000, v44
	s_wait_loadcnt 0xc
	v_lshlrev_b32_e32 v7, 16, v68
	s_mov_b32 s15, exec_lo
                                        ; implicit-def: $vgpr68
	s_delay_alu instid0(VALU_DEP_1) | instskip(NEXT) | instid1(VALU_DEP_1)
	v_add_f32_e32 v6, v7, v6
	v_and_b32_e32 v7, 0x7f800000, v6
	s_delay_alu instid0(VALU_DEP_1)
	v_cmpx_ne_u32_e32 0x7f800000, v7
	s_xor_b32 s15, exec_lo, s15
; %bb.1330:                             ;   in Loop: Header=BB12_1121 Depth=2
	v_bfe_u32 v7, v6, 16, 1
	s_delay_alu instid0(VALU_DEP_1)
	v_add3_u32 v68, v6, v7, 0x7fff
                                        ; implicit-def: $vgpr6
; %bb.1331:                             ;   in Loop: Header=BB12_1121 Depth=2
	s_and_not1_saveexec_b32 s15, s15
; %bb.1332:                             ;   in Loop: Header=BB12_1121 Depth=2
	v_and_b32_e32 v7, 0xffff, v6
	v_or_b32_e32 v8, 0x10000, v6
	s_delay_alu instid0(VALU_DEP_2) | instskip(NEXT) | instid1(VALU_DEP_2)
	v_cmp_eq_u32_e32 vcc_lo, 0, v7
	v_cndmask_b32_e32 v68, v8, v6, vcc_lo
; %bb.1333:                             ;   in Loop: Header=BB12_1121 Depth=2
	s_or_b32 exec_lo, exec_lo, s15
	v_and_b32_e32 v6, 0xffff0000, v43
	s_wait_loadcnt 0xb
	v_lshlrev_b32_e32 v7, 16, v67
	s_mov_b32 s15, exec_lo
                                        ; implicit-def: $vgpr67
	s_delay_alu instid0(VALU_DEP_1) | instskip(NEXT) | instid1(VALU_DEP_1)
	v_add_f32_e32 v6, v7, v6
	v_and_b32_e32 v7, 0x7f800000, v6
	s_delay_alu instid0(VALU_DEP_1)
	v_cmpx_ne_u32_e32 0x7f800000, v7
	s_xor_b32 s15, exec_lo, s15
; %bb.1334:                             ;   in Loop: Header=BB12_1121 Depth=2
	v_bfe_u32 v7, v6, 16, 1
	s_delay_alu instid0(VALU_DEP_1)
	v_add3_u32 v67, v6, v7, 0x7fff
                                        ; implicit-def: $vgpr6
; %bb.1335:                             ;   in Loop: Header=BB12_1121 Depth=2
	s_and_not1_saveexec_b32 s15, s15
; %bb.1336:                             ;   in Loop: Header=BB12_1121 Depth=2
	v_and_b32_e32 v7, 0xffff, v6
	v_or_b32_e32 v8, 0x10000, v6
	s_delay_alu instid0(VALU_DEP_2) | instskip(NEXT) | instid1(VALU_DEP_2)
	v_cmp_eq_u32_e32 vcc_lo, 0, v7
	v_cndmask_b32_e32 v67, v8, v6, vcc_lo
; %bb.1337:                             ;   in Loop: Header=BB12_1121 Depth=2
	s_or_b32 exec_lo, exec_lo, s15
	v_and_b32_e32 v6, 0xffff0000, v119
	s_wait_loadcnt 0xa
	v_lshlrev_b32_e32 v7, 16, v66
	s_mov_b32 s15, exec_lo
                                        ; implicit-def: $vgpr66
	s_delay_alu instid0(VALU_DEP_1) | instskip(NEXT) | instid1(VALU_DEP_1)
	v_add_f32_e32 v6, v7, v6
	v_and_b32_e32 v7, 0x7f800000, v6
	s_delay_alu instid0(VALU_DEP_1)
	v_cmpx_ne_u32_e32 0x7f800000, v7
	s_xor_b32 s15, exec_lo, s15
; %bb.1338:                             ;   in Loop: Header=BB12_1121 Depth=2
	v_bfe_u32 v7, v6, 16, 1
	s_delay_alu instid0(VALU_DEP_1)
	v_add3_u32 v66, v6, v7, 0x7fff
                                        ; implicit-def: $vgpr6
; %bb.1339:                             ;   in Loop: Header=BB12_1121 Depth=2
	s_and_not1_saveexec_b32 s15, s15
; %bb.1340:                             ;   in Loop: Header=BB12_1121 Depth=2
	v_and_b32_e32 v7, 0xffff, v6
	v_or_b32_e32 v8, 0x10000, v6
	s_delay_alu instid0(VALU_DEP_2) | instskip(NEXT) | instid1(VALU_DEP_2)
	v_cmp_eq_u32_e32 vcc_lo, 0, v7
	v_cndmask_b32_e32 v66, v8, v6, vcc_lo
; %bb.1341:                             ;   in Loop: Header=BB12_1121 Depth=2
	s_or_b32 exec_lo, exec_lo, s15
	v_and_b32_e32 v6, 0xffff0000, v117
	s_wait_loadcnt 0x9
	v_lshlrev_b32_e32 v7, 16, v65
	s_mov_b32 s15, exec_lo
                                        ; implicit-def: $vgpr65
	s_delay_alu instid0(VALU_DEP_1) | instskip(NEXT) | instid1(VALU_DEP_1)
	v_add_f32_e32 v6, v7, v6
	v_and_b32_e32 v7, 0x7f800000, v6
	s_delay_alu instid0(VALU_DEP_1)
	v_cmpx_ne_u32_e32 0x7f800000, v7
	s_xor_b32 s15, exec_lo, s15
; %bb.1342:                             ;   in Loop: Header=BB12_1121 Depth=2
	v_bfe_u32 v7, v6, 16, 1
	s_delay_alu instid0(VALU_DEP_1)
	v_add3_u32 v65, v6, v7, 0x7fff
                                        ; implicit-def: $vgpr6
; %bb.1343:                             ;   in Loop: Header=BB12_1121 Depth=2
	s_and_not1_saveexec_b32 s15, s15
; %bb.1344:                             ;   in Loop: Header=BB12_1121 Depth=2
	v_and_b32_e32 v7, 0xffff, v6
	v_or_b32_e32 v8, 0x10000, v6
	s_delay_alu instid0(VALU_DEP_2) | instskip(NEXT) | instid1(VALU_DEP_2)
	v_cmp_eq_u32_e32 vcc_lo, 0, v7
	v_cndmask_b32_e32 v65, v8, v6, vcc_lo
; %bb.1345:                             ;   in Loop: Header=BB12_1121 Depth=2
	s_or_b32 exec_lo, exec_lo, s15
	v_and_b32_e32 v6, 0xffff0000, v115
	s_wait_loadcnt 0x8
	v_lshlrev_b32_e32 v7, 16, v64
	s_mov_b32 s15, exec_lo
                                        ; implicit-def: $vgpr64
	s_delay_alu instid0(VALU_DEP_1) | instskip(NEXT) | instid1(VALU_DEP_1)
	v_add_f32_e32 v6, v7, v6
	v_and_b32_e32 v7, 0x7f800000, v6
	s_delay_alu instid0(VALU_DEP_1)
	v_cmpx_ne_u32_e32 0x7f800000, v7
	s_xor_b32 s15, exec_lo, s15
; %bb.1346:                             ;   in Loop: Header=BB12_1121 Depth=2
	v_bfe_u32 v7, v6, 16, 1
	s_delay_alu instid0(VALU_DEP_1)
	v_add3_u32 v64, v6, v7, 0x7fff
                                        ; implicit-def: $vgpr6
; %bb.1347:                             ;   in Loop: Header=BB12_1121 Depth=2
	s_and_not1_saveexec_b32 s15, s15
; %bb.1348:                             ;   in Loop: Header=BB12_1121 Depth=2
	v_and_b32_e32 v7, 0xffff, v6
	v_or_b32_e32 v8, 0x10000, v6
	s_delay_alu instid0(VALU_DEP_2) | instskip(NEXT) | instid1(VALU_DEP_2)
	v_cmp_eq_u32_e32 vcc_lo, 0, v7
	v_cndmask_b32_e32 v64, v8, v6, vcc_lo
; %bb.1349:                             ;   in Loop: Header=BB12_1121 Depth=2
	s_or_b32 exec_lo, exec_lo, s15
	v_and_b32_e32 v6, 0xffff0000, v113
	s_wait_loadcnt 0x7
	v_lshlrev_b32_e32 v7, 16, v55
	s_mov_b32 s15, exec_lo
                                        ; implicit-def: $vgpr55
	s_delay_alu instid0(VALU_DEP_1) | instskip(NEXT) | instid1(VALU_DEP_1)
	v_add_f32_e32 v6, v7, v6
	v_and_b32_e32 v7, 0x7f800000, v6
	s_delay_alu instid0(VALU_DEP_1)
	v_cmpx_ne_u32_e32 0x7f800000, v7
	s_xor_b32 s15, exec_lo, s15
; %bb.1350:                             ;   in Loop: Header=BB12_1121 Depth=2
	v_bfe_u32 v7, v6, 16, 1
	s_delay_alu instid0(VALU_DEP_1)
	v_add3_u32 v55, v6, v7, 0x7fff
                                        ; implicit-def: $vgpr6
; %bb.1351:                             ;   in Loop: Header=BB12_1121 Depth=2
	s_and_not1_saveexec_b32 s15, s15
; %bb.1352:                             ;   in Loop: Header=BB12_1121 Depth=2
	v_and_b32_e32 v7, 0xffff, v6
	v_or_b32_e32 v8, 0x10000, v6
	s_delay_alu instid0(VALU_DEP_2) | instskip(NEXT) | instid1(VALU_DEP_2)
	v_cmp_eq_u32_e32 vcc_lo, 0, v7
	v_cndmask_b32_e32 v55, v8, v6, vcc_lo
; %bb.1353:                             ;   in Loop: Header=BB12_1121 Depth=2
	s_or_b32 exec_lo, exec_lo, s15
	v_and_b32_e32 v6, 0xffff0000, v103
	s_wait_loadcnt 0x6
	v_lshlrev_b32_e32 v7, 16, v54
	s_mov_b32 s15, exec_lo
                                        ; implicit-def: $vgpr54
	s_delay_alu instid0(VALU_DEP_1) | instskip(NEXT) | instid1(VALU_DEP_1)
	v_add_f32_e32 v6, v7, v6
	v_and_b32_e32 v7, 0x7f800000, v6
	s_delay_alu instid0(VALU_DEP_1)
	v_cmpx_ne_u32_e32 0x7f800000, v7
	s_xor_b32 s15, exec_lo, s15
; %bb.1354:                             ;   in Loop: Header=BB12_1121 Depth=2
	v_bfe_u32 v7, v6, 16, 1
	s_delay_alu instid0(VALU_DEP_1)
	v_add3_u32 v54, v6, v7, 0x7fff
                                        ; implicit-def: $vgpr6
; %bb.1355:                             ;   in Loop: Header=BB12_1121 Depth=2
	s_and_not1_saveexec_b32 s15, s15
; %bb.1356:                             ;   in Loop: Header=BB12_1121 Depth=2
	v_and_b32_e32 v7, 0xffff, v6
	v_or_b32_e32 v8, 0x10000, v6
	s_delay_alu instid0(VALU_DEP_2) | instskip(NEXT) | instid1(VALU_DEP_2)
	v_cmp_eq_u32_e32 vcc_lo, 0, v7
	v_cndmask_b32_e32 v54, v8, v6, vcc_lo
; %bb.1357:                             ;   in Loop: Header=BB12_1121 Depth=2
	s_or_b32 exec_lo, exec_lo, s15
	v_and_b32_e32 v6, 0xffff0000, v31
	s_wait_loadcnt 0x5
	v_lshlrev_b32_e32 v7, 16, v53
	s_mov_b32 s15, exec_lo
                                        ; implicit-def: $vgpr31
	s_delay_alu instid0(VALU_DEP_1) | instskip(NEXT) | instid1(VALU_DEP_1)
	v_add_f32_e32 v6, v7, v6
	v_and_b32_e32 v7, 0x7f800000, v6
	s_delay_alu instid0(VALU_DEP_1)
	v_cmpx_ne_u32_e32 0x7f800000, v7
	s_xor_b32 s15, exec_lo, s15
; %bb.1358:                             ;   in Loop: Header=BB12_1121 Depth=2
	v_bfe_u32 v7, v6, 16, 1
	s_delay_alu instid0(VALU_DEP_1)
	v_add3_u32 v31, v6, v7, 0x7fff
                                        ; implicit-def: $vgpr6
; %bb.1359:                             ;   in Loop: Header=BB12_1121 Depth=2
	s_and_not1_saveexec_b32 s15, s15
; %bb.1360:                             ;   in Loop: Header=BB12_1121 Depth=2
	v_and_b32_e32 v7, 0xffff, v6
	v_or_b32_e32 v8, 0x10000, v6
	s_delay_alu instid0(VALU_DEP_2) | instskip(NEXT) | instid1(VALU_DEP_2)
	v_cmp_eq_u32_e32 vcc_lo, 0, v7
	v_cndmask_b32_e32 v31, v8, v6, vcc_lo
; %bb.1361:                             ;   in Loop: Header=BB12_1121 Depth=2
	s_or_b32 exec_lo, exec_lo, s15
	v_and_b32_e32 v6, 0xffff0000, v17
	s_wait_loadcnt 0x4
	v_lshlrev_b32_e32 v7, 16, v52
	s_mov_b32 s15, exec_lo
                                        ; implicit-def: $vgpr17
	s_delay_alu instid0(VALU_DEP_1) | instskip(NEXT) | instid1(VALU_DEP_1)
	v_add_f32_e32 v6, v7, v6
	v_and_b32_e32 v7, 0x7f800000, v6
	s_delay_alu instid0(VALU_DEP_1)
	v_cmpx_ne_u32_e32 0x7f800000, v7
	s_xor_b32 s15, exec_lo, s15
; %bb.1362:                             ;   in Loop: Header=BB12_1121 Depth=2
	v_bfe_u32 v7, v6, 16, 1
	s_delay_alu instid0(VALU_DEP_1)
	v_add3_u32 v17, v6, v7, 0x7fff
                                        ; implicit-def: $vgpr6
; %bb.1363:                             ;   in Loop: Header=BB12_1121 Depth=2
	s_and_not1_saveexec_b32 s15, s15
; %bb.1364:                             ;   in Loop: Header=BB12_1121 Depth=2
	v_and_b32_e32 v7, 0xffff, v6
	v_or_b32_e32 v8, 0x10000, v6
	s_delay_alu instid0(VALU_DEP_2) | instskip(NEXT) | instid1(VALU_DEP_2)
	v_cmp_eq_u32_e32 vcc_lo, 0, v7
	v_cndmask_b32_e32 v17, v8, v6, vcc_lo
; %bb.1365:                             ;   in Loop: Header=BB12_1121 Depth=2
	s_or_b32 exec_lo, exec_lo, s15
	v_and_b32_e32 v6, 0xffff0000, v16
	s_wait_loadcnt 0x3
	v_lshlrev_b32_e32 v7, 16, v51
	s_mov_b32 s15, exec_lo
                                        ; implicit-def: $vgpr16
	s_delay_alu instid0(VALU_DEP_1) | instskip(NEXT) | instid1(VALU_DEP_1)
	v_add_f32_e32 v6, v7, v6
	v_and_b32_e32 v7, 0x7f800000, v6
	s_delay_alu instid0(VALU_DEP_1)
	v_cmpx_ne_u32_e32 0x7f800000, v7
	s_xor_b32 s15, exec_lo, s15
; %bb.1366:                             ;   in Loop: Header=BB12_1121 Depth=2
	v_bfe_u32 v7, v6, 16, 1
	s_delay_alu instid0(VALU_DEP_1)
	v_add3_u32 v16, v6, v7, 0x7fff
                                        ; implicit-def: $vgpr6
; %bb.1367:                             ;   in Loop: Header=BB12_1121 Depth=2
	s_and_not1_saveexec_b32 s15, s15
; %bb.1368:                             ;   in Loop: Header=BB12_1121 Depth=2
	v_and_b32_e32 v7, 0xffff, v6
	v_or_b32_e32 v8, 0x10000, v6
	s_delay_alu instid0(VALU_DEP_2) | instskip(NEXT) | instid1(VALU_DEP_2)
	v_cmp_eq_u32_e32 vcc_lo, 0, v7
	v_cndmask_b32_e32 v16, v8, v6, vcc_lo
; %bb.1369:                             ;   in Loop: Header=BB12_1121 Depth=2
	s_or_b32 exec_lo, exec_lo, s15
	v_and_b32_e32 v6, 0xffff0000, v14
	s_wait_loadcnt 0x2
	v_lshlrev_b32_e32 v7, 16, v50
	s_delay_alu instid0(VALU_DEP_1) | instskip(NEXT) | instid1(VALU_DEP_1)
	v_add_f32_e32 v7, v7, v6
	v_and_b32_e32 v6, 0x7f800000, v7
	s_delay_alu instid0(VALU_DEP_1) | instskip(SKIP_1) | instid1(SALU_CYCLE_1)
	v_cmp_ne_u32_e32 vcc_lo, 0x7f800000, v6
                                        ; implicit-def: $vgpr6
	s_and_saveexec_b32 s15, vcc_lo
	s_xor_b32 s15, exec_lo, s15
; %bb.1370:                             ;   in Loop: Header=BB12_1121 Depth=2
	v_bfe_u32 v6, v7, 16, 1
	s_delay_alu instid0(VALU_DEP_1)
	v_add3_u32 v6, v7, v6, 0x7fff
                                        ; implicit-def: $vgpr7
; %bb.1371:                             ;   in Loop: Header=BB12_1121 Depth=2
	s_and_not1_saveexec_b32 s15, s15
; %bb.1372:                             ;   in Loop: Header=BB12_1121 Depth=2
	v_and_b32_e32 v6, 0xffff, v7
	v_or_b32_e32 v8, 0x10000, v7
	s_delay_alu instid0(VALU_DEP_2) | instskip(NEXT) | instid1(VALU_DEP_2)
	v_cmp_eq_u32_e32 vcc_lo, 0, v6
	v_cndmask_b32_e32 v6, v8, v7, vcc_lo
; %bb.1373:                             ;   in Loop: Header=BB12_1121 Depth=2
	s_or_b32 exec_lo, exec_lo, s15
	v_and_b32_e32 v5, 0xffff0000, v5
	s_wait_loadcnt 0x1
	v_lshlrev_b32_e32 v7, 16, v49
	s_delay_alu instid0(VALU_DEP_1) | instskip(NEXT) | instid1(VALU_DEP_1)
	v_add_f32_e32 v7, v7, v5
	v_and_b32_e32 v5, 0x7f800000, v7
	s_delay_alu instid0(VALU_DEP_1) | instskip(SKIP_1) | instid1(SALU_CYCLE_1)
	v_cmp_ne_u32_e32 vcc_lo, 0x7f800000, v5
                                        ; implicit-def: $vgpr5
	s_and_saveexec_b32 s15, vcc_lo
	s_xor_b32 s15, exec_lo, s15
; %bb.1374:                             ;   in Loop: Header=BB12_1121 Depth=2
	v_bfe_u32 v5, v7, 16, 1
	s_delay_alu instid0(VALU_DEP_1)
	v_add3_u32 v5, v7, v5, 0x7fff
                                        ; implicit-def: $vgpr7
; %bb.1375:                             ;   in Loop: Header=BB12_1121 Depth=2
	s_and_not1_saveexec_b32 s15, s15
; %bb.1376:                             ;   in Loop: Header=BB12_1121 Depth=2
	v_and_b32_e32 v5, 0xffff, v7
	v_or_b32_e32 v8, 0x10000, v7
	s_delay_alu instid0(VALU_DEP_2) | instskip(NEXT) | instid1(VALU_DEP_2)
	v_cmp_eq_u32_e32 vcc_lo, 0, v5
	v_cndmask_b32_e32 v5, v8, v7, vcc_lo
; %bb.1377:                             ;   in Loop: Header=BB12_1121 Depth=2
	s_or_b32 exec_lo, exec_lo, s15
	v_and_b32_e32 v0, 0xffff0000, v0
	s_wait_loadcnt 0x0
	v_lshlrev_b32_e32 v7, 16, v48
	s_delay_alu instid0(VALU_DEP_1) | instskip(NEXT) | instid1(VALU_DEP_1)
	v_add_f32_e32 v7, v7, v0
	v_and_b32_e32 v0, 0x7f800000, v7
	s_delay_alu instid0(VALU_DEP_1) | instskip(SKIP_1) | instid1(SALU_CYCLE_1)
	v_cmp_ne_u32_e32 vcc_lo, 0x7f800000, v0
                                        ; implicit-def: $vgpr0
	s_and_saveexec_b32 s15, vcc_lo
	s_xor_b32 s15, exec_lo, s15
; %bb.1378:                             ;   in Loop: Header=BB12_1121 Depth=2
	v_bfe_u32 v0, v7, 16, 1
	s_delay_alu instid0(VALU_DEP_1)
	v_add3_u32 v0, v7, v0, 0x7fff
                                        ; implicit-def: $vgpr7
; %bb.1379:                             ;   in Loop: Header=BB12_1121 Depth=2
	s_and_not1_saveexec_b32 s15, s15
	s_cbranch_execz .LBB12_1120
; %bb.1380:                             ;   in Loop: Header=BB12_1121 Depth=2
	v_and_b32_e32 v0, 0xffff, v7
	v_or_b32_e32 v8, 0x10000, v7
	s_delay_alu instid0(VALU_DEP_2) | instskip(NEXT) | instid1(VALU_DEP_2)
	v_cmp_eq_u32_e32 vcc_lo, 0, v0
	v_cndmask_b32_e32 v0, v8, v7, vcc_lo
	s_branch .LBB12_1120
.LBB12_1381:                            ;   in Loop: Header=BB12_49 Depth=1
	s_or_b32 exec_lo, exec_lo, s12
	v_dual_lshlrev_b32 v71, 16, v102 :: v_dual_lshlrev_b32 v67, 16, v100
	scratch_load_b32 v100, off, s33 offset:344 ; 4-byte Folded Reload
	v_dual_lshlrev_b32 v87, 16, v42 :: v_dual_lshlrev_b32 v85, 16, v116
	v_dual_lshlrev_b32 v53, 16, v118 :: v_dual_lshlrev_b32 v81, 16, v112
	;; [unrolled: 1-line block ×15, first 2 shown]
	v_dual_mov_b32 v101, 1 :: v_dual_mov_b32 v102, 0x90
	v_dual_mov_b32 v103, v62 :: v_dual_mov_b32 v112, v91
	s_and_b32 s11, s11, exec_lo
.LBB12_1382:                            ;   in Loop: Header=BB12_49 Depth=1
	s_wait_xcnt 0x0
	s_or_b32 exec_lo, exec_lo, s10
	s_and_saveexec_b32 s10, s11
	s_cbranch_execz .LBB12_1512
; %bb.1383:                             ;   in Loop: Header=BB12_49 Depth=1
	s_trap 2
	ds_load_b32 v6, v0
	s_mov_b32 s11, exec_lo
                                        ; implicit-def: $vgpr38
	s_wait_dscnt 0x0
	v_lshlrev_b32_e32 v55, 16, v6
	s_delay_alu instid0(VALU_DEP_1) | instskip(NEXT) | instid1(VALU_DEP_1)
	v_mul_f32_e32 v6, v87, v55
	v_and_b32_e32 v7, 0x7f800000, v6
	s_delay_alu instid0(VALU_DEP_1)
	v_cmpx_ne_u32_e32 0x7f800000, v7
	s_xor_b32 s11, exec_lo, s11
; %bb.1384:                             ;   in Loop: Header=BB12_49 Depth=1
	v_bfe_u32 v7, v6, 16, 1
	s_delay_alu instid0(VALU_DEP_1)
	v_add3_u32 v38, v6, v7, 0x7fff
                                        ; implicit-def: $vgpr6
; %bb.1385:                             ;   in Loop: Header=BB12_49 Depth=1
	s_and_not1_saveexec_b32 s11, s11
; %bb.1386:                             ;   in Loop: Header=BB12_49 Depth=1
	v_and_b32_e32 v7, 0xffff, v6
	v_or_b32_e32 v8, 0x10000, v6
	s_delay_alu instid0(VALU_DEP_2) | instskip(NEXT) | instid1(VALU_DEP_2)
	v_cmp_eq_u32_e32 vcc_lo, 0, v7
	v_cndmask_b32_e32 v38, v8, v6, vcc_lo
; %bb.1387:                             ;   in Loop: Header=BB12_49 Depth=1
	s_or_b32 exec_lo, exec_lo, s11
	v_mul_f32_e32 v6, v53, v55
	s_mov_b32 s11, exec_lo
                                        ; implicit-def: $vgpr53
	s_delay_alu instid0(VALU_DEP_1) | instskip(NEXT) | instid1(VALU_DEP_1)
	v_and_b32_e32 v7, 0x7f800000, v6
	v_cmpx_ne_u32_e32 0x7f800000, v7
	s_xor_b32 s11, exec_lo, s11
; %bb.1388:                             ;   in Loop: Header=BB12_49 Depth=1
	v_bfe_u32 v7, v6, 16, 1
	s_delay_alu instid0(VALU_DEP_1)
	v_add3_u32 v53, v6, v7, 0x7fff
                                        ; implicit-def: $vgpr6
; %bb.1389:                             ;   in Loop: Header=BB12_49 Depth=1
	s_and_not1_saveexec_b32 s11, s11
; %bb.1390:                             ;   in Loop: Header=BB12_49 Depth=1
	v_and_b32_e32 v7, 0xffff, v6
	v_or_b32_e32 v8, 0x10000, v6
	s_delay_alu instid0(VALU_DEP_2) | instskip(NEXT) | instid1(VALU_DEP_2)
	v_cmp_eq_u32_e32 vcc_lo, 0, v7
	v_cndmask_b32_e32 v53, v8, v6, vcc_lo
; %bb.1391:                             ;   in Loop: Header=BB12_49 Depth=1
	s_or_b32 exec_lo, exec_lo, s11
	v_mul_f32_e32 v6, v85, v55
	s_mov_b32 s11, exec_lo
                                        ; implicit-def: $vgpr37
	s_delay_alu instid0(VALU_DEP_1) | instskip(NEXT) | instid1(VALU_DEP_1)
	v_and_b32_e32 v7, 0x7f800000, v6
	v_cmpx_ne_u32_e32 0x7f800000, v7
	s_xor_b32 s11, exec_lo, s11
; %bb.1392:                             ;   in Loop: Header=BB12_49 Depth=1
	v_bfe_u32 v7, v6, 16, 1
	s_delay_alu instid0(VALU_DEP_1)
	v_add3_u32 v37, v6, v7, 0x7fff
                                        ; implicit-def: $vgpr6
; %bb.1393:                             ;   in Loop: Header=BB12_49 Depth=1
	s_and_not1_saveexec_b32 s11, s11
; %bb.1394:                             ;   in Loop: Header=BB12_49 Depth=1
	v_and_b32_e32 v7, 0xffff, v6
	v_or_b32_e32 v8, 0x10000, v6
	s_delay_alu instid0(VALU_DEP_2) | instskip(NEXT) | instid1(VALU_DEP_2)
	v_cmp_eq_u32_e32 vcc_lo, 0, v7
	v_cndmask_b32_e32 v37, v8, v6, vcc_lo
; %bb.1395:                             ;   in Loop: Header=BB12_49 Depth=1
	s_or_b32 exec_lo, exec_lo, s11
	v_mul_f32_e32 v6, v83, v55
	s_mov_b32 s11, exec_lo
                                        ; implicit-def: $vgpr36
	s_delay_alu instid0(VALU_DEP_1) | instskip(NEXT) | instid1(VALU_DEP_1)
	v_and_b32_e32 v7, 0x7f800000, v6
	v_cmpx_ne_u32_e32 0x7f800000, v7
	s_xor_b32 s11, exec_lo, s11
; %bb.1396:                             ;   in Loop: Header=BB12_49 Depth=1
	v_bfe_u32 v7, v6, 16, 1
	s_delay_alu instid0(VALU_DEP_1)
	v_add3_u32 v36, v6, v7, 0x7fff
                                        ; implicit-def: $vgpr6
; %bb.1397:                             ;   in Loop: Header=BB12_49 Depth=1
	s_and_not1_saveexec_b32 s11, s11
; %bb.1398:                             ;   in Loop: Header=BB12_49 Depth=1
	v_and_b32_e32 v7, 0xffff, v6
	v_or_b32_e32 v8, 0x10000, v6
	s_delay_alu instid0(VALU_DEP_2) | instskip(NEXT) | instid1(VALU_DEP_2)
	v_cmp_eq_u32_e32 vcc_lo, 0, v7
	v_cndmask_b32_e32 v36, v8, v6, vcc_lo
; %bb.1399:                             ;   in Loop: Header=BB12_49 Depth=1
	s_or_b32 exec_lo, exec_lo, s11
	v_mul_f32_e32 v6, v81, v55
	s_mov_b32 s11, exec_lo
                                        ; implicit-def: $vgpr35
	s_delay_alu instid0(VALU_DEP_1) | instskip(NEXT) | instid1(VALU_DEP_1)
	v_and_b32_e32 v7, 0x7f800000, v6
	v_cmpx_ne_u32_e32 0x7f800000, v7
	s_xor_b32 s11, exec_lo, s11
; %bb.1400:                             ;   in Loop: Header=BB12_49 Depth=1
	v_bfe_u32 v7, v6, 16, 1
	s_delay_alu instid0(VALU_DEP_1)
	v_add3_u32 v35, v6, v7, 0x7fff
                                        ; implicit-def: $vgpr6
; %bb.1401:                             ;   in Loop: Header=BB12_49 Depth=1
	s_and_not1_saveexec_b32 s11, s11
; %bb.1402:                             ;   in Loop: Header=BB12_49 Depth=1
	v_and_b32_e32 v7, 0xffff, v6
	v_or_b32_e32 v8, 0x10000, v6
	s_delay_alu instid0(VALU_DEP_2) | instskip(NEXT) | instid1(VALU_DEP_2)
	v_cmp_eq_u32_e32 vcc_lo, 0, v7
	v_cndmask_b32_e32 v35, v8, v6, vcc_lo
; %bb.1403:                             ;   in Loop: Header=BB12_49 Depth=1
	s_or_b32 exec_lo, exec_lo, s11
	v_mul_f32_e32 v6, v71, v55
	s_mov_b32 s11, exec_lo
                                        ; implicit-def: $vgpr34
	s_delay_alu instid0(VALU_DEP_1) | instskip(NEXT) | instid1(VALU_DEP_1)
	v_and_b32_e32 v7, 0x7f800000, v6
	v_cmpx_ne_u32_e32 0x7f800000, v7
	s_xor_b32 s11, exec_lo, s11
; %bb.1404:                             ;   in Loop: Header=BB12_49 Depth=1
	v_bfe_u32 v7, v6, 16, 1
	s_delay_alu instid0(VALU_DEP_1)
	v_add3_u32 v34, v6, v7, 0x7fff
                                        ; implicit-def: $vgpr6
; %bb.1405:                             ;   in Loop: Header=BB12_49 Depth=1
	s_and_not1_saveexec_b32 s11, s11
; %bb.1406:                             ;   in Loop: Header=BB12_49 Depth=1
	v_and_b32_e32 v7, 0xffff, v6
	v_or_b32_e32 v8, 0x10000, v6
	s_delay_alu instid0(VALU_DEP_2) | instskip(NEXT) | instid1(VALU_DEP_2)
	v_cmp_eq_u32_e32 vcc_lo, 0, v7
	v_cndmask_b32_e32 v34, v8, v6, vcc_lo
; %bb.1407:                             ;   in Loop: Header=BB12_49 Depth=1
	s_or_b32 exec_lo, exec_lo, s11
	v_mul_f32_e32 v6, v68, v55
	s_mov_b32 s11, exec_lo
                                        ; implicit-def: $vgpr33
	s_delay_alu instid0(VALU_DEP_1) | instskip(NEXT) | instid1(VALU_DEP_1)
	v_and_b32_e32 v7, 0x7f800000, v6
	v_cmpx_ne_u32_e32 0x7f800000, v7
	s_xor_b32 s11, exec_lo, s11
; %bb.1408:                             ;   in Loop: Header=BB12_49 Depth=1
	v_bfe_u32 v7, v6, 16, 1
	s_delay_alu instid0(VALU_DEP_1)
	v_add3_u32 v33, v6, v7, 0x7fff
                                        ; implicit-def: $vgpr6
; %bb.1409:                             ;   in Loop: Header=BB12_49 Depth=1
	s_and_not1_saveexec_b32 s11, s11
; %bb.1410:                             ;   in Loop: Header=BB12_49 Depth=1
	v_and_b32_e32 v7, 0xffff, v6
	v_or_b32_e32 v8, 0x10000, v6
	s_delay_alu instid0(VALU_DEP_2) | instskip(NEXT) | instid1(VALU_DEP_2)
	v_cmp_eq_u32_e32 vcc_lo, 0, v7
	v_cndmask_b32_e32 v33, v8, v6, vcc_lo
; %bb.1411:                             ;   in Loop: Header=BB12_49 Depth=1
	s_or_b32 exec_lo, exec_lo, s11
	v_mul_f32_e32 v6, v67, v55
	s_mov_b32 s11, exec_lo
                                        ; implicit-def: $vgpr32
	s_delay_alu instid0(VALU_DEP_1) | instskip(NEXT) | instid1(VALU_DEP_1)
	v_and_b32_e32 v7, 0x7f800000, v6
	v_cmpx_ne_u32_e32 0x7f800000, v7
	s_xor_b32 s11, exec_lo, s11
; %bb.1412:                             ;   in Loop: Header=BB12_49 Depth=1
	v_bfe_u32 v7, v6, 16, 1
	s_delay_alu instid0(VALU_DEP_1)
	v_add3_u32 v32, v6, v7, 0x7fff
                                        ; implicit-def: $vgpr6
; %bb.1413:                             ;   in Loop: Header=BB12_49 Depth=1
	s_and_not1_saveexec_b32 s11, s11
; %bb.1414:                             ;   in Loop: Header=BB12_49 Depth=1
	v_and_b32_e32 v7, 0xffff, v6
	v_or_b32_e32 v8, 0x10000, v6
	s_delay_alu instid0(VALU_DEP_2) | instskip(NEXT) | instid1(VALU_DEP_2)
	v_cmp_eq_u32_e32 vcc_lo, 0, v7
	v_cndmask_b32_e32 v32, v8, v6, vcc_lo
; %bb.1415:                             ;   in Loop: Header=BB12_49 Depth=1
	s_or_b32 exec_lo, exec_lo, s11
	v_mul_f32_e32 v6, v66, v55
	s_mov_b32 s11, exec_lo
                                        ; implicit-def: $vgpr29
	s_delay_alu instid0(VALU_DEP_1) | instskip(NEXT) | instid1(VALU_DEP_1)
	v_and_b32_e32 v7, 0x7f800000, v6
	v_cmpx_ne_u32_e32 0x7f800000, v7
	s_xor_b32 s11, exec_lo, s11
; %bb.1416:                             ;   in Loop: Header=BB12_49 Depth=1
	v_bfe_u32 v7, v6, 16, 1
	s_delay_alu instid0(VALU_DEP_1)
	v_add3_u32 v29, v6, v7, 0x7fff
                                        ; implicit-def: $vgpr6
; %bb.1417:                             ;   in Loop: Header=BB12_49 Depth=1
	s_and_not1_saveexec_b32 s11, s11
; %bb.1418:                             ;   in Loop: Header=BB12_49 Depth=1
	v_and_b32_e32 v7, 0xffff, v6
	v_or_b32_e32 v8, 0x10000, v6
	s_delay_alu instid0(VALU_DEP_2) | instskip(NEXT) | instid1(VALU_DEP_2)
	v_cmp_eq_u32_e32 vcc_lo, 0, v7
	v_cndmask_b32_e32 v29, v8, v6, vcc_lo
; %bb.1419:                             ;   in Loop: Header=BB12_49 Depth=1
	s_or_b32 exec_lo, exec_lo, s11
	v_mul_f32_e32 v6, v65, v55
	s_mov_b32 s11, exec_lo
                                        ; implicit-def: $vgpr28
	s_delay_alu instid0(VALU_DEP_1) | instskip(NEXT) | instid1(VALU_DEP_1)
	v_and_b32_e32 v7, 0x7f800000, v6
	v_cmpx_ne_u32_e32 0x7f800000, v7
	s_xor_b32 s11, exec_lo, s11
; %bb.1420:                             ;   in Loop: Header=BB12_49 Depth=1
	v_bfe_u32 v7, v6, 16, 1
	s_delay_alu instid0(VALU_DEP_1)
	v_add3_u32 v28, v6, v7, 0x7fff
                                        ; implicit-def: $vgpr6
; %bb.1421:                             ;   in Loop: Header=BB12_49 Depth=1
	s_and_not1_saveexec_b32 s11, s11
; %bb.1422:                             ;   in Loop: Header=BB12_49 Depth=1
	v_and_b32_e32 v7, 0xffff, v6
	v_or_b32_e32 v8, 0x10000, v6
	s_delay_alu instid0(VALU_DEP_2) | instskip(NEXT) | instid1(VALU_DEP_2)
	v_cmp_eq_u32_e32 vcc_lo, 0, v7
	v_cndmask_b32_e32 v28, v8, v6, vcc_lo
; %bb.1423:                             ;   in Loop: Header=BB12_49 Depth=1
	s_or_b32 exec_lo, exec_lo, s11
	v_mul_f32_e32 v6, v64, v55
	s_mov_b32 s11, exec_lo
                                        ; implicit-def: $vgpr27
	s_delay_alu instid0(VALU_DEP_1) | instskip(NEXT) | instid1(VALU_DEP_1)
	v_and_b32_e32 v7, 0x7f800000, v6
	v_cmpx_ne_u32_e32 0x7f800000, v7
	s_xor_b32 s11, exec_lo, s11
; %bb.1424:                             ;   in Loop: Header=BB12_49 Depth=1
	v_bfe_u32 v7, v6, 16, 1
	s_delay_alu instid0(VALU_DEP_1)
	v_add3_u32 v27, v6, v7, 0x7fff
                                        ; implicit-def: $vgpr6
; %bb.1425:                             ;   in Loop: Header=BB12_49 Depth=1
	s_and_not1_saveexec_b32 s11, s11
; %bb.1426:                             ;   in Loop: Header=BB12_49 Depth=1
	v_and_b32_e32 v7, 0xffff, v6
	v_or_b32_e32 v8, 0x10000, v6
	s_delay_alu instid0(VALU_DEP_2) | instskip(NEXT) | instid1(VALU_DEP_2)
	v_cmp_eq_u32_e32 vcc_lo, 0, v7
	v_cndmask_b32_e32 v27, v8, v6, vcc_lo
; %bb.1427:                             ;   in Loop: Header=BB12_49 Depth=1
	s_or_b32 exec_lo, exec_lo, s11
	v_mul_f32_e32 v6, v54, v55
	s_mov_b32 s11, exec_lo
                                        ; implicit-def: $vgpr26
	s_delay_alu instid0(VALU_DEP_1) | instskip(NEXT) | instid1(VALU_DEP_1)
	v_and_b32_e32 v7, 0x7f800000, v6
	v_cmpx_ne_u32_e32 0x7f800000, v7
	s_xor_b32 s11, exec_lo, s11
; %bb.1428:                             ;   in Loop: Header=BB12_49 Depth=1
	v_bfe_u32 v7, v6, 16, 1
	s_delay_alu instid0(VALU_DEP_1)
	v_add3_u32 v26, v6, v7, 0x7fff
                                        ; implicit-def: $vgpr6
; %bb.1429:                             ;   in Loop: Header=BB12_49 Depth=1
	s_and_not1_saveexec_b32 s11, s11
; %bb.1430:                             ;   in Loop: Header=BB12_49 Depth=1
	v_and_b32_e32 v7, 0xffff, v6
	v_or_b32_e32 v8, 0x10000, v6
	s_delay_alu instid0(VALU_DEP_2) | instskip(NEXT) | instid1(VALU_DEP_2)
	v_cmp_eq_u32_e32 vcc_lo, 0, v7
	v_cndmask_b32_e32 v26, v8, v6, vcc_lo
; %bb.1431:                             ;   in Loop: Header=BB12_49 Depth=1
	s_or_b32 exec_lo, exec_lo, s11
	v_mul_f32_e32 v6, v52, v55
	s_mov_b32 s11, exec_lo
                                        ; implicit-def: $vgpr25
	s_delay_alu instid0(VALU_DEP_1) | instskip(NEXT) | instid1(VALU_DEP_1)
	v_and_b32_e32 v7, 0x7f800000, v6
	v_cmpx_ne_u32_e32 0x7f800000, v7
	s_xor_b32 s11, exec_lo, s11
; %bb.1432:                             ;   in Loop: Header=BB12_49 Depth=1
	v_bfe_u32 v7, v6, 16, 1
	s_delay_alu instid0(VALU_DEP_1)
	v_add3_u32 v25, v6, v7, 0x7fff
                                        ; implicit-def: $vgpr6
; %bb.1433:                             ;   in Loop: Header=BB12_49 Depth=1
	s_and_not1_saveexec_b32 s11, s11
; %bb.1434:                             ;   in Loop: Header=BB12_49 Depth=1
	v_and_b32_e32 v7, 0xffff, v6
	v_or_b32_e32 v8, 0x10000, v6
	s_delay_alu instid0(VALU_DEP_2) | instskip(NEXT) | instid1(VALU_DEP_2)
	v_cmp_eq_u32_e32 vcc_lo, 0, v7
	v_cndmask_b32_e32 v25, v8, v6, vcc_lo
; %bb.1435:                             ;   in Loop: Header=BB12_49 Depth=1
	s_or_b32 exec_lo, exec_lo, s11
	v_mul_f32_e32 v6, v51, v55
	s_mov_b32 s11, exec_lo
                                        ; implicit-def: $vgpr13
	s_delay_alu instid0(VALU_DEP_1) | instskip(NEXT) | instid1(VALU_DEP_1)
	v_and_b32_e32 v7, 0x7f800000, v6
	v_cmpx_ne_u32_e32 0x7f800000, v7
	s_xor_b32 s11, exec_lo, s11
; %bb.1436:                             ;   in Loop: Header=BB12_49 Depth=1
	v_bfe_u32 v7, v6, 16, 1
	s_delay_alu instid0(VALU_DEP_1)
	v_add3_u32 v13, v6, v7, 0x7fff
                                        ; implicit-def: $vgpr6
; %bb.1437:                             ;   in Loop: Header=BB12_49 Depth=1
	s_and_not1_saveexec_b32 s11, s11
; %bb.1438:                             ;   in Loop: Header=BB12_49 Depth=1
	v_and_b32_e32 v7, 0xffff, v6
	v_or_b32_e32 v8, 0x10000, v6
	s_delay_alu instid0(VALU_DEP_2) | instskip(NEXT) | instid1(VALU_DEP_2)
	v_cmp_eq_u32_e32 vcc_lo, 0, v7
	v_cndmask_b32_e32 v13, v8, v6, vcc_lo
; %bb.1439:                             ;   in Loop: Header=BB12_49 Depth=1
	s_or_b32 exec_lo, exec_lo, s11
	v_mul_f32_e32 v5, v5, v55
	s_mov_b32 s11, exec_lo
                                        ; implicit-def: $vgpr12
	s_delay_alu instid0(VALU_DEP_1) | instskip(NEXT) | instid1(VALU_DEP_1)
	v_and_b32_e32 v6, 0x7f800000, v5
	v_cmpx_ne_u32_e32 0x7f800000, v6
	s_xor_b32 s11, exec_lo, s11
; %bb.1440:                             ;   in Loop: Header=BB12_49 Depth=1
	v_bfe_u32 v6, v5, 16, 1
	s_delay_alu instid0(VALU_DEP_1)
	v_add3_u32 v12, v5, v6, 0x7fff
                                        ; implicit-def: $vgpr5
; %bb.1441:                             ;   in Loop: Header=BB12_49 Depth=1
	s_and_not1_saveexec_b32 s11, s11
; %bb.1442:                             ;   in Loop: Header=BB12_49 Depth=1
	v_and_b32_e32 v6, 0xffff, v5
	v_or_b32_e32 v7, 0x10000, v5
	s_delay_alu instid0(VALU_DEP_2) | instskip(NEXT) | instid1(VALU_DEP_2)
	v_cmp_eq_u32_e32 vcc_lo, 0, v6
	v_cndmask_b32_e32 v12, v7, v5, vcc_lo
; %bb.1443:                             ;   in Loop: Header=BB12_49 Depth=1
	s_or_b32 exec_lo, exec_lo, s11
	v_mul_f32_e32 v5, v4, v55
	s_delay_alu instid0(VALU_DEP_1) | instskip(NEXT) | instid1(VALU_DEP_1)
	v_and_b32_e32 v4, 0x7f800000, v5
	v_cmp_ne_u32_e32 vcc_lo, 0x7f800000, v4
                                        ; implicit-def: $vgpr4
	s_and_saveexec_b32 s11, vcc_lo
	s_delay_alu instid0(SALU_CYCLE_1)
	s_xor_b32 s11, exec_lo, s11
; %bb.1444:                             ;   in Loop: Header=BB12_49 Depth=1
	v_bfe_u32 v4, v5, 16, 1
	s_delay_alu instid0(VALU_DEP_1)
	v_add3_u32 v4, v5, v4, 0x7fff
                                        ; implicit-def: $vgpr5
; %bb.1445:                             ;   in Loop: Header=BB12_49 Depth=1
	s_and_not1_saveexec_b32 s11, s11
; %bb.1446:                             ;   in Loop: Header=BB12_49 Depth=1
	v_and_b32_e32 v4, 0xffff, v5
	v_or_b32_e32 v6, 0x10000, v5
	s_delay_alu instid0(VALU_DEP_2) | instskip(NEXT) | instid1(VALU_DEP_2)
	v_cmp_eq_u32_e32 vcc_lo, 0, v4
	v_cndmask_b32_e32 v4, v6, v5, vcc_lo
; %bb.1447:                             ;   in Loop: Header=BB12_49 Depth=1
	s_or_b32 exec_lo, exec_lo, s11
	v_and_b32_e32 v5, 0xffff0000, v38
	s_delay_alu instid0(VALU_DEP_1) | instskip(NEXT) | instid1(VALU_DEP_1)
	v_add_f32_e32 v6, v50, v5
	v_and_b32_e32 v5, 0x7f800000, v6
	s_delay_alu instid0(VALU_DEP_1) | instskip(SKIP_1) | instid1(SALU_CYCLE_1)
	v_cmp_ne_u32_e32 vcc_lo, 0x7f800000, v5
                                        ; implicit-def: $vgpr5
	s_and_saveexec_b32 s11, vcc_lo
	s_xor_b32 s11, exec_lo, s11
; %bb.1448:                             ;   in Loop: Header=BB12_49 Depth=1
	v_bfe_u32 v5, v6, 16, 1
	s_delay_alu instid0(VALU_DEP_1)
	v_add3_u32 v5, v6, v5, 0x7fff
                                        ; implicit-def: $vgpr6
; %bb.1449:                             ;   in Loop: Header=BB12_49 Depth=1
	s_and_not1_saveexec_b32 s11, s11
; %bb.1450:                             ;   in Loop: Header=BB12_49 Depth=1
	v_and_b32_e32 v5, 0xffff, v6
	v_or_b32_e32 v7, 0x10000, v6
	s_delay_alu instid0(VALU_DEP_2) | instskip(NEXT) | instid1(VALU_DEP_2)
	v_cmp_eq_u32_e32 vcc_lo, 0, v5
	v_cndmask_b32_e32 v5, v7, v6, vcc_lo
; %bb.1451:                             ;   in Loop: Header=BB12_49 Depth=1
	s_or_b32 exec_lo, exec_lo, s11
	v_and_b32_e32 v6, 0xffff0000, v53
	s_mov_b32 s11, exec_lo
                                        ; implicit-def: $vgpr38
	s_delay_alu instid0(VALU_DEP_1) | instskip(NEXT) | instid1(VALU_DEP_1)
	v_add_f32_e32 v6, v49, v6
	v_and_b32_e32 v7, 0x7f800000, v6
	s_delay_alu instid0(VALU_DEP_1)
	v_cmpx_ne_u32_e32 0x7f800000, v7
	s_xor_b32 s11, exec_lo, s11
; %bb.1452:                             ;   in Loop: Header=BB12_49 Depth=1
	v_bfe_u32 v7, v6, 16, 1
	s_delay_alu instid0(VALU_DEP_1)
	v_add3_u32 v38, v6, v7, 0x7fff
                                        ; implicit-def: $vgpr6
; %bb.1453:                             ;   in Loop: Header=BB12_49 Depth=1
	s_and_not1_saveexec_b32 s11, s11
; %bb.1454:                             ;   in Loop: Header=BB12_49 Depth=1
	v_and_b32_e32 v7, 0xffff, v6
	v_or_b32_e32 v8, 0x10000, v6
	s_delay_alu instid0(VALU_DEP_2) | instskip(NEXT) | instid1(VALU_DEP_2)
	v_cmp_eq_u32_e32 vcc_lo, 0, v7
	v_cndmask_b32_e32 v38, v8, v6, vcc_lo
; %bb.1455:                             ;   in Loop: Header=BB12_49 Depth=1
	s_or_b32 exec_lo, exec_lo, s11
	v_and_b32_e32 v6, 0xffff0000, v37
	s_mov_b32 s11, exec_lo
                                        ; implicit-def: $vgpr37
	s_delay_alu instid0(VALU_DEP_1) | instskip(NEXT) | instid1(VALU_DEP_1)
	v_add_f32_e32 v6, v48, v6
	v_and_b32_e32 v7, 0x7f800000, v6
	s_delay_alu instid0(VALU_DEP_1)
	v_cmpx_ne_u32_e32 0x7f800000, v7
	s_xor_b32 s11, exec_lo, s11
; %bb.1456:                             ;   in Loop: Header=BB12_49 Depth=1
	v_bfe_u32 v7, v6, 16, 1
	s_delay_alu instid0(VALU_DEP_1)
	v_add3_u32 v37, v6, v7, 0x7fff
                                        ; implicit-def: $vgpr6
; %bb.1457:                             ;   in Loop: Header=BB12_49 Depth=1
	s_and_not1_saveexec_b32 s11, s11
; %bb.1458:                             ;   in Loop: Header=BB12_49 Depth=1
	v_and_b32_e32 v7, 0xffff, v6
	v_or_b32_e32 v8, 0x10000, v6
	s_delay_alu instid0(VALU_DEP_2) | instskip(NEXT) | instid1(VALU_DEP_2)
	v_cmp_eq_u32_e32 vcc_lo, 0, v7
	v_cndmask_b32_e32 v37, v8, v6, vcc_lo
; %bb.1459:                             ;   in Loop: Header=BB12_49 Depth=1
	s_or_b32 exec_lo, exec_lo, s11
	v_and_b32_e32 v6, 0xffff0000, v36
	s_mov_b32 s11, exec_lo
	s_delay_alu instid0(VALU_DEP_1) | instskip(NEXT) | instid1(VALU_DEP_1)
	v_add_f32_e32 v6, v31, v6
                                        ; implicit-def: $vgpr31
	v_and_b32_e32 v7, 0x7f800000, v6
	s_delay_alu instid0(VALU_DEP_1)
	v_cmpx_ne_u32_e32 0x7f800000, v7
	s_xor_b32 s11, exec_lo, s11
; %bb.1460:                             ;   in Loop: Header=BB12_49 Depth=1
	v_bfe_u32 v7, v6, 16, 1
	s_delay_alu instid0(VALU_DEP_1)
	v_add3_u32 v31, v6, v7, 0x7fff
                                        ; implicit-def: $vgpr6
; %bb.1461:                             ;   in Loop: Header=BB12_49 Depth=1
	s_and_not1_saveexec_b32 s11, s11
; %bb.1462:                             ;   in Loop: Header=BB12_49 Depth=1
	v_and_b32_e32 v7, 0xffff, v6
	v_or_b32_e32 v8, 0x10000, v6
	s_delay_alu instid0(VALU_DEP_2) | instskip(NEXT) | instid1(VALU_DEP_2)
	v_cmp_eq_u32_e32 vcc_lo, 0, v7
	v_cndmask_b32_e32 v31, v8, v6, vcc_lo
; %bb.1463:                             ;   in Loop: Header=BB12_49 Depth=1
	s_or_b32 exec_lo, exec_lo, s11
	v_and_b32_e32 v6, 0xffff0000, v35
	s_mov_b32 s11, exec_lo
	s_delay_alu instid0(VALU_DEP_1) | instskip(NEXT) | instid1(VALU_DEP_1)
	v_add_f32_e32 v6, v24, v6
                                        ; implicit-def: $vgpr24
	v_and_b32_e32 v7, 0x7f800000, v6
	s_delay_alu instid0(VALU_DEP_1)
	v_cmpx_ne_u32_e32 0x7f800000, v7
	s_xor_b32 s11, exec_lo, s11
; %bb.1464:                             ;   in Loop: Header=BB12_49 Depth=1
	v_bfe_u32 v7, v6, 16, 1
	s_delay_alu instid0(VALU_DEP_1)
	v_add3_u32 v24, v6, v7, 0x7fff
                                        ; implicit-def: $vgpr6
; %bb.1465:                             ;   in Loop: Header=BB12_49 Depth=1
	s_and_not1_saveexec_b32 s11, s11
; %bb.1466:                             ;   in Loop: Header=BB12_49 Depth=1
	v_and_b32_e32 v7, 0xffff, v6
	v_or_b32_e32 v8, 0x10000, v6
	s_delay_alu instid0(VALU_DEP_2) | instskip(NEXT) | instid1(VALU_DEP_2)
	v_cmp_eq_u32_e32 vcc_lo, 0, v7
	v_cndmask_b32_e32 v24, v8, v6, vcc_lo
; %bb.1467:                             ;   in Loop: Header=BB12_49 Depth=1
	s_or_b32 exec_lo, exec_lo, s11
	v_and_b32_e32 v6, 0xffff0000, v34
	s_mov_b32 s11, exec_lo
	s_delay_alu instid0(VALU_DEP_1) | instskip(NEXT) | instid1(VALU_DEP_1)
	v_add_f32_e32 v6, v23, v6
                                        ; implicit-def: $vgpr23
	v_and_b32_e32 v7, 0x7f800000, v6
	s_delay_alu instid0(VALU_DEP_1)
	v_cmpx_ne_u32_e32 0x7f800000, v7
	s_xor_b32 s11, exec_lo, s11
; %bb.1468:                             ;   in Loop: Header=BB12_49 Depth=1
	v_bfe_u32 v7, v6, 16, 1
	s_delay_alu instid0(VALU_DEP_1)
	v_add3_u32 v23, v6, v7, 0x7fff
                                        ; implicit-def: $vgpr6
; %bb.1469:                             ;   in Loop: Header=BB12_49 Depth=1
	s_and_not1_saveexec_b32 s11, s11
; %bb.1470:                             ;   in Loop: Header=BB12_49 Depth=1
	v_and_b32_e32 v7, 0xffff, v6
	v_or_b32_e32 v8, 0x10000, v6
	s_delay_alu instid0(VALU_DEP_2) | instskip(NEXT) | instid1(VALU_DEP_2)
	v_cmp_eq_u32_e32 vcc_lo, 0, v7
	v_cndmask_b32_e32 v23, v8, v6, vcc_lo
; %bb.1471:                             ;   in Loop: Header=BB12_49 Depth=1
	s_or_b32 exec_lo, exec_lo, s11
	v_and_b32_e32 v6, 0xffff0000, v33
	s_mov_b32 s11, exec_lo
	s_delay_alu instid0(VALU_DEP_1) | instskip(NEXT) | instid1(VALU_DEP_1)
	v_add_f32_e32 v6, v22, v6
                                        ; implicit-def: $vgpr22
	v_and_b32_e32 v7, 0x7f800000, v6
	s_delay_alu instid0(VALU_DEP_1)
	v_cmpx_ne_u32_e32 0x7f800000, v7
	s_xor_b32 s11, exec_lo, s11
; %bb.1472:                             ;   in Loop: Header=BB12_49 Depth=1
	v_bfe_u32 v7, v6, 16, 1
	s_delay_alu instid0(VALU_DEP_1)
	v_add3_u32 v22, v6, v7, 0x7fff
                                        ; implicit-def: $vgpr6
; %bb.1473:                             ;   in Loop: Header=BB12_49 Depth=1
	s_and_not1_saveexec_b32 s11, s11
; %bb.1474:                             ;   in Loop: Header=BB12_49 Depth=1
	v_and_b32_e32 v7, 0xffff, v6
	v_or_b32_e32 v8, 0x10000, v6
	s_delay_alu instid0(VALU_DEP_2) | instskip(NEXT) | instid1(VALU_DEP_2)
	v_cmp_eq_u32_e32 vcc_lo, 0, v7
	v_cndmask_b32_e32 v22, v8, v6, vcc_lo
; %bb.1475:                             ;   in Loop: Header=BB12_49 Depth=1
	s_or_b32 exec_lo, exec_lo, s11
	v_and_b32_e32 v6, 0xffff0000, v32
	s_mov_b32 s11, exec_lo
	s_delay_alu instid0(VALU_DEP_1) | instskip(NEXT) | instid1(VALU_DEP_1)
	v_add_f32_e32 v6, v21, v6
                                        ; implicit-def: $vgpr21
	v_and_b32_e32 v7, 0x7f800000, v6
	s_delay_alu instid0(VALU_DEP_1)
	v_cmpx_ne_u32_e32 0x7f800000, v7
	s_xor_b32 s11, exec_lo, s11
; %bb.1476:                             ;   in Loop: Header=BB12_49 Depth=1
	v_bfe_u32 v7, v6, 16, 1
	s_delay_alu instid0(VALU_DEP_1)
	v_add3_u32 v21, v6, v7, 0x7fff
                                        ; implicit-def: $vgpr6
; %bb.1477:                             ;   in Loop: Header=BB12_49 Depth=1
	s_and_not1_saveexec_b32 s11, s11
; %bb.1478:                             ;   in Loop: Header=BB12_49 Depth=1
	v_and_b32_e32 v7, 0xffff, v6
	v_or_b32_e32 v8, 0x10000, v6
	s_delay_alu instid0(VALU_DEP_2) | instskip(NEXT) | instid1(VALU_DEP_2)
	v_cmp_eq_u32_e32 vcc_lo, 0, v7
	v_cndmask_b32_e32 v21, v8, v6, vcc_lo
; %bb.1479:                             ;   in Loop: Header=BB12_49 Depth=1
	s_or_b32 exec_lo, exec_lo, s11
	v_and_b32_e32 v6, 0xffff0000, v29
	s_mov_b32 s11, exec_lo
	s_delay_alu instid0(VALU_DEP_1) | instskip(NEXT) | instid1(VALU_DEP_1)
	v_add_f32_e32 v6, v17, v6
                                        ; implicit-def: $vgpr17
	v_and_b32_e32 v7, 0x7f800000, v6
	s_delay_alu instid0(VALU_DEP_1)
	v_cmpx_ne_u32_e32 0x7f800000, v7
	s_xor_b32 s11, exec_lo, s11
; %bb.1480:                             ;   in Loop: Header=BB12_49 Depth=1
	v_bfe_u32 v7, v6, 16, 1
	s_delay_alu instid0(VALU_DEP_1)
	v_add3_u32 v17, v6, v7, 0x7fff
                                        ; implicit-def: $vgpr6
; %bb.1481:                             ;   in Loop: Header=BB12_49 Depth=1
	s_and_not1_saveexec_b32 s11, s11
; %bb.1482:                             ;   in Loop: Header=BB12_49 Depth=1
	v_and_b32_e32 v7, 0xffff, v6
	v_or_b32_e32 v8, 0x10000, v6
	s_delay_alu instid0(VALU_DEP_2) | instskip(NEXT) | instid1(VALU_DEP_2)
	v_cmp_eq_u32_e32 vcc_lo, 0, v7
	v_cndmask_b32_e32 v17, v8, v6, vcc_lo
; %bb.1483:                             ;   in Loop: Header=BB12_49 Depth=1
	s_or_b32 exec_lo, exec_lo, s11
	v_and_b32_e32 v6, 0xffff0000, v28
	s_mov_b32 s11, exec_lo
	s_delay_alu instid0(VALU_DEP_1) | instskip(NEXT) | instid1(VALU_DEP_1)
	v_add_f32_e32 v6, v16, v6
                                        ; implicit-def: $vgpr16
	v_and_b32_e32 v7, 0x7f800000, v6
	s_delay_alu instid0(VALU_DEP_1)
	v_cmpx_ne_u32_e32 0x7f800000, v7
	s_xor_b32 s11, exec_lo, s11
; %bb.1484:                             ;   in Loop: Header=BB12_49 Depth=1
	v_bfe_u32 v7, v6, 16, 1
	s_delay_alu instid0(VALU_DEP_1)
	v_add3_u32 v16, v6, v7, 0x7fff
                                        ; implicit-def: $vgpr6
; %bb.1485:                             ;   in Loop: Header=BB12_49 Depth=1
	s_and_not1_saveexec_b32 s11, s11
; %bb.1486:                             ;   in Loop: Header=BB12_49 Depth=1
	v_and_b32_e32 v7, 0xffff, v6
	v_or_b32_e32 v8, 0x10000, v6
	s_delay_alu instid0(VALU_DEP_2) | instskip(NEXT) | instid1(VALU_DEP_2)
	v_cmp_eq_u32_e32 vcc_lo, 0, v7
	v_cndmask_b32_e32 v16, v8, v6, vcc_lo
; %bb.1487:                             ;   in Loop: Header=BB12_49 Depth=1
	s_or_b32 exec_lo, exec_lo, s11
	v_and_b32_e32 v6, 0xffff0000, v27
	s_mov_b32 s11, exec_lo
	s_delay_alu instid0(VALU_DEP_1) | instskip(NEXT) | instid1(VALU_DEP_1)
	v_add_f32_e32 v6, v15, v6
                                        ; implicit-def: $vgpr15
	v_and_b32_e32 v7, 0x7f800000, v6
	s_delay_alu instid0(VALU_DEP_1)
	v_cmpx_ne_u32_e32 0x7f800000, v7
	s_xor_b32 s11, exec_lo, s11
; %bb.1488:                             ;   in Loop: Header=BB12_49 Depth=1
	v_bfe_u32 v7, v6, 16, 1
	s_delay_alu instid0(VALU_DEP_1)
	v_add3_u32 v15, v6, v7, 0x7fff
                                        ; implicit-def: $vgpr6
; %bb.1489:                             ;   in Loop: Header=BB12_49 Depth=1
	s_and_not1_saveexec_b32 s11, s11
; %bb.1490:                             ;   in Loop: Header=BB12_49 Depth=1
	v_and_b32_e32 v7, 0xffff, v6
	v_or_b32_e32 v8, 0x10000, v6
	s_delay_alu instid0(VALU_DEP_2) | instskip(NEXT) | instid1(VALU_DEP_2)
	v_cmp_eq_u32_e32 vcc_lo, 0, v7
	v_cndmask_b32_e32 v15, v8, v6, vcc_lo
; %bb.1491:                             ;   in Loop: Header=BB12_49 Depth=1
	s_or_b32 exec_lo, exec_lo, s11
	v_and_b32_e32 v6, 0xffff0000, v26
	s_mov_b32 s11, exec_lo
	s_delay_alu instid0(VALU_DEP_1) | instskip(NEXT) | instid1(VALU_DEP_1)
	v_add_f32_e32 v6, v14, v6
                                        ; implicit-def: $vgpr14
	v_and_b32_e32 v7, 0x7f800000, v6
	s_delay_alu instid0(VALU_DEP_1)
	v_cmpx_ne_u32_e32 0x7f800000, v7
	s_xor_b32 s11, exec_lo, s11
; %bb.1492:                             ;   in Loop: Header=BB12_49 Depth=1
	v_bfe_u32 v7, v6, 16, 1
	s_delay_alu instid0(VALU_DEP_1)
	v_add3_u32 v14, v6, v7, 0x7fff
                                        ; implicit-def: $vgpr6
; %bb.1493:                             ;   in Loop: Header=BB12_49 Depth=1
	s_and_not1_saveexec_b32 s11, s11
; %bb.1494:                             ;   in Loop: Header=BB12_49 Depth=1
	v_and_b32_e32 v7, 0xffff, v6
	v_or_b32_e32 v8, 0x10000, v6
	s_delay_alu instid0(VALU_DEP_2) | instskip(NEXT) | instid1(VALU_DEP_2)
	v_cmp_eq_u32_e32 vcc_lo, 0, v7
	v_cndmask_b32_e32 v14, v8, v6, vcc_lo
; %bb.1495:                             ;   in Loop: Header=BB12_49 Depth=1
	s_or_b32 exec_lo, exec_lo, s11
	v_and_b32_e32 v6, 0xffff0000, v25
	s_delay_alu instid0(VALU_DEP_1) | instskip(NEXT) | instid1(VALU_DEP_1)
	v_add_f32_e32 v6, v3, v6
	v_and_b32_e32 v3, 0x7f800000, v6
	s_delay_alu instid0(VALU_DEP_1) | instskip(SKIP_1) | instid1(SALU_CYCLE_1)
	v_cmp_ne_u32_e32 vcc_lo, 0x7f800000, v3
                                        ; implicit-def: $vgpr3
	s_and_saveexec_b32 s11, vcc_lo
	s_xor_b32 s11, exec_lo, s11
; %bb.1496:                             ;   in Loop: Header=BB12_49 Depth=1
	v_bfe_u32 v3, v6, 16, 1
	s_delay_alu instid0(VALU_DEP_1)
	v_add3_u32 v3, v6, v3, 0x7fff
                                        ; implicit-def: $vgpr6
; %bb.1497:                             ;   in Loop: Header=BB12_49 Depth=1
	s_and_not1_saveexec_b32 s11, s11
; %bb.1498:                             ;   in Loop: Header=BB12_49 Depth=1
	v_and_b32_e32 v3, 0xffff, v6
	v_or_b32_e32 v7, 0x10000, v6
	s_delay_alu instid0(VALU_DEP_2) | instskip(NEXT) | instid1(VALU_DEP_2)
	v_cmp_eq_u32_e32 vcc_lo, 0, v3
	v_cndmask_b32_e32 v3, v7, v6, vcc_lo
; %bb.1499:                             ;   in Loop: Header=BB12_49 Depth=1
	s_or_b32 exec_lo, exec_lo, s11
	v_and_b32_e32 v6, 0xffff0000, v13
	s_delay_alu instid0(VALU_DEP_1) | instskip(NEXT) | instid1(VALU_DEP_1)
	v_add_f32_e32 v6, v2, v6
	v_and_b32_e32 v2, 0x7f800000, v6
	s_delay_alu instid0(VALU_DEP_1) | instskip(SKIP_1) | instid1(SALU_CYCLE_1)
	v_cmp_ne_u32_e32 vcc_lo, 0x7f800000, v2
                                        ; implicit-def: $vgpr2
	s_and_saveexec_b32 s11, vcc_lo
	s_xor_b32 s11, exec_lo, s11
; %bb.1500:                             ;   in Loop: Header=BB12_49 Depth=1
	v_bfe_u32 v2, v6, 16, 1
	s_delay_alu instid0(VALU_DEP_1)
	v_add3_u32 v2, v6, v2, 0x7fff
                                        ; implicit-def: $vgpr6
; %bb.1501:                             ;   in Loop: Header=BB12_49 Depth=1
	s_and_not1_saveexec_b32 s11, s11
; %bb.1502:                             ;   in Loop: Header=BB12_49 Depth=1
	v_and_b32_e32 v2, 0xffff, v6
	v_or_b32_e32 v7, 0x10000, v6
	s_delay_alu instid0(VALU_DEP_2) | instskip(NEXT) | instid1(VALU_DEP_2)
	v_cmp_eq_u32_e32 vcc_lo, 0, v2
	v_cndmask_b32_e32 v2, v7, v6, vcc_lo
; %bb.1503:                             ;   in Loop: Header=BB12_49 Depth=1
	s_or_b32 exec_lo, exec_lo, s11
	v_and_b32_e32 v6, 0xffff0000, v12
	s_delay_alu instid0(VALU_DEP_1) | instskip(NEXT) | instid1(VALU_DEP_1)
	v_add_f32_e32 v6, v1, v6
	v_and_b32_e32 v1, 0x7f800000, v6
	s_delay_alu instid0(VALU_DEP_1) | instskip(SKIP_1) | instid1(SALU_CYCLE_1)
	v_cmp_ne_u32_e32 vcc_lo, 0x7f800000, v1
                                        ; implicit-def: $vgpr1
	s_and_saveexec_b32 s11, vcc_lo
	s_xor_b32 s11, exec_lo, s11
; %bb.1504:                             ;   in Loop: Header=BB12_49 Depth=1
	v_bfe_u32 v1, v6, 16, 1
	s_delay_alu instid0(VALU_DEP_1)
	v_add3_u32 v1, v6, v1, 0x7fff
                                        ; implicit-def: $vgpr6
; %bb.1505:                             ;   in Loop: Header=BB12_49 Depth=1
	s_and_not1_saveexec_b32 s11, s11
; %bb.1506:                             ;   in Loop: Header=BB12_49 Depth=1
	v_and_b32_e32 v1, 0xffff, v6
	v_or_b32_e32 v7, 0x10000, v6
	s_delay_alu instid0(VALU_DEP_2) | instskip(NEXT) | instid1(VALU_DEP_2)
	v_cmp_eq_u32_e32 vcc_lo, 0, v1
	v_cndmask_b32_e32 v1, v7, v6, vcc_lo
; %bb.1507:                             ;   in Loop: Header=BB12_49 Depth=1
	s_or_b32 exec_lo, exec_lo, s11
	v_and_b32_e32 v4, 0xffff0000, v4
	s_delay_alu instid0(VALU_DEP_1) | instskip(NEXT) | instid1(VALU_DEP_1)
	v_add_f32_e32 v4, v0, v4
	v_and_b32_e32 v0, 0x7f800000, v4
	s_delay_alu instid0(VALU_DEP_1) | instskip(SKIP_1) | instid1(SALU_CYCLE_1)
	v_cmp_ne_u32_e32 vcc_lo, 0x7f800000, v0
                                        ; implicit-def: $vgpr0
	s_and_saveexec_b32 s11, vcc_lo
	s_xor_b32 s11, exec_lo, s11
; %bb.1508:                             ;   in Loop: Header=BB12_49 Depth=1
	v_bfe_u32 v0, v4, 16, 1
	s_delay_alu instid0(VALU_DEP_1)
	v_add3_u32 v0, v4, v0, 0x7fff
                                        ; implicit-def: $vgpr4
; %bb.1509:                             ;   in Loop: Header=BB12_49 Depth=1
	s_and_not1_saveexec_b32 s11, s11
; %bb.1510:                             ;   in Loop: Header=BB12_49 Depth=1
	v_and_b32_e32 v0, 0xffff, v4
	v_or_b32_e32 v6, 0x10000, v4
	s_delay_alu instid0(VALU_DEP_2) | instskip(NEXT) | instid1(VALU_DEP_2)
	v_cmp_eq_u32_e32 vcc_lo, 0, v0
	v_cndmask_b32_e32 v0, v6, v4, vcc_lo
; %bb.1511:                             ;   in Loop: Header=BB12_49 Depth=1
	s_or_b32 exec_lo, exec_lo, s11
	s_clause 0xf
	flat_store_d16_hi_b16 v[10:11], v5 th:TH_STORE_NT
	flat_store_d16_hi_b16 v[10:11], v38 offset:64 th:TH_STORE_NT
	flat_store_d16_hi_b16 v[10:11], v37 offset:128 th:TH_STORE_NT
	;; [unrolled: 1-line block ×15, first 2 shown]
.LBB12_1512:                            ;   in Loop: Header=BB12_49 Depth=1
	s_wait_xcnt 0x0
	s_or_b32 exec_lo, exec_lo, s10
	v_lshlrev_b32_e32 v0, 10, v20
	v_add_nc_u64_e32 v[14:15], 64, v[88:89]
	s_delay_alu instid0(VALU_DEP_2) | instskip(SKIP_1) | instid1(SALU_CYCLE_1)
	v_cmp_ne_u32_e32 vcc_lo, v112, v0
	s_and_b32 s10, exec_lo, vcc_lo
	s_mov_b32 exec_lo, s10
	s_cbranch_execz .LBB12_1549
; %bb.1513:                             ;   in Loop: Header=BB12_49 Depth=1
	v_lshlrev_b32_e32 v1, 5, v39
	s_delay_alu instid0(VALU_DEP_1) | instskip(NEXT) | instid1(VALU_DEP_1)
	v_sub_nc_u32_e32 v1, v19, v1
	v_ashrrev_i32_e32 v2, 31, v1
	s_delay_alu instid0(VALU_DEP_1) | instskip(NEXT) | instid1(VALU_DEP_1)
	v_lshrrev_b32_e32 v2, 27, v2
	v_add_nc_u32_e32 v2, v1, v2
	s_delay_alu instid0(VALU_DEP_1) | instskip(NEXT) | instid1(VALU_DEP_1)
	v_and_b32_e32 v3, 0x7fffffe0, v2
	v_dual_lshlrev_b32 v2, 1, v2 :: v_dual_sub_nc_u32 v1, v1, v3
	s_delay_alu instid0(VALU_DEP_1) | instskip(NEXT) | instid1(VALU_DEP_2)
	v_and_b32_e32 v2, 0xffffffc0, v2
	v_lshlrev_b32_e32 v1, 1, v1
	s_delay_alu instid0(VALU_DEP_1) | instskip(NEXT) | instid1(VALU_DEP_1)
	v_add3_u32 v1, v2, v1, v0
	v_sub_nc_u32_e32 v0, v112, v1
	s_delay_alu instid0(VALU_DEP_1)
	v_cmp_lt_i32_e32 vcc_lo, 1, v0
	s_and_b32 exec_lo, exec_lo, vcc_lo
	s_cbranch_execz .LBB12_1549
; %bb.1514:                             ;   in Loop: Header=BB12_49 Depth=1
	s_trap 2
	s_clause 0x1
	scratch_load_b64 v[2:3], off, s33 offset:336 th:TH_LOAD_LU
	scratch_load_b64 v[8:9], off, s33 offset:264 th:TH_LOAD_LU
	ds_load_b64 v[4:5], v0
	v_add_nc_u32_e32 v6, v1, v18
	s_mov_b32 s29, 0
	s_mov_b32 s15, 0
                                        ; implicit-def: $sgpr28
	s_delay_alu instid0(VALU_DEP_1) | instskip(SKIP_1) | instid1(VALU_DEP_1)
	v_ashrrev_i32_e32 v7, 31, v6
	s_wait_dscnt 0x0
	v_add_nc_u64_e32 v[10:11], v[4:5], v[6:7]
	s_wait_loadcnt 0x1
	v_add_nc_u64_e32 v[2:3], v[2:3], v[6:7]
	s_wait_loadcnt 0x0
	v_add_nc_u64_e32 v[12:13], v[6:7], v[8:9]
	s_branch .LBB12_1516
.LBB12_1515:                            ;   in Loop: Header=BB12_1516 Depth=2
	s_or_b32 exec_lo, exec_lo, s10
	s_delay_alu instid0(VALU_DEP_1) | instskip(SKIP_2) | instid1(VALU_DEP_3)
	v_dual_cndmask_b32 v8, 0, v90, s29 :: v_dual_lshrrev_b32 v1, 16, v1
	v_add_nc_u64_e32 v[4:5], v[10:11], v[88:89]
	v_dual_cndmask_b32 v7, 0, v15, s29 :: v_dual_cndmask_b32 v6, 64, v14, s29
	v_sub_nc_u32_e32 v0, v0, v8
	v_add_nc_u64_e32 v[8:9], v[12:13], v[88:89]
	flat_store_b16 v[2:3], v1 th:TH_STORE_NT
	scratch_store_b16 off, v1, s33 offset:192
	v_cndmask_b32_e64 v11, v11, v5, s29
	v_cmp_gt_i32_e32 vcc_lo, 2, v0
	s_wait_xcnt 0x1
	v_add_nc_u64_e32 v[2:3], v[2:3], v[6:7]
	v_dual_cndmask_b32 v10, v10, v4, s29 :: v_dual_cndmask_b32 v13, v13, v9, s29
	v_cndmask_b32_e64 v12, v12, v8, s29
	s_or_b32 s15, vcc_lo, s15
	s_and_not1_b32 s10, s28, exec_lo
	s_and_b32 s11, s29, exec_lo
	s_delay_alu instid0(SALU_CYCLE_1)
	s_or_b32 s28, s10, s11
	s_wait_xcnt 0x0
	s_and_not1_b32 exec_lo, exec_lo, s15
	s_cbranch_execz .LBB12_1539
.LBB12_1516:                            ;   Parent Loop BB12_49 Depth=1
                                        ; =>  This Loop Header: Depth=2
                                        ;       Child Loop BB12_1517 Depth 3
                                        ;       Child Loop BB12_1530 Depth 3
	s_add_co_i32 s10, s33, 0xc0
	s_mov_b64 s[12:13], 0
	s_mov_b32 s40, s10
	s_mov_b32 s41, -1
.LBB12_1517:                            ;   Parent Loop BB12_49 Depth=1
                                        ;     Parent Loop BB12_1516 Depth=2
                                        ; =>    This Inner Loop Header: Depth=3
	s_cmp_eq_u32 s12, 1
	s_cselect_b32 vcc_lo, -1, 0
	s_cmp_eq_u32 s12, 0
	v_dual_cndmask_b32 v5, v13, v11 :: v_dual_cndmask_b32 v4, v12, v10
	s_cselect_b32 s10, -1, 0
	s_and_b32 s11, exec_lo, s41
	s_mov_b64 s[12:13], 1
	s_mov_b32 s41, 0
	flat_load_u16 v1, v[4:5] th:TH_LOAD_NT
	s_wait_xcnt 0x0
	v_add_nc_u64_e32 v[4:5], 64, v[4:5]
	s_delay_alu instid0(VALU_DEP_1)
	v_dual_cndmask_b32 v11, v11, v5 :: v_dual_cndmask_b32 v10, v10, v4
	v_dual_cndmask_b32 v13, v13, v5, s10 :: v_dual_cndmask_b32 v12, v12, v4, s10
	s_add_co_i32 s10, s33, 0xe0
	s_mov_b32 vcc_lo, s11
	s_wait_loadcnt_dscnt 0x0
	scratch_store_b16 off, v1, s40
	s_wait_xcnt 0x0
	s_mov_b32 s40, s10
	s_cbranch_vccnz .LBB12_1517
; %bb.1518:                             ;   in Loop: Header=BB12_1516 Depth=2
	s_and_saveexec_b32 s10, s29
	s_cbranch_execz .LBB12_1528
; %bb.1519:                             ;   in Loop: Header=BB12_1516 Depth=2
	s_trap 2
	scratch_load_u16 v1, off, s33 offset:188
	ds_load_b32 v4, v0
	s_wait_loadcnt_dscnt 0x0
	v_dual_lshlrev_b32 v4, 16, v4 :: v_dual_lshlrev_b32 v1, 16, v1
	s_delay_alu instid0(VALU_DEP_1) | instskip(NEXT) | instid1(VALU_DEP_1)
	v_mul_f32_e32 v1, v4, v1
	v_and_b32_e32 v4, 0x7f800000, v1
	s_delay_alu instid0(VALU_DEP_1) | instskip(SKIP_2) | instid1(SALU_CYCLE_1)
	v_cmp_ne_u32_e32 vcc_lo, 0x7f800000, v4
                                        ; implicit-def: $vgpr4
	s_wait_xcnt 0x0
	s_and_saveexec_b32 s11, vcc_lo
	s_xor_b32 s11, exec_lo, s11
; %bb.1520:                             ;   in Loop: Header=BB12_1516 Depth=2
	v_bfe_u32 v4, v1, 16, 1
	s_delay_alu instid0(VALU_DEP_1)
	v_add3_u32 v4, v1, v4, 0x7fff
                                        ; implicit-def: $vgpr1
; %bb.1521:                             ;   in Loop: Header=BB12_1516 Depth=2
	s_and_not1_saveexec_b32 s11, s11
; %bb.1522:                             ;   in Loop: Header=BB12_1516 Depth=2
	v_and_b32_e32 v4, 0xffff, v1
	v_or_b32_e32 v5, 0x10000, v1
	s_delay_alu instid0(VALU_DEP_2) | instskip(NEXT) | instid1(VALU_DEP_2)
	v_cmp_eq_u32_e32 vcc_lo, 0, v4
	v_cndmask_b32_e32 v4, v5, v1, vcc_lo
; %bb.1523:                             ;   in Loop: Header=BB12_1516 Depth=2
	s_or_b32 exec_lo, exec_lo, s11
	scratch_load_u16 v1, off, s33 offset:190
	v_and_b32_e32 v4, 0xffff0000, v4
	s_wait_loadcnt 0x0
	v_lshlrev_b32_e32 v1, 16, v1
	s_delay_alu instid0(VALU_DEP_1) | instskip(NEXT) | instid1(VALU_DEP_1)
	v_add_f32_e32 v1, v4, v1
	v_and_b32_e32 v4, 0x7f800000, v1
	s_delay_alu instid0(VALU_DEP_1) | instskip(SKIP_2) | instid1(SALU_CYCLE_1)
	v_cmp_ne_u32_e32 vcc_lo, 0x7f800000, v4
                                        ; implicit-def: $vgpr4
	s_wait_xcnt 0x0
	s_and_saveexec_b32 s11, vcc_lo
	s_xor_b32 s11, exec_lo, s11
; %bb.1524:                             ;   in Loop: Header=BB12_1516 Depth=2
	v_bfe_u32 v4, v1, 16, 1
	s_delay_alu instid0(VALU_DEP_1)
	v_add3_u32 v4, v1, v4, 0x7fff
                                        ; implicit-def: $vgpr1
; %bb.1525:                             ;   in Loop: Header=BB12_1516 Depth=2
	s_and_not1_saveexec_b32 s11, s11
; %bb.1526:                             ;   in Loop: Header=BB12_1516 Depth=2
	v_and_b32_e32 v4, 0xffff, v1
	v_or_b32_e32 v5, 0x10000, v1
	s_delay_alu instid0(VALU_DEP_2) | instskip(NEXT) | instid1(VALU_DEP_2)
	v_cmp_eq_u32_e32 vcc_lo, 0, v4
	v_cndmask_b32_e32 v4, v5, v1, vcc_lo
; %bb.1527:                             ;   in Loop: Header=BB12_1516 Depth=2
	s_or_b32 exec_lo, exec_lo, s11
	s_delay_alu instid0(VALU_DEP_1)
	v_lshrrev_b32_e32 v1, 16, v4
	flat_store_b16 v[2:3], v1 th:TH_STORE_NT
	s_wait_xcnt 0x0
	v_add_nc_u64_e32 v[2:3], v[2:3], v[14:15]
	scratch_store_b16 off, v1, s33 offset:188
.LBB12_1528:                            ;   in Loop: Header=BB12_1516 Depth=2
	s_wait_xcnt 0x0
	s_or_b32 exec_lo, exec_lo, s10
	v_sub_nc_u32_e32 v0, v0, v90
	v_add_nc_u64_e32 v[12:13], v[12:13], v[88:89]
	v_add_nc_u64_e32 v[10:11], v[10:11], v[88:89]
	s_delay_alu instid0(VALU_DEP_3)
	v_cmp_lt_i32_e64 s29, 1, v0
	s_and_saveexec_b32 s40, s29
	s_cbranch_execz .LBB12_1531
; %bb.1529:                             ;   in Loop: Header=BB12_1516 Depth=2
	s_add_co_i32 s10, s33, 0xbc
	s_mov_b64 s[12:13], 0
	s_mov_b32 s41, s10
	s_mov_b32 s42, -1
.LBB12_1530:                            ;   Parent Loop BB12_49 Depth=1
                                        ;     Parent Loop BB12_1516 Depth=2
                                        ; =>    This Inner Loop Header: Depth=3
	s_cmp_eq_u32 s12, 1
	s_cselect_b32 vcc_lo, -1, 0
	s_cmp_eq_u32 s12, 0
	v_dual_cndmask_b32 v5, v13, v11 :: v_dual_cndmask_b32 v4, v12, v10
	s_cselect_b32 s10, -1, 0
	s_and_b32 s11, exec_lo, s42
	s_mov_b64 s[12:13], 1
	s_mov_b32 s42, 0
	flat_load_u16 v1, v[4:5] th:TH_LOAD_NT
	s_wait_xcnt 0x0
	v_add_nc_u64_e32 v[4:5], 64, v[4:5]
	s_delay_alu instid0(VALU_DEP_1)
	v_dual_cndmask_b32 v13, v13, v5, s10 :: v_dual_cndmask_b32 v12, v12, v4, s10
	v_dual_cndmask_b32 v11, v11, v5 :: v_dual_cndmask_b32 v10, v10, v4
	s_add_co_i32 s10, s33, 0xbe
	s_mov_b32 vcc_lo, s11
	s_wait_loadcnt_dscnt 0x0
	scratch_store_b16 off, v1, s41
	s_wait_xcnt 0x0
	s_mov_b32 s41, s10
	s_cbranch_vccnz .LBB12_1530
.LBB12_1531:                            ;   in Loop: Header=BB12_1516 Depth=2
	s_or_b32 exec_lo, exec_lo, s40
	s_trap 2
	scratch_load_u16 v1, off, s33 offset:192
	ds_load_b32 v4, v0
	s_wait_loadcnt_dscnt 0x0
	v_dual_lshlrev_b32 v4, 16, v4 :: v_dual_lshlrev_b32 v1, 16, v1
	s_delay_alu instid0(VALU_DEP_1) | instskip(NEXT) | instid1(VALU_DEP_1)
	v_mul_f32_e32 v1, v4, v1
	v_and_b32_e32 v4, 0x7f800000, v1
	s_delay_alu instid0(VALU_DEP_1) | instskip(SKIP_2) | instid1(SALU_CYCLE_1)
	v_cmp_ne_u32_e32 vcc_lo, 0x7f800000, v4
                                        ; implicit-def: $vgpr4
	s_wait_xcnt 0x0
	s_and_saveexec_b32 s10, vcc_lo
	s_xor_b32 s10, exec_lo, s10
; %bb.1532:                             ;   in Loop: Header=BB12_1516 Depth=2
	v_bfe_u32 v4, v1, 16, 1
	s_delay_alu instid0(VALU_DEP_1)
	v_add3_u32 v4, v1, v4, 0x7fff
                                        ; implicit-def: $vgpr1
; %bb.1533:                             ;   in Loop: Header=BB12_1516 Depth=2
	s_and_not1_saveexec_b32 s10, s10
; %bb.1534:                             ;   in Loop: Header=BB12_1516 Depth=2
	v_and_b32_e32 v4, 0xffff, v1
	v_or_b32_e32 v5, 0x10000, v1
	s_delay_alu instid0(VALU_DEP_2) | instskip(NEXT) | instid1(VALU_DEP_2)
	v_cmp_eq_u32_e32 vcc_lo, 0, v4
	v_cndmask_b32_e32 v4, v5, v1, vcc_lo
; %bb.1535:                             ;   in Loop: Header=BB12_1516 Depth=2
	s_or_b32 exec_lo, exec_lo, s10
	scratch_load_u16 v1, off, s33 offset:224
	v_and_b32_e32 v4, 0xffff0000, v4
	s_wait_loadcnt 0x0
	v_lshlrev_b32_e32 v1, 16, v1
	s_delay_alu instid0(VALU_DEP_1) | instskip(NEXT) | instid1(VALU_DEP_1)
	v_add_f32_e32 v4, v4, v1
	v_and_b32_e32 v1, 0x7f800000, v4
	s_delay_alu instid0(VALU_DEP_1) | instskip(SKIP_2) | instid1(SALU_CYCLE_1)
	v_cmp_ne_u32_e32 vcc_lo, 0x7f800000, v1
                                        ; implicit-def: $vgpr1
	s_wait_xcnt 0x0
	s_and_saveexec_b32 s10, vcc_lo
	s_xor_b32 s10, exec_lo, s10
; %bb.1536:                             ;   in Loop: Header=BB12_1516 Depth=2
	v_bfe_u32 v1, v4, 16, 1
	s_delay_alu instid0(VALU_DEP_1)
	v_add3_u32 v1, v4, v1, 0x7fff
                                        ; implicit-def: $vgpr4
; %bb.1537:                             ;   in Loop: Header=BB12_1516 Depth=2
	s_and_not1_saveexec_b32 s10, s10
	s_cbranch_execz .LBB12_1515
; %bb.1538:                             ;   in Loop: Header=BB12_1516 Depth=2
	v_and_b32_e32 v1, 0xffff, v4
	v_or_b32_e32 v5, 0x10000, v4
	s_delay_alu instid0(VALU_DEP_2) | instskip(NEXT) | instid1(VALU_DEP_2)
	v_cmp_eq_u32_e32 vcc_lo, 0, v1
	v_cndmask_b32_e32 v1, v5, v4, vcc_lo
	s_branch .LBB12_1515
.LBB12_1539:                            ;   in Loop: Header=BB12_49 Depth=1
	s_or_b32 exec_lo, exec_lo, s15
	s_delay_alu instid0(SALU_CYCLE_1)
	s_and_b32 exec_lo, exec_lo, s28
	s_cbranch_execz .LBB12_1549
; %bb.1540:                             ;   in Loop: Header=BB12_49 Depth=1
	s_trap 2
	scratch_load_u16 v0, off, s33 offset:188
	s_wait_loadcnt 0x0
	ds_load_b32 v1, v0
	s_wait_dscnt 0x0
	v_dual_lshlrev_b32 v0, 16, v0 :: v_dual_lshlrev_b32 v1, 16, v1
	s_delay_alu instid0(VALU_DEP_1) | instskip(NEXT) | instid1(VALU_DEP_1)
	v_mul_f32_e32 v0, v1, v0
	v_and_b32_e32 v1, 0x7f800000, v0
	s_delay_alu instid0(VALU_DEP_1) | instskip(SKIP_2) | instid1(SALU_CYCLE_1)
	v_cmp_ne_u32_e32 vcc_lo, 0x7f800000, v1
                                        ; implicit-def: $vgpr1
	s_wait_xcnt 0x0
	s_and_saveexec_b32 s10, vcc_lo
	s_xor_b32 s10, exec_lo, s10
; %bb.1541:                             ;   in Loop: Header=BB12_49 Depth=1
	v_bfe_u32 v1, v0, 16, 1
	s_delay_alu instid0(VALU_DEP_1)
	v_add3_u32 v1, v0, v1, 0x7fff
                                        ; implicit-def: $vgpr0
; %bb.1542:                             ;   in Loop: Header=BB12_49 Depth=1
	s_and_not1_saveexec_b32 s10, s10
; %bb.1543:                             ;   in Loop: Header=BB12_49 Depth=1
	v_and_b32_e32 v1, 0xffff, v0
	v_or_b32_e32 v4, 0x10000, v0
	s_delay_alu instid0(VALU_DEP_2) | instskip(NEXT) | instid1(VALU_DEP_2)
	v_cmp_eq_u32_e32 vcc_lo, 0, v1
	v_cndmask_b32_e32 v1, v4, v0, vcc_lo
; %bb.1544:                             ;   in Loop: Header=BB12_49 Depth=1
	s_or_b32 exec_lo, exec_lo, s10
	scratch_load_u16 v0, off, s33 offset:190
	v_and_b32_e32 v1, 0xffff0000, v1
	s_wait_loadcnt 0x0
	v_lshlrev_b32_e32 v0, 16, v0
	s_delay_alu instid0(VALU_DEP_1) | instskip(NEXT) | instid1(VALU_DEP_1)
	v_add_f32_e32 v0, v1, v0
	v_and_b32_e32 v1, 0x7f800000, v0
	s_delay_alu instid0(VALU_DEP_1) | instskip(SKIP_2) | instid1(SALU_CYCLE_1)
	v_cmp_ne_u32_e32 vcc_lo, 0x7f800000, v1
                                        ; implicit-def: $vgpr1
	s_wait_xcnt 0x0
	s_and_saveexec_b32 s10, vcc_lo
	s_xor_b32 s10, exec_lo, s10
; %bb.1545:                             ;   in Loop: Header=BB12_49 Depth=1
	v_bfe_u32 v1, v0, 16, 1
	s_delay_alu instid0(VALU_DEP_1)
	v_add3_u32 v1, v0, v1, 0x7fff
                                        ; implicit-def: $vgpr0
; %bb.1546:                             ;   in Loop: Header=BB12_49 Depth=1
	s_and_not1_saveexec_b32 s10, s10
; %bb.1547:                             ;   in Loop: Header=BB12_49 Depth=1
	v_and_b32_e32 v1, 0xffff, v0
	v_or_b32_e32 v4, 0x10000, v0
	s_delay_alu instid0(VALU_DEP_2) | instskip(NEXT) | instid1(VALU_DEP_2)
	v_cmp_eq_u32_e32 vcc_lo, 0, v1
	v_cndmask_b32_e32 v1, v4, v0, vcc_lo
; %bb.1548:                             ;   in Loop: Header=BB12_49 Depth=1
	s_or_b32 exec_lo, exec_lo, s10
	flat_store_d16_hi_b16 v[2:3], v1 th:TH_STORE_NT
.LBB12_1549:                            ;   in Loop: Header=BB12_49 Depth=1
	s_wait_xcnt 0x0
	s_or_b32 exec_lo, exec_lo, s14
	v_cmp_ne_u32_e64 s10, 0, v103
	s_and_saveexec_b32 s11, s2
	s_cbranch_execz .LBB12_1568
.LBB12_1550:                            ;   in Loop: Header=BB12_49 Depth=1
	s_and_saveexec_b32 s12, s3
	s_delay_alu instid0(SALU_CYCLE_1)
	s_xor_b32 s12, exec_lo, s12
	s_cbranch_execz .LBB12_1565
; %bb.1551:                             ;   in Loop: Header=BB12_49 Depth=1
	s_and_saveexec_b32 s13, s4
	s_cbranch_execz .LBB12_1564
; %bb.1552:                             ;   in Loop: Header=BB12_49 Depth=1
	s_mov_b32 s15, exec_lo
	s_mov_b32 s14, exec_lo
	v_mbcnt_lo_u32_b32 v0, s15, 0
	global_wb scope:SCOPE_DEV
	s_wait_storecnt 0x0
	s_wait_loadcnt_dscnt 0x0
	global_inv scope:SCOPE_DEV
	v_cmpx_eq_u32_e32 0, v0
	s_cbranch_execz .LBB12_1554
; %bb.1553:                             ;   in Loop: Header=BB12_49 Depth=1
	s_bcnt1_i32_b32 s15, s15
	s_delay_alu instid0(SALU_CYCLE_1)
	v_mov_b32_e32 v62, s15
	s_wait_loadcnt 0x0
	ds_add_u64 v0, v[62:63]
	s_trap 2
.LBB12_1554:                            ;   in Loop: Header=BB12_49 Depth=1
	s_or_b32 exec_lo, exec_lo, s14
	s_trap 2
	ds_load_b64 v[0:1], v0
	s_wait_dscnt 0x0
	scratch_load_b64 v[2:3], off, s33 offset:256 th:TH_LOAD_LU ; 8-byte Folded Reload
	s_mov_b32 s14, exec_lo
	s_wait_loadcnt 0x0
	v_add_nc_u64_e32 v[2:3], v[2:3], v[72:73]
	scratch_store_b64 off, v[2:3], s33 offset:256 ; 8-byte Folded Spill
	s_wait_xcnt 0x0
	v_cmpx_lt_u64_e64 v[0:1], v[2:3]
	s_cbranch_execz .LBB12_1563
; %bb.1555:                             ;   in Loop: Header=BB12_49 Depth=1
	s_mov_b32 s15, 0
	s_mov_b32 s40, 0
                                        ; implicit-def: $sgpr28
                                        ; implicit-def: $sgpr29
	s_branch .LBB12_1557
.LBB12_1556:                            ;   in Loop: Header=BB12_1557 Depth=2
	s_wait_xcnt 0x0
	s_or_b32 exec_lo, exec_lo, s42
	s_delay_alu instid0(SALU_CYCLE_1) | instskip(NEXT) | instid1(SALU_CYCLE_1)
	s_and_b32 s41, exec_lo, s43
	s_or_b32 s15, s41, s15
	s_and_not1_b32 s28, s28, exec_lo
	s_and_b32 s41, s29, exec_lo
	s_delay_alu instid0(SALU_CYCLE_1)
	s_or_b32 s28, s28, s41
	s_and_not1_b32 exec_lo, exec_lo, s15
	s_cbranch_execz .LBB12_1561
.LBB12_1557:                            ;   Parent Loop BB12_49 Depth=1
                                        ; =>  This Inner Loop Header: Depth=2
	s_add_co_i32 s40, s40, 1
	s_delay_alu instid0(SALU_CYCLE_1) | instskip(SKIP_1) | instid1(SALU_CYCLE_1)
	s_cmp_lg_u32 s40, 0x2710
	s_cselect_b32 s41, -1, 0
	s_and_b32 vcc_lo, exec_lo, s41
	s_cbranch_vccz .LBB12_1559
; %bb.1558:                             ;   in Loop: Header=BB12_1557 Depth=2
	s_mov_b32 s43, -1
	s_or_b32 s29, s29, exec_lo
	s_and_saveexec_b32 s42, s41
	s_cbranch_execz .LBB12_1556
	s_branch .LBB12_1560
.LBB12_1559:                            ;   in Loop: Header=BB12_1557 Depth=2
	s_trap 2
	ds_load_b64 v[0:1], v0
	s_and_not1_b32 s41, s41, exec_lo
	s_mov_b32 s40, 0
	s_wait_storecnt_dscnt 0x0
	flat_load_b32 v0, v[0:1] scope:SCOPE_SYS
	s_wait_loadcnt_dscnt 0x0
	global_inv scope:SCOPE_SYS
	v_cmp_eq_u32_e32 vcc_lo, 0, v0
	s_and_b32 s42, vcc_lo, exec_lo
	s_delay_alu instid0(SALU_CYCLE_1)
	s_or_b32 s41, s41, s42
	s_mov_b32 s43, -1
	s_or_b32 s29, s29, exec_lo
	s_wait_xcnt 0x0
	s_and_saveexec_b32 s42, s41
	s_cbranch_execz .LBB12_1556
.LBB12_1560:                            ;   in Loop: Header=BB12_1557 Depth=2
	s_sleep 1
	s_trap 2
	ds_load_b64 v[0:1], v0
	s_wait_dscnt 0x0
	scratch_load_b64 v[2:3], off, s33 offset:256 ; 8-byte Folded Reload
	s_and_not1_b32 s29, s29, exec_lo
	s_wait_loadcnt 0x0
	v_cmp_ge_u64_e32 vcc_lo, v[0:1], v[2:3]
	s_or_not1_b32 s43, vcc_lo, exec_lo
	s_branch .LBB12_1556
.LBB12_1561:                            ;   in Loop: Header=BB12_49 Depth=1
	s_or_b32 exec_lo, exec_lo, s15
	s_and_saveexec_b32 s15, s28
	s_delay_alu instid0(SALU_CYCLE_1)
	s_xor_b32 s15, exec_lo, s15
	s_cbranch_execz .LBB12_1563
; %bb.1562:                             ;   in Loop: Header=BB12_49 Depth=1
	ds_store_b32 v0, v101
	s_trap 2
.LBB12_1563:                            ;   in Loop: Header=BB12_49 Depth=1
	s_or_b32 exec_lo, exec_lo, s14
	;;#ASMSTART
	s_wakeup
	;;#ASMEND
.LBB12_1564:                            ;   in Loop: Header=BB12_49 Depth=1
	s_or_b32 exec_lo, exec_lo, s13
.LBB12_1565:                            ;   in Loop: Header=BB12_49 Depth=1
	s_and_not1_saveexec_b32 s12, s12
	s_cbranch_execz .LBB12_1567
; %bb.1566:                             ;   in Loop: Header=BB12_49 Depth=1
	global_wb scope:SCOPE_DEV
	s_wait_storecnt 0x0
	s_wait_loadcnt_dscnt 0x0
	global_inv scope:SCOPE_DEV
	s_barrier_signal -1
	s_barrier_wait -1
.LBB12_1567:                            ;   in Loop: Header=BB12_49 Depth=1
	s_or_b32 exec_lo, exec_lo, s12
.LBB12_1568:                            ;   in Loop: Header=BB12_49 Depth=1
	s_delay_alu instid0(SALU_CYCLE_1) | instskip(SKIP_1) | instid1(VALU_DEP_1)
	s_or_b32 exec_lo, exec_lo, s11
	v_and_b32_e32 v0, 16, v30
	v_cmp_ne_u32_e32 vcc_lo, 0, v0
	s_and_b32 s11, vcc_lo, s10
	s_delay_alu instid0(SALU_CYCLE_1)
	s_and_saveexec_b32 s10, s11
	s_cbranch_execz .LBB12_1570
; %bb.1569:                             ;   in Loop: Header=BB12_49 Depth=1
	global_wb scope:SCOPE_SYS
	s_wait_storecnt 0x0
	s_wait_loadcnt_dscnt 0x0
	global_inv scope:SCOPE_SYS
.LBB12_1570:                            ;   in Loop: Header=BB12_49 Depth=1
	s_or_b32 exec_lo, exec_lo, s10
	v_cmp_ne_u32_e32 vcc_lo, 0, v0
	s_xor_b32 s10, s7, -1
	s_delay_alu instid0(SALU_CYCLE_1) | instskip(NEXT) | instid1(SALU_CYCLE_1)
	s_and_b32 s11, vcc_lo, s10
	s_and_saveexec_b32 s10, s11
	s_cbranch_execz .LBB12_1572
; %bb.1571:                             ;   in Loop: Header=BB12_49 Depth=1
	scratch_load_b64 v[0:1], off, s33 offset:328 ; 8-byte Folded Reload
	global_wb scope:SCOPE_SYS
	s_wait_storecnt 0x0
	s_wait_xcnt 0x0
	s_wait_loadcnt_dscnt 0x0
	flat_store_b32 v[0:1], v101 scope:SCOPE_SYS
.LBB12_1572:                            ;   in Loop: Header=BB12_49 Depth=1
	s_wait_xcnt 0x0
	s_or_b32 exec_lo, exec_lo, s10
	v_and_b32_e32 v0, 48, v30
	s_mov_b32 s10, exec_lo
	s_delay_alu instid0(VALU_DEP_1)
	v_cmpx_ne_u32_e32 0, v0
	s_cbranch_execz .LBB12_1574
; %bb.1573:                             ;   in Loop: Header=BB12_49 Depth=1
	v_mov_b64_e32 v[0:1], v[74:75]
	v_mov_b64_e32 v[2:3], v[76:77]
	s_delay_alu instid0(VALU_DEP_1) | instskip(NEXT) | instid1(VALU_DEP_1)
	v_add_nc_u64_e32 v[2:3], 1, v[2:3]
	v_mov_b64_e32 v[76:77], v[2:3]
	s_delay_alu instid0(VALU_DEP_4)
	v_mov_b64_e32 v[74:75], v[0:1]
	global_wb scope:SCOPE_SYS
	s_wait_storecnt 0x0
	s_wait_loadcnt_dscnt 0x0
	flat_store_b64 v[40:41], v[2:3] scope:SCOPE_SYS
.LBB12_1574:                            ;   in Loop: Header=BB12_49 Depth=1
	s_wait_xcnt 0x0
	s_or_b32 exec_lo, exec_lo, s10
	v_mov_b32_e32 v0, v109
.LBB12_1575:                            ;   in Loop: Header=BB12_49 Depth=1
	s_or_b32 exec_lo, exec_lo, s27
	s_and_saveexec_b32 s11, s26
	s_cbranch_execz .LBB12_48
; %bb.1576:                             ;   in Loop: Header=BB12_49 Depth=1
	s_delay_alu instid0(VALU_DEP_1) | instskip(SKIP_1) | instid1(VALU_DEP_1)
	v_dual_sub_nc_u32 v0, v108, v0 :: v_dual_bitop2_b32 v1, 12, v30 bitop3:0x40
	s_mov_b32 s12, exec_lo
	v_min_i32_e32 v2, v109, v0
	s_delay_alu instid0(VALU_DEP_2)
	v_cmpx_ne_u32_e32 0, v1
	s_cbranch_execz .LBB12_1602
; %bb.1577:                             ;   in Loop: Header=BB12_49 Depth=1
	v_and_b32_e32 v62, 8, v30
	s_wait_dscnt 0x0
	v_add_nc_u64_e32 v[10:11], 1, v[76:77]
	s_mov_b32 s13, exec_lo
	s_delay_alu instid0(VALU_DEP_2) | instskip(NEXT) | instid1(VALU_DEP_1)
	v_add_nc_u64_e32 v[0:1], v[46:47], v[62:63]
	v_cmpx_lt_u64_e64 v[0:1], v[10:11]
	s_cbranch_execz .LBB12_1589
; %bb.1578:                             ;   in Loop: Header=BB12_49 Depth=1
	v_and_b32_e32 v0, 64, v30
	s_mov_b32 s14, 0
	s_mov_b32 s28, 0
                                        ; implicit-def: $sgpr15
                                        ; implicit-def: $sgpr26
                                        ; implicit-def: $sgpr27
	s_delay_alu instid0(VALU_DEP_1)
	v_cmp_eq_u32_e32 vcc_lo, 0, v0
	s_branch .LBB12_1582
.LBB12_1579:                            ;   in Loop: Header=BB12_1582 Depth=2
	s_wait_loadcnt_dscnt 0x0
	v_add_nc_u64_e32 v[4:5], v[46:47], v[62:63]
	s_or_b32 s41, s41, exec_lo
	s_delay_alu instid0(VALU_DEP_1)
	v_cmp_ge_u64_e64 s10, v[4:5], v[10:11]
	s_or_not1_b32 s40, s10, exec_lo
.LBB12_1580:                            ;   in Loop: Header=BB12_1582 Depth=2
	s_or_b32 exec_lo, exec_lo, s43
	s_delay_alu instid0(SALU_CYCLE_1)
	s_and_not1_b32 s10, s27, exec_lo
	s_and_b32 s27, s41, exec_lo
	s_and_not1_b32 s26, s26, exec_lo
	s_and_b32 s40, s40, exec_lo
	s_or_b32 s27, s10, s27
	s_or_b32 s26, s26, s40
.LBB12_1581:                            ;   in Loop: Header=BB12_1582 Depth=2
	s_or_b32 exec_lo, exec_lo, s29
	s_delay_alu instid0(SALU_CYCLE_1) | instskip(NEXT) | instid1(SALU_CYCLE_1)
	s_and_b32 s10, exec_lo, s26
	s_or_b32 s14, s10, s14
	s_and_not1_b32 s10, s15, exec_lo
	s_and_b32 s15, s27, exec_lo
	s_delay_alu instid0(SALU_CYCLE_1)
	s_or_b32 s15, s10, s15
	s_and_not1_b32 exec_lo, exec_lo, s14
	s_cbranch_execz .LBB12_1586
.LBB12_1582:                            ;   Parent Loop BB12_49 Depth=1
                                        ; =>  This Inner Loop Header: Depth=2
	s_sleep 1
	s_wait_loadcnt_dscnt 0x0
	flat_load_b64 v[46:47], v[40:41] scope:SCOPE_SYS
	s_or_b32 s27, s27, exec_lo
	s_or_b32 s26, s26, exec_lo
                                        ; implicit-def: $vgpr0
	s_wait_xcnt 0x0
	s_and_saveexec_b32 s29, vcc_lo
	s_cbranch_execz .LBB12_1581
; %bb.1583:                             ;   in Loop: Header=BB12_1582 Depth=2
	s_cmp_lt_i32 s28, 0x270f
	s_mov_b32 s40, -1
	s_cselect_b32 s42, -1, 0
	s_cmp_gt_i32 s28, 0x270e
	s_cbranch_scc0 .LBB12_1585
; %bb.1584:                             ;   in Loop: Header=BB12_1582 Depth=2
	s_trap 2
	ds_load_b64 v[0:1], v0
	s_and_not1_b32 s28, s42, exec_lo
	s_mov_b32 s41, 0
	s_wait_storecnt 0x0
	s_wait_loadcnt_dscnt 0x0
	flat_load_b32 v0, v[0:1] scope:SCOPE_SYS
	s_wait_loadcnt_dscnt 0x0
	global_inv scope:SCOPE_SYS
	v_cmp_eq_u32_e64 s10, 0, v0
	s_and_b32 s10, s10, exec_lo
	s_delay_alu instid0(SALU_CYCLE_1)
	s_or_b32 s42, s28, s10
	s_mov_b32 s28, 0
	s_and_saveexec_b32 s43, s42
	s_cbranch_execz .LBB12_1580
	s_branch .LBB12_1579
.LBB12_1585:                            ;   in Loop: Header=BB12_1582 Depth=2
	s_add_co_i32 s28, s28, 1
	s_mov_b32 s41, -1
                                        ; implicit-def: $vgpr0
	s_and_saveexec_b32 s43, s42
	s_cbranch_execz .LBB12_1580
	s_branch .LBB12_1579
.LBB12_1586:                            ;   in Loop: Header=BB12_49 Depth=1
	s_or_b32 exec_lo, exec_lo, s14
	s_xor_b32 s10, s15, -1
	s_delay_alu instid0(SALU_CYCLE_1) | instskip(NEXT) | instid1(SALU_CYCLE_1)
	s_and_saveexec_b32 s14, s10
	s_xor_b32 s10, exec_lo, s14
	s_cbranch_execz .LBB12_1588
; %bb.1587:                             ;   in Loop: Header=BB12_49 Depth=1
	v_or_b32_e32 v30, 64, v30
	s_wait_storecnt 0x0
	s_wait_loadcnt_dscnt 0x0
	ds_store_b32 v0, v0
	s_trap 2
.LBB12_1588:                            ;   in Loop: Header=BB12_49 Depth=1
	s_or_b32 exec_lo, exec_lo, s10
.LBB12_1589:                            ;   in Loop: Header=BB12_49 Depth=1
	s_delay_alu instid0(SALU_CYCLE_1) | instskip(SKIP_3) | instid1(VALU_DEP_1)
	s_or_b32 exec_lo, exec_lo, s13
	v_and_b32_e32 v0, 0x108, v30
	s_mov_b32 s10, exec_lo
	;;#ASMSTART
	s_wakeup
	;;#ASMEND
                                        ; implicit-def: $vgpr12_vgpr13
	v_cmpx_ne_u32_e32 0x108, v0
	s_xor_b32 s10, exec_lo, s10
; %bb.1590:                             ;   in Loop: Header=BB12_49 Depth=1
	v_dual_mov_b32 v13, v63 :: v_dual_bitop2_b32 v12, 7, v76 bitop3:0x40
; %bb.1591:                             ;   in Loop: Header=BB12_49 Depth=1
	s_and_not1_saveexec_b32 s10, s10
	s_cbranch_execz .LBB12_1593
; %bb.1592:                             ;   in Loop: Header=BB12_49 Depth=1
	v_dual_mov_b32 v4, v74 :: v_dual_mov_b32 v5, v75
	v_dual_mov_b32 v6, v76 :: v_dual_ashrrev_i32 v3, 31, v2
	s_delay_alu instid0(VALU_DEP_1) | instskip(NEXT) | instid1(VALU_DEP_1)
	v_dual_mov_b32 v13, v63 :: v_dual_bitop2_b32 v12, 7, v6 bitop3:0x40
	v_mad_nc_u64_u32 v[0:1], v12, 24, v[4:5]
	s_delay_alu instid0(VALU_DEP_3)
	v_lshlrev_b64_e32 v[4:5], 1, v[2:3]
	flat_store_b64 v[0:1], v[4:5] offset:8
.LBB12_1593:                            ;   in Loop: Header=BB12_49 Depth=1
	s_wait_xcnt 0x0
	s_or_b32 exec_lo, exec_lo, s10
	v_and_b32_e32 v0, 0x100, v30
	s_mov_b32 s10, -1
	s_mov_b32 s13, exec_lo
                                        ; implicit-def: $vgpr8_vgpr9
	s_delay_alu instid0(VALU_DEP_1)
	v_cmpx_ne_u32_e32 0, v0
	s_cbranch_execz .LBB12_1597
; %bb.1594:                             ;   in Loop: Header=BB12_49 Depth=1
	v_mad_nc_u64_u32 v[14:15], v12, 24, v[74:75]
	s_mov_b32 s14, exec_lo
                                        ; implicit-def: $vgpr8_vgpr9
	s_delay_alu instid0(VALU_DEP_1)
	v_mad_u32 v15, v13, 24, v15
	flat_load_b32 v0, v[14:15]
	s_wait_loadcnt_dscnt 0x0
	v_cmp_ne_u32_e32 vcc_lo, 1, v0
	s_wait_xcnt 0x0
	v_cmpx_eq_u32_e32 1, v0
	s_cbranch_execz .LBB12_1596
; %bb.1595:                             ;   in Loop: Header=BB12_49 Depth=1
	flat_load_b32 v0, v[14:15] offset:4 scope:SCOPE_SYS
	s_wait_loadcnt_dscnt 0x0
	v_ashrrev_i32_e32 v1, 31, v0
	s_delay_alu instid0(VALU_DEP_1)
	v_lshrrev_b64 v[8:9], 1, v[0:1]
.LBB12_1596:                            ;   in Loop: Header=BB12_49 Depth=1
	s_wait_xcnt 0x0
	s_or_b32 exec_lo, exec_lo, s14
	s_delay_alu instid0(SALU_CYCLE_1)
	s_or_not1_b32 s10, vcc_lo, exec_lo
.LBB12_1597:                            ;   in Loop: Header=BB12_49 Depth=1
	s_or_b32 exec_lo, exec_lo, s13
	s_and_saveexec_b32 s13, s10
	s_cbranch_execz .LBB12_1599
; %bb.1598:                             ;   in Loop: Header=BB12_49 Depth=1
	scratch_load_b64 v[0:1], off, s33 offset:312 ; 8-byte Folded Reload
	s_wait_loadcnt 0x0
	v_mul_u64_e32 v[8:9], v[12:13], v[0:1]
.LBB12_1599:                            ;   in Loop: Header=BB12_49 Depth=1
	s_wait_xcnt 0x0
	s_or_b32 exec_lo, exec_lo, s13
	scratch_load_b64 v[0:1], off, s33 offset:304 ; 8-byte Folded Reload
	v_cmp_eq_u32_e32 vcc_lo, 0, v62
	v_and_b32_e32 v4, 0x2000, v30
	s_mov_b32 s10, exec_lo
	v_cndmask_b32_e32 v3, 0xc8, v102, vcc_lo
	s_wait_loadcnt 0x0
	v_lshl_add_u64 v[0:1], v[8:9], 1, v[0:1]
	s_delay_alu instid0(VALU_DEP_1)
	v_add_nc_u32_e32 v3, v0, v3
	ds_store_b64 v3, v[0:1] offset:584
	s_wait_xcnt 0x0
	v_cmpx_ne_u32_e32 0, v4
	s_cbranch_execz .LBB12_1601
; %bb.1600:                             ;   in Loop: Header=BB12_49 Depth=1
	ds_load_b64 v[0:1], v0 offset:872
	s_wait_dscnt 0x0
	v_add_nc_u64_e32 v[0:1], 1, v[0:1]
	ds_store_b64 v0, v[0:1] offset:872
.LBB12_1601:                            ;   in Loop: Header=BB12_49 Depth=1
	s_or_b32 exec_lo, exec_lo, s10
	v_mov_b64_e32 v[76:77], v[10:11]
.LBB12_1602:                            ;   in Loop: Header=BB12_49 Depth=1
	s_or_b32 exec_lo, exec_lo, s12
	s_and_saveexec_b32 s10, s2
	s_cbranch_execz .LBB12_1621
; %bb.1603:                             ;   in Loop: Header=BB12_49 Depth=1
	s_and_saveexec_b32 s12, s3
	s_delay_alu instid0(SALU_CYCLE_1)
	s_xor_b32 s12, exec_lo, s12
	s_cbranch_execz .LBB12_1618
; %bb.1604:                             ;   in Loop: Header=BB12_49 Depth=1
	s_and_saveexec_b32 s13, s4
	s_cbranch_execz .LBB12_1617
; %bb.1605:                             ;   in Loop: Header=BB12_49 Depth=1
	s_mov_b32 s15, exec_lo
	s_mov_b32 s14, exec_lo
	v_mbcnt_lo_u32_b32 v0, s15, 0
	global_wb scope:SCOPE_DEV
	s_wait_storecnt 0x0
	s_wait_loadcnt_dscnt 0x0
	global_inv scope:SCOPE_DEV
	v_cmpx_eq_u32_e32 0, v0
	s_cbranch_execz .LBB12_1607
; %bb.1606:                             ;   in Loop: Header=BB12_49 Depth=1
	s_bcnt1_i32_b32 s15, s15
	s_delay_alu instid0(SALU_CYCLE_1)
	v_mov_b32_e32 v62, s15
	s_wait_loadcnt 0x0
	ds_add_u64 v0, v[62:63]
	s_trap 2
.LBB12_1607:                            ;   in Loop: Header=BB12_49 Depth=1
	s_or_b32 exec_lo, exec_lo, s14
	s_trap 2
	ds_load_b64 v[0:1], v0
	s_wait_dscnt 0x0
	scratch_load_b64 v[4:5], off, s33 offset:256 th:TH_LOAD_LU ; 8-byte Folded Reload
	s_mov_b32 s14, exec_lo
	s_wait_loadcnt 0x0
	v_add_nc_u64_e32 v[4:5], v[4:5], v[72:73]
	scratch_store_b64 off, v[4:5], s33 offset:256 ; 8-byte Folded Spill
	s_wait_xcnt 0x0
	v_cmpx_lt_u64_e64 v[0:1], v[4:5]
	s_cbranch_execz .LBB12_1616
; %bb.1608:                             ;   in Loop: Header=BB12_49 Depth=1
	s_mov_b32 s15, 0
	s_mov_b32 s28, 0
                                        ; implicit-def: $sgpr26
                                        ; implicit-def: $sgpr27
	s_branch .LBB12_1610
.LBB12_1609:                            ;   in Loop: Header=BB12_1610 Depth=2
	s_wait_xcnt 0x0
	s_or_b32 exec_lo, exec_lo, s40
	s_delay_alu instid0(SALU_CYCLE_1) | instskip(NEXT) | instid1(SALU_CYCLE_1)
	s_and_b32 s29, exec_lo, s41
	s_or_b32 s15, s29, s15
	s_and_not1_b32 s26, s26, exec_lo
	s_and_b32 s29, s27, exec_lo
	s_delay_alu instid0(SALU_CYCLE_1)
	s_or_b32 s26, s26, s29
	s_and_not1_b32 exec_lo, exec_lo, s15
	s_cbranch_execz .LBB12_1614
.LBB12_1610:                            ;   Parent Loop BB12_49 Depth=1
                                        ; =>  This Inner Loop Header: Depth=2
	s_add_co_i32 s28, s28, 1
	s_delay_alu instid0(SALU_CYCLE_1) | instskip(SKIP_1) | instid1(SALU_CYCLE_1)
	s_cmp_lg_u32 s28, 0x2710
	s_cselect_b32 s29, -1, 0
	s_and_b32 vcc_lo, exec_lo, s29
	s_cbranch_vccz .LBB12_1612
; %bb.1611:                             ;   in Loop: Header=BB12_1610 Depth=2
	s_mov_b32 s41, -1
	s_or_b32 s27, s27, exec_lo
	s_and_saveexec_b32 s40, s29
	s_cbranch_execz .LBB12_1609
	s_branch .LBB12_1613
.LBB12_1612:                            ;   in Loop: Header=BB12_1610 Depth=2
	s_trap 2
	ds_load_b64 v[0:1], v0
	s_and_not1_b32 s29, s29, exec_lo
	s_mov_b32 s28, 0
	s_wait_storecnt_dscnt 0x0
	flat_load_b32 v0, v[0:1] scope:SCOPE_SYS
	s_wait_loadcnt_dscnt 0x0
	global_inv scope:SCOPE_SYS
	v_cmp_eq_u32_e32 vcc_lo, 0, v0
	s_and_b32 s40, vcc_lo, exec_lo
	s_delay_alu instid0(SALU_CYCLE_1)
	s_or_b32 s29, s29, s40
	s_mov_b32 s41, -1
	s_or_b32 s27, s27, exec_lo
	s_wait_xcnt 0x0
	s_and_saveexec_b32 s40, s29
	s_cbranch_execz .LBB12_1609
.LBB12_1613:                            ;   in Loop: Header=BB12_1610 Depth=2
	s_sleep 1
	s_trap 2
	ds_load_b64 v[0:1], v0
	s_wait_dscnt 0x0
	scratch_load_b64 v[4:5], off, s33 offset:256 ; 8-byte Folded Reload
	s_and_not1_b32 s27, s27, exec_lo
	s_wait_loadcnt 0x0
	v_cmp_ge_u64_e32 vcc_lo, v[0:1], v[4:5]
	s_or_not1_b32 s41, vcc_lo, exec_lo
	s_branch .LBB12_1609
.LBB12_1614:                            ;   in Loop: Header=BB12_49 Depth=1
	s_or_b32 exec_lo, exec_lo, s15
	s_and_saveexec_b32 s15, s26
	s_delay_alu instid0(SALU_CYCLE_1)
	s_xor_b32 s15, exec_lo, s15
	s_cbranch_execz .LBB12_1616
; %bb.1615:                             ;   in Loop: Header=BB12_49 Depth=1
	ds_store_b32 v0, v101
	s_trap 2
.LBB12_1616:                            ;   in Loop: Header=BB12_49 Depth=1
	s_or_b32 exec_lo, exec_lo, s14
	;;#ASMSTART
	s_wakeup
	;;#ASMEND
.LBB12_1617:                            ;   in Loop: Header=BB12_49 Depth=1
	s_or_b32 exec_lo, exec_lo, s13
.LBB12_1618:                            ;   in Loop: Header=BB12_49 Depth=1
	s_and_not1_saveexec_b32 s12, s12
	s_cbranch_execz .LBB12_1620
; %bb.1619:                             ;   in Loop: Header=BB12_49 Depth=1
	global_wb scope:SCOPE_DEV
	s_wait_storecnt 0x0
	s_wait_loadcnt_dscnt 0x0
	global_inv scope:SCOPE_DEV
	s_barrier_signal -1
	s_barrier_wait -1
.LBB12_1620:                            ;   in Loop: Header=BB12_49 Depth=1
	s_or_b32 exec_lo, exec_lo, s12
.LBB12_1621:                            ;   in Loop: Header=BB12_49 Depth=1
	s_delay_alu instid0(SALU_CYCLE_1)
	s_or_b32 exec_lo, exec_lo, s10
	s_trap 2
	ds_load_b32 v0, v0
	v_cmp_lt_i32_e32 vcc_lo, 0, v2
	s_wait_dscnt 0x0
	v_readfirstlane_b32 s10, v0
	v_and_b32_e32 v0, 16, v30
	s_cmp_eq_u32 s10, 0
	s_delay_alu instid0(VALU_DEP_1) | instskip(SKIP_1) | instid1(SALU_CYCLE_1)
	v_cmp_ne_u32_e64 s10, 0, v0
	s_cselect_b32 s12, -1, 0
	s_and_b32 s12, vcc_lo, s12
	s_delay_alu instid0(SALU_CYCLE_1) | instskip(NEXT) | instid1(SALU_CYCLE_1)
	s_and_b32 s12, s10, s12
	s_and_saveexec_b32 s10, s12
	s_cbranch_execz .LBB12_1623
; %bb.1622:                             ;   in Loop: Header=BB12_49 Depth=1
	global_wb scope:SCOPE_SYS
	s_wait_loadcnt 0x0
	s_wait_storecnt 0x0
	global_inv scope:SCOPE_SYS
.LBB12_1623:                            ;   in Loop: Header=BB12_49 Depth=1
	s_or_b32 exec_lo, exec_lo, s10
	v_cmp_ne_u32_e32 vcc_lo, 0, v0
	s_xor_b32 s10, s7, -1
	s_delay_alu instid0(SALU_CYCLE_1) | instskip(NEXT) | instid1(SALU_CYCLE_1)
	s_and_b32 s12, vcc_lo, s10
	s_and_saveexec_b32 s10, s12
	s_cbranch_execz .LBB12_1625
; %bb.1624:                             ;   in Loop: Header=BB12_49 Depth=1
	scratch_load_b64 v[0:1], off, s33 offset:328 ; 8-byte Folded Reload
	global_wb scope:SCOPE_SYS
	s_wait_loadcnt 0x0
	s_wait_storecnt 0x0
	s_wait_xcnt 0x0
	flat_store_b32 v[0:1], v101 scope:SCOPE_SYS
.LBB12_1625:                            ;   in Loop: Header=BB12_49 Depth=1
	s_wait_xcnt 0x0
	s_or_b32 exec_lo, exec_lo, s10
	v_and_b32_e32 v0, 48, v30
	s_mov_b32 s10, exec_lo
	s_delay_alu instid0(VALU_DEP_1)
	v_cmpx_ne_u32_e32 0, v0
	s_cbranch_execz .LBB12_47
; %bb.1626:                             ;   in Loop: Header=BB12_49 Depth=1
	v_mov_b64_e32 v[0:1], v[74:75]
	v_mov_b64_e32 v[2:3], v[76:77]
	s_delay_alu instid0(VALU_DEP_1) | instskip(NEXT) | instid1(VALU_DEP_1)
	v_add_nc_u64_e32 v[2:3], 1, v[2:3]
	v_mov_b64_e32 v[76:77], v[2:3]
	s_delay_alu instid0(VALU_DEP_4)
	v_mov_b64_e32 v[74:75], v[0:1]
	global_wb scope:SCOPE_SYS
	s_wait_storecnt 0x0
	s_wait_loadcnt_dscnt 0x0
	flat_store_b64 v[40:41], v[2:3] scope:SCOPE_SYS
	s_branch .LBB12_47
.LBB12_1627:
	s_or_b32 exec_lo, exec_lo, s22
	s_clause 0x3
	scratch_load_b32 v1, off, s33 offset:408
	scratch_load_b32 v31, off, s33 offset:412
	scratch_load_b64 v[26:27], off, s33 offset:416
	scratch_load_b32 v8, off, s33 offset:424
.LBB12_1628:
	s_wait_xcnt 0x0
	s_or_b32 exec_lo, exec_lo, s20
                                        ; implicit-def: $vgpr2_vgpr3
                                        ; implicit-def: $vgpr0
                                        ; kill: killed $vgpr2_vgpr3
                                        ; implicit-def: $vgpr24_vgpr25
	s_wait_loadcnt 0x3
	scratch_store_b64 off, v[0:1], s33 offset:312 ; 8-byte Folded Spill
                                        ; implicit-def: $vgpr46_vgpr47
                                        ; implicit-def: $vgpr2_vgpr3
                                        ; kill: killed $vgpr2_vgpr3
                                        ; implicit-def: $vgpr40_vgpr41
                                        ; implicit-def: $vgpr100
                                        ; implicit-def: $vgpr0
                                        ; implicit-def: $vgpr6_vgpr7
.LBB12_1629:
	s_wait_xcnt 0x0
	s_and_not1_saveexec_b32 s14, s19
	s_cbranch_execz .LBB12_3202
; %bb.1630:
	v_mov_b64_e32 v[2:3], 0
	s_mov_b32 s15, exec_lo
	scratch_store_b64 off, v[2:3], s33 offset:256 ; 8-byte Folded Spill
	s_wait_xcnt 0x0
	v_cmpx_ne_u64_e32 0, v[24:25]
	s_cbranch_execz .LBB12_3201
; %bb.1631:
	scratch_load_b64 v[2:3], off, s33 offset:312 ; 8-byte Folded Reload
	v_dual_mov_b32 v61, 0 :: v_dual_bitop2_b32 v56, 31, v100 bitop3:0x40
	v_lshrrev_b32_e32 v62, 5, v1
	s_wait_dscnt 0x0
	v_mov_b64_e32 v[72:73], v[74:75]
	v_mov_b64_e32 v[74:75], v[76:77]
	v_mov_b32_e32 v63, v61
	v_cmp_le_u32_e64 s5, v56, v0
	v_dual_lshlrev_b32 v57, 9, v62 :: v_dual_lshlrev_b32 v59, 6, v62
	v_lshl_add_u32 v108, v62, 11, 0xfffff800
	v_lshl_add_u32 v78, v62, 10, 0xfffffc00
	v_lshrrev_b32_e32 v88, 5, v100
	s_delay_alu instid0(VALU_DEP_4)
	v_dual_mov_b32 v111, v61 :: v_dual_add_nc_u32 v94, 0xfffffe00, v57
	v_subrev_nc_u32_e32 v76, 64, v59
	v_lshlrev_b32_e32 v0, 4, v56
	s_lshr_b32 s2, s17, 27
	v_ashrrev_i32_e32 v109, 31, v108
	s_add_co_i32 s2, s17, s2
	v_dual_ashrrev_i32 v79, 31, v78 :: v_dual_ashrrev_i32 v77, 31, v76
	s_wait_loadcnt 0x2
	s_clause 0x1
	scratch_store_b64 off, v[26:27], s33 offset:416
	scratch_store_b32 off, v1, s33 offset:408
	v_cmp_ge_u32_e64 s1, v100, v1
	s_ashr_i32 s19, s2, 5
	v_cmp_eq_u32_e32 vcc_lo, 32, v1
	v_cmp_ne_u32_e64 s2, 32, v1
	s_wait_loadcnt 0x1
	v_cmp_ne_u32_e64 s3, v1, v8
	v_ashrrev_i32_e32 v95, 31, v94
	v_lshl_or_b32 v110, v88, 11, v0
	s_wait_xcnt 0x0
	v_mov_b64_e32 v[0:1], 0
	v_add_nc_u64_e32 v[90:91], 0x800, v[108:109]
	v_add_nc_u64_e32 v[92:93], 0x400, v[78:79]
	;; [unrolled: 1-line block ×3, first 2 shown]
	v_mov_b64_e32 v[104:105], 0
	v_cmp_eq_u32_e64 s6, 0, v56
	s_mov_b32 s20, 0
	s_add_co_i32 s21, s33, 0xf0
	s_add_co_i32 s22, s33, 0xd0
	s_xor_b32 s23, vcc_lo, -1
	s_clause 0x1
	scratch_store_b32 off, v31, s33 offset:412
	scratch_store_b64 off, v[0:1], s33 offset:256
	s_wait_loadcnt 0x0
	v_ashrrev_i32_e32 v3, 31, v2
	s_clause 0x1
	scratch_store_b64 off, v[2:3], s33 offset:312
	scratch_store_b32 off, v8, s33 offset:424
	s_wait_xcnt 0x1
	v_and_b32_e32 v2, 31, v31
	s_trap 2
	s_clause 0x6
	scratch_store_b32 off, v100, s33 offset:344
	scratch_store_b128 off, v[24:27], s33 offset:280
	scratch_store_b64 off, v[6:7], s33 offset:296
	scratch_store_b32 off, v56, s33 offset:364
	scratch_store_b32 off, v88, s33 offset:368
	scratch_store_b64 off, v[94:95], s33 offset:376
	scratch_store_b64 off, v[110:111], s33 offset:384
	v_cmp_eq_u32_e64 s4, 0, v2
	s_branch .LBB12_1634
.LBB12_1632:                            ;   in Loop: Header=BB12_1634 Depth=1
	s_wait_xcnt 0x0
	s_or_b32 exec_lo, exec_lo, s7
.LBB12_1633:                            ;   in Loop: Header=BB12_1634 Depth=1
	s_delay_alu instid0(SALU_CYCLE_1)
	s_or_b32 exec_lo, exec_lo, s10
	s_clause 0x1
	scratch_load_b64 v[6:7], off, s33 offset:296
	scratch_load_b128 v[24:27], off, s33 offset:280
	s_wait_loadcnt 0x1
	v_add_nc_u64_e32 v[104:105], v[104:105], v[6:7]
	s_wait_loadcnt 0x0
	s_delay_alu instid0(VALU_DEP_1)
	v_cmp_ge_u64_e32 vcc_lo, v[104:105], v[24:25]
	s_or_b32 s20, vcc_lo, s20
	s_wait_xcnt 0x0
	s_and_not1_b32 exec_lo, exec_lo, s20
	s_cbranch_execz .LBB12_3200
.LBB12_1634:                            ; =>This Loop Header: Depth=1
                                        ;     Child Loop BB12_1643 Depth 2
                                        ;     Child Loop BB12_1667 Depth 2
	;; [unrolled: 1-line block ×5, first 2 shown]
                                        ;       Child Loop BB12_2492 Depth 3
                                        ;       Child Loop BB12_2561 Depth 3
                                        ;     Child Loop BB12_2702 Depth 2
                                        ;     Child Loop BB12_3097 Depth 2
                                        ;       Child Loop BB12_3098 Depth 3
                                        ;       Child Loop BB12_3111 Depth 3
                                        ;     Child Loop BB12_3138 Depth 2
                                        ;     Child Loop BB12_3161 Depth 2
	;; [unrolled: 1-line block ×3, first 2 shown]
	v_sub_nc_u64_e32 v[0:1], v[24:25], v[104:105]
	s_delay_alu instid0(VALU_DEP_1) | instskip(NEXT) | instid1(VALU_DEP_1)
	v_min_u64 v[106:107], v[6:7], v[0:1]
	v_add_nc_u32_e32 v0, 15, v106
	s_delay_alu instid0(VALU_DEP_2) | instskip(NEXT) | instid1(VALU_DEP_2)
	v_cmp_eq_u64_e32 vcc_lo, 0, v[106:107]
	v_and_b32_e32 v0, 0x3ffffff0, v0
	s_or_b32 s24, s1, vcc_lo
	s_delay_alu instid0(SALU_CYCLE_1) | instskip(NEXT) | instid1(VALU_DEP_1)
	s_xor_b32 s7, s24, -1
	v_dual_mov_b32 v0, 0 :: v_dual_max_i32 v107, s19, v0
	s_wait_xcnt 0x0
	s_and_saveexec_b32 s25, s7
	s_cbranch_execz .LBB12_3154
; %bb.1635:                             ;   in Loop: Header=BB12_1634 Depth=1
	s_and_saveexec_b32 s7, s0
	s_cbranch_execz .LBB12_1637
; %bb.1636:                             ;   in Loop: Header=BB12_1634 Depth=1
	s_trap 2
	ds_load_b64 v[4:5], v0
	ds_load_2addr_b64 v[0:3], v0 offset1:1
	scratch_load_b64 v[6:7], off, s33 offset:320 ; 8-byte Folded Reload
	s_wait_dscnt 0x1
	v_cmp_ne_u64_e32 vcc_lo, 0, v[4:5]
	s_wait_loadcnt 0x0
	v_add_nc_u64_e32 v[6:7], v[104:105], v[6:7]
	s_delay_alu instid0(VALU_DEP_1) | instskip(NEXT) | instid1(VALU_DEP_1)
	v_lshlrev_b64_e32 v[6:7], 1, v[6:7]
	v_add_nc_u64_e32 v[8:9], v[4:5], v[6:7]
	s_wait_dscnt 0x0
	v_add_nc_u64_e32 v[0:1], v[0:1], v[6:7]
	v_add_nc_u64_e32 v[2:3], v[2:3], v[6:7]
	s_delay_alu instid0(VALU_DEP_3)
	v_dual_cndmask_b32 v5, 0, v9 :: v_dual_cndmask_b32 v4, 0, v8
	ds_store_b64 v0, v[0:1]
	ds_store_b64 v0, v[2:3]
	;; [unrolled: 1-line block ×3, first 2 shown]
.LBB12_1637:                            ;   in Loop: Header=BB12_1634 Depth=1
	s_wait_xcnt 0x0
	s_or_b32 exec_lo, exec_lo, s7
	v_and_b32_e32 v0, 4, v30
	s_mov_b32 s10, exec_lo
	s_delay_alu instid0(VALU_DEP_1)
	v_cmpx_ne_u32_e32 0, v0
	s_cbranch_execz .LBB12_1659
; %bb.1638:                             ;   in Loop: Header=BB12_1634 Depth=1
	v_add_nc_u64_e32 v[2:3], 1, v[74:75]
	s_mov_b32 s11, exec_lo
	s_delay_alu instid0(VALU_DEP_1)
	v_cmpx_lt_u64_e64 v[46:47], v[2:3]
	s_cbranch_execz .LBB12_1650
; %bb.1639:                             ;   in Loop: Header=BB12_1634 Depth=1
	v_and_b32_e32 v0, 64, v30
	s_mov_b32 s12, 0
	s_mov_b32 s28, 0
                                        ; implicit-def: $sgpr13
                                        ; implicit-def: $sgpr26
                                        ; implicit-def: $sgpr27
	s_delay_alu instid0(VALU_DEP_1)
	v_cmp_eq_u32_e32 vcc_lo, 0, v0
	s_branch .LBB12_1643
.LBB12_1640:                            ;   in Loop: Header=BB12_1643 Depth=2
	s_wait_loadcnt_dscnt 0x0
	v_cmp_ge_u64_e64 s7, v[46:47], v[2:3]
	s_or_b32 s41, s41, exec_lo
	s_or_not1_b32 s40, s7, exec_lo
.LBB12_1641:                            ;   in Loop: Header=BB12_1643 Depth=2
	s_or_b32 exec_lo, exec_lo, s43
	s_delay_alu instid0(SALU_CYCLE_1)
	s_and_not1_b32 s7, s27, exec_lo
	s_and_b32 s27, s41, exec_lo
	s_and_not1_b32 s26, s26, exec_lo
	s_and_b32 s40, s40, exec_lo
	s_or_b32 s27, s7, s27
	s_or_b32 s26, s26, s40
.LBB12_1642:                            ;   in Loop: Header=BB12_1643 Depth=2
	s_or_b32 exec_lo, exec_lo, s29
	s_delay_alu instid0(SALU_CYCLE_1) | instskip(NEXT) | instid1(SALU_CYCLE_1)
	s_and_b32 s7, exec_lo, s26
	s_or_b32 s12, s7, s12
	s_and_not1_b32 s7, s13, exec_lo
	s_and_b32 s13, s27, exec_lo
	s_delay_alu instid0(SALU_CYCLE_1)
	s_or_b32 s13, s7, s13
	s_and_not1_b32 exec_lo, exec_lo, s12
	s_cbranch_execz .LBB12_1647
.LBB12_1643:                            ;   Parent Loop BB12_1634 Depth=1
                                        ; =>  This Inner Loop Header: Depth=2
	s_sleep 1
	s_wait_loadcnt_dscnt 0x0
	flat_load_b64 v[46:47], v[40:41] scope:SCOPE_SYS
	s_or_b32 s27, s27, exec_lo
	s_or_b32 s26, s26, exec_lo
                                        ; implicit-def: $vgpr0
	s_wait_xcnt 0x0
	s_and_saveexec_b32 s29, vcc_lo
	s_cbranch_execz .LBB12_1642
; %bb.1644:                             ;   in Loop: Header=BB12_1643 Depth=2
	s_cmp_lt_i32 s28, 0x270f
	s_mov_b32 s40, -1
	s_cselect_b32 s42, -1, 0
	s_cmp_gt_i32 s28, 0x270e
	s_cbranch_scc0 .LBB12_1646
; %bb.1645:                             ;   in Loop: Header=BB12_1643 Depth=2
	s_trap 2
	ds_load_b64 v[0:1], v0
	s_and_not1_b32 s28, s42, exec_lo
	s_mov_b32 s41, 0
	s_wait_storecnt 0x0
	s_wait_loadcnt_dscnt 0x0
	flat_load_b32 v0, v[0:1] scope:SCOPE_SYS
	s_wait_loadcnt_dscnt 0x0
	global_inv scope:SCOPE_SYS
	v_cmp_eq_u32_e64 s7, 0, v0
	s_and_b32 s7, s7, exec_lo
	s_delay_alu instid0(SALU_CYCLE_1)
	s_or_b32 s42, s28, s7
	s_mov_b32 s28, 0
	s_wait_xcnt 0x0
	s_and_saveexec_b32 s43, s42
	s_cbranch_execz .LBB12_1641
	s_branch .LBB12_1640
.LBB12_1646:                            ;   in Loop: Header=BB12_1643 Depth=2
	s_add_co_i32 s28, s28, 1
	s_mov_b32 s41, -1
                                        ; implicit-def: $vgpr0
	s_and_saveexec_b32 s43, s42
	s_cbranch_execz .LBB12_1641
	s_branch .LBB12_1640
.LBB12_1647:                            ;   in Loop: Header=BB12_1634 Depth=1
	s_or_b32 exec_lo, exec_lo, s12
	s_xor_b32 s7, s13, -1
	s_delay_alu instid0(SALU_CYCLE_1) | instskip(NEXT) | instid1(SALU_CYCLE_1)
	s_and_saveexec_b32 s12, s7
	s_xor_b32 s7, exec_lo, s12
	s_cbranch_execz .LBB12_1649
; %bb.1648:                             ;   in Loop: Header=BB12_1634 Depth=1
	v_or_b32_e32 v30, 64, v30
	s_wait_storecnt 0x0
	s_wait_loadcnt_dscnt 0x0
	ds_store_b32 v0, v0
	s_trap 2
.LBB12_1649:                            ;   in Loop: Header=BB12_1634 Depth=1
	s_or_b32 exec_lo, exec_lo, s7
.LBB12_1650:                            ;   in Loop: Header=BB12_1634 Depth=1
	s_delay_alu instid0(SALU_CYCLE_1)
	s_or_b32 exec_lo, exec_lo, s11
	v_and_b32_e32 v0, 0x100, v30
	v_and_b32_e32 v60, 7, v74
	s_mov_b32 s7, -1
	s_mov_b32 s11, exec_lo
	;;#ASMSTART
	s_wakeup
	;;#ASMEND
                                        ; implicit-def: $vgpr8_vgpr9
	v_cmpx_ne_u32_e32 0, v0
	s_cbranch_execz .LBB12_1654
; %bb.1651:                             ;   in Loop: Header=BB12_1634 Depth=1
	v_mad_nc_u64_u32 v[10:11], v60, 24, v[72:73]
	s_mov_b32 s12, exec_lo
                                        ; implicit-def: $vgpr8_vgpr9
	flat_load_b32 v0, v[10:11]
	s_wait_loadcnt_dscnt 0x0
	v_cmp_ne_u32_e32 vcc_lo, 1, v0
	s_wait_xcnt 0x0
	v_cmpx_eq_u32_e32 1, v0
	s_cbranch_execz .LBB12_1653
; %bb.1652:                             ;   in Loop: Header=BB12_1634 Depth=1
	flat_load_b32 v0, v[10:11] offset:4 scope:SCOPE_SYS
	s_wait_loadcnt_dscnt 0x0
	v_ashrrev_i32_e32 v1, 31, v0
	s_delay_alu instid0(VALU_DEP_1)
	v_lshrrev_b64 v[8:9], 1, v[0:1]
.LBB12_1653:                            ;   in Loop: Header=BB12_1634 Depth=1
	s_wait_xcnt 0x0
	s_or_b32 exec_lo, exec_lo, s12
	s_delay_alu instid0(SALU_CYCLE_1)
	s_or_not1_b32 s7, vcc_lo, exec_lo
.LBB12_1654:                            ;   in Loop: Header=BB12_1634 Depth=1
	s_or_b32 exec_lo, exec_lo, s11
	s_and_saveexec_b32 s11, s7
	s_cbranch_execz .LBB12_1656
; %bb.1655:                             ;   in Loop: Header=BB12_1634 Depth=1
	scratch_load_b64 v[0:1], off, s33 offset:312 ; 8-byte Folded Reload
	s_wait_loadcnt 0x0
	v_mul_u64_e32 v[8:9], v[60:61], v[0:1]
.LBB12_1656:                            ;   in Loop: Header=BB12_1634 Depth=1
	s_wait_xcnt 0x0
	s_or_b32 exec_lo, exec_lo, s11
	scratch_load_b64 v[0:1], off, s33 offset:304 ; 8-byte Folded Reload
	v_and_b32_e32 v4, 0x2000, v30
	s_mov_b32 s7, exec_lo
	s_wait_loadcnt 0x0
	v_lshl_add_u64 v[0:1], v[8:9], 1, v[0:1]
	ds_store_b64 v0, v[0:1] offset:728
	s_wait_xcnt 0x0
	v_cmpx_ne_u32_e32 0, v4
	s_cbranch_execz .LBB12_1658
; %bb.1657:                             ;   in Loop: Header=BB12_1634 Depth=1
	ds_load_b64 v[0:1], v0 offset:872
	s_wait_dscnt 0x0
	v_add_nc_u64_e32 v[0:1], 1, v[0:1]
	ds_store_b64 v0, v[0:1] offset:872
.LBB12_1658:                            ;   in Loop: Header=BB12_1634 Depth=1
	s_or_b32 exec_lo, exec_lo, s7
	v_mov_b64_e32 v[74:75], v[2:3]
.LBB12_1659:                            ;   in Loop: Header=BB12_1634 Depth=1
	s_or_b32 exec_lo, exec_lo, s10
	s_and_saveexec_b32 s7, s2
	s_cbranch_execz .LBB12_1678
; %bb.1660:                             ;   in Loop: Header=BB12_1634 Depth=1
	s_and_saveexec_b32 s10, s3
	s_delay_alu instid0(SALU_CYCLE_1)
	s_xor_b32 s10, exec_lo, s10
	s_cbranch_execz .LBB12_1675
; %bb.1661:                             ;   in Loop: Header=BB12_1634 Depth=1
	s_and_saveexec_b32 s11, s4
	s_cbranch_execz .LBB12_1674
; %bb.1662:                             ;   in Loop: Header=BB12_1634 Depth=1
	s_mov_b32 s13, exec_lo
	s_mov_b32 s12, exec_lo
	v_mbcnt_lo_u32_b32 v0, s13, 0
	global_wb scope:SCOPE_DEV
	s_wait_storecnt_dscnt 0x0
	global_inv scope:SCOPE_DEV
	v_cmpx_eq_u32_e32 0, v0
	s_cbranch_execz .LBB12_1664
; %bb.1663:                             ;   in Loop: Header=BB12_1634 Depth=1
	s_bcnt1_i32_b32 s13, s13
	s_delay_alu instid0(SALU_CYCLE_1)
	v_mov_b32_e32 v60, s13
	s_wait_loadcnt 0x0
	ds_add_u64 v0, v[60:61]
	s_trap 2
.LBB12_1664:                            ;   in Loop: Header=BB12_1634 Depth=1
	s_or_b32 exec_lo, exec_lo, s12
	s_trap 2
	ds_load_b64 v[0:1], v0
	s_wait_dscnt 0x0
	scratch_load_b64 v[2:3], off, s33 offset:256 th:TH_LOAD_LU ; 8-byte Folded Reload
	s_mov_b32 s12, exec_lo
	s_wait_loadcnt 0x0
	v_add_nc_u64_e32 v[2:3], v[2:3], v[62:63]
	scratch_store_b64 off, v[2:3], s33 offset:256 ; 8-byte Folded Spill
	s_wait_xcnt 0x0
	v_cmpx_lt_u64_e64 v[0:1], v[2:3]
	s_cbranch_execz .LBB12_1673
; %bb.1665:                             ;   in Loop: Header=BB12_1634 Depth=1
	s_mov_b32 s13, 0
	s_mov_b32 s28, 0
                                        ; implicit-def: $sgpr26
                                        ; implicit-def: $sgpr27
	s_branch .LBB12_1667
.LBB12_1666:                            ;   in Loop: Header=BB12_1667 Depth=2
	s_wait_xcnt 0x0
	s_or_b32 exec_lo, exec_lo, s40
	s_delay_alu instid0(SALU_CYCLE_1) | instskip(NEXT) | instid1(SALU_CYCLE_1)
	s_and_b32 s29, exec_lo, s41
	s_or_b32 s13, s29, s13
	s_and_not1_b32 s26, s26, exec_lo
	s_and_b32 s29, s27, exec_lo
	s_delay_alu instid0(SALU_CYCLE_1)
	s_or_b32 s26, s26, s29
	s_and_not1_b32 exec_lo, exec_lo, s13
	s_cbranch_execz .LBB12_1671
.LBB12_1667:                            ;   Parent Loop BB12_1634 Depth=1
                                        ; =>  This Inner Loop Header: Depth=2
	s_add_co_i32 s28, s28, 1
	s_delay_alu instid0(SALU_CYCLE_1) | instskip(SKIP_1) | instid1(SALU_CYCLE_1)
	s_cmp_lg_u32 s28, 0x2710
	s_cselect_b32 s29, -1, 0
	s_and_b32 vcc_lo, exec_lo, s29
	s_cbranch_vccz .LBB12_1669
; %bb.1668:                             ;   in Loop: Header=BB12_1667 Depth=2
	s_mov_b32 s41, -1
	s_or_b32 s27, s27, exec_lo
	s_and_saveexec_b32 s40, s29
	s_cbranch_execz .LBB12_1666
	s_branch .LBB12_1670
.LBB12_1669:                            ;   in Loop: Header=BB12_1667 Depth=2
	s_trap 2
	ds_load_b64 v[0:1], v0
	s_and_not1_b32 s29, s29, exec_lo
	s_mov_b32 s28, 0
	s_wait_storecnt_dscnt 0x0
	flat_load_b32 v0, v[0:1] scope:SCOPE_SYS
	s_wait_loadcnt_dscnt 0x0
	global_inv scope:SCOPE_SYS
	v_cmp_eq_u32_e32 vcc_lo, 0, v0
	s_and_b32 s40, vcc_lo, exec_lo
	s_delay_alu instid0(SALU_CYCLE_1)
	s_or_b32 s29, s29, s40
	s_mov_b32 s41, -1
	s_or_b32 s27, s27, exec_lo
	s_wait_xcnt 0x0
	s_and_saveexec_b32 s40, s29
	s_cbranch_execz .LBB12_1666
.LBB12_1670:                            ;   in Loop: Header=BB12_1667 Depth=2
	s_sleep 1
	s_trap 2
	ds_load_b64 v[0:1], v0
	s_wait_dscnt 0x0
	scratch_load_b64 v[2:3], off, s33 offset:256 ; 8-byte Folded Reload
	s_and_not1_b32 s27, s27, exec_lo
	s_wait_loadcnt 0x0
	v_cmp_ge_u64_e32 vcc_lo, v[0:1], v[2:3]
	s_or_not1_b32 s41, vcc_lo, exec_lo
	s_branch .LBB12_1666
.LBB12_1671:                            ;   in Loop: Header=BB12_1634 Depth=1
	s_or_b32 exec_lo, exec_lo, s13
	s_and_saveexec_b32 s13, s26
	s_delay_alu instid0(SALU_CYCLE_1)
	s_xor_b32 s13, exec_lo, s13
	s_cbranch_execz .LBB12_1673
; %bb.1672:                             ;   in Loop: Header=BB12_1634 Depth=1
	v_mov_b32_e32 v0, 1
	ds_store_b32 v0, v0
	s_trap 2
.LBB12_1673:                            ;   in Loop: Header=BB12_1634 Depth=1
	s_or_b32 exec_lo, exec_lo, s12
	;;#ASMSTART
	s_wakeup
	;;#ASMEND
.LBB12_1674:                            ;   in Loop: Header=BB12_1634 Depth=1
	s_or_b32 exec_lo, exec_lo, s11
.LBB12_1675:                            ;   in Loop: Header=BB12_1634 Depth=1
	s_and_not1_saveexec_b32 s10, s10
	s_cbranch_execz .LBB12_1677
; %bb.1676:                             ;   in Loop: Header=BB12_1634 Depth=1
	global_wb scope:SCOPE_DEV
	s_wait_storecnt 0x0
	s_wait_loadcnt_dscnt 0x0
	global_inv scope:SCOPE_DEV
	s_barrier_signal -1
	s_barrier_wait -1
.LBB12_1677:                            ;   in Loop: Header=BB12_1634 Depth=1
	s_or_b32 exec_lo, exec_lo, s10
.LBB12_1678:                            ;   in Loop: Header=BB12_1634 Depth=1
	s_delay_alu instid0(SALU_CYCLE_1) | instskip(SKIP_3) | instid1(VALU_DEP_1)
	s_or_b32 exec_lo, exec_lo, s7
	s_trap 2
	ds_load_b32 v0, v0
	v_and_b32_e32 v1, 0x4000, v30
	v_cmp_ne_u32_e32 vcc_lo, 0, v1
	s_and_b32 s10, s23, vcc_lo
	s_delay_alu instid0(SALU_CYCLE_1)
	s_and_saveexec_b32 s7, s10
	s_cbranch_execz .LBB12_1697
; %bb.1679:                             ;   in Loop: Header=BB12_1634 Depth=1
	s_and_saveexec_b32 s10, s3
	s_delay_alu instid0(SALU_CYCLE_1)
	s_xor_b32 s10, exec_lo, s10
	s_cbranch_execz .LBB12_1694
; %bb.1680:                             ;   in Loop: Header=BB12_1634 Depth=1
	s_and_saveexec_b32 s11, s4
	s_cbranch_execz .LBB12_1693
; %bb.1681:                             ;   in Loop: Header=BB12_1634 Depth=1
	s_mov_b32 s13, exec_lo
	s_mov_b32 s12, exec_lo
	v_mbcnt_lo_u32_b32 v1, s13, 0
	global_wb scope:SCOPE_DEV
	s_wait_storecnt 0x0
	s_wait_loadcnt_dscnt 0x0
	global_inv scope:SCOPE_DEV
	v_cmpx_eq_u32_e32 0, v1
	s_cbranch_execz .LBB12_1683
; %bb.1682:                             ;   in Loop: Header=BB12_1634 Depth=1
	s_bcnt1_i32_b32 s13, s13
	s_delay_alu instid0(SALU_CYCLE_1)
	v_mov_b32_e32 v60, s13
	s_wait_loadcnt 0x0
	ds_add_u64 v0, v[60:61]
	s_trap 2
.LBB12_1683:                            ;   in Loop: Header=BB12_1634 Depth=1
	s_or_b32 exec_lo, exec_lo, s12
	s_trap 2
	ds_load_b64 v[2:3], v0
	s_wait_dscnt 0x0
	scratch_load_b64 v[4:5], off, s33 offset:256 th:TH_LOAD_LU ; 8-byte Folded Reload
	s_mov_b32 s12, exec_lo
	s_wait_loadcnt 0x0
	v_add_nc_u64_e32 v[4:5], v[4:5], v[62:63]
	scratch_store_b64 off, v[4:5], s33 offset:256 ; 8-byte Folded Spill
	s_wait_xcnt 0x0
	v_cmpx_lt_u64_e64 v[2:3], v[4:5]
	s_cbranch_execz .LBB12_1692
; %bb.1684:                             ;   in Loop: Header=BB12_1634 Depth=1
	s_mov_b32 s13, 0
	s_mov_b32 s28, 0
                                        ; implicit-def: $sgpr26
                                        ; implicit-def: $sgpr27
	s_branch .LBB12_1686
.LBB12_1685:                            ;   in Loop: Header=BB12_1686 Depth=2
	s_wait_xcnt 0x0
	s_or_b32 exec_lo, exec_lo, s40
	s_delay_alu instid0(SALU_CYCLE_1) | instskip(NEXT) | instid1(SALU_CYCLE_1)
	s_and_b32 s29, exec_lo, s41
	s_or_b32 s13, s29, s13
	s_and_not1_b32 s26, s26, exec_lo
	s_and_b32 s29, s27, exec_lo
	s_delay_alu instid0(SALU_CYCLE_1)
	s_or_b32 s26, s26, s29
	s_and_not1_b32 exec_lo, exec_lo, s13
	s_cbranch_execz .LBB12_1690
.LBB12_1686:                            ;   Parent Loop BB12_1634 Depth=1
                                        ; =>  This Inner Loop Header: Depth=2
	s_add_co_i32 s28, s28, 1
	s_delay_alu instid0(SALU_CYCLE_1) | instskip(SKIP_1) | instid1(SALU_CYCLE_1)
	s_cmp_lg_u32 s28, 0x2710
	s_cselect_b32 s29, -1, 0
	s_and_b32 vcc_lo, exec_lo, s29
	s_cbranch_vccz .LBB12_1688
; %bb.1687:                             ;   in Loop: Header=BB12_1686 Depth=2
	s_mov_b32 s41, -1
	s_or_b32 s27, s27, exec_lo
	s_and_saveexec_b32 s40, s29
	s_cbranch_execz .LBB12_1685
	s_branch .LBB12_1689
.LBB12_1688:                            ;   in Loop: Header=BB12_1686 Depth=2
	s_trap 2
	ds_load_b64 v[2:3], v0
	s_and_not1_b32 s29, s29, exec_lo
	s_mov_b32 s28, 0
	s_wait_storecnt_dscnt 0x0
	flat_load_b32 v1, v[2:3] scope:SCOPE_SYS
	s_wait_loadcnt_dscnt 0x0
	global_inv scope:SCOPE_SYS
	v_cmp_eq_u32_e32 vcc_lo, 0, v1
	s_and_b32 s40, vcc_lo, exec_lo
	s_delay_alu instid0(SALU_CYCLE_1)
	s_or_b32 s29, s29, s40
	s_mov_b32 s41, -1
	s_or_b32 s27, s27, exec_lo
	s_wait_xcnt 0x0
	s_and_saveexec_b32 s40, s29
	s_cbranch_execz .LBB12_1685
.LBB12_1689:                            ;   in Loop: Header=BB12_1686 Depth=2
	s_sleep 1
	s_trap 2
	ds_load_b64 v[2:3], v0
	s_wait_dscnt 0x0
	scratch_load_b64 v[4:5], off, s33 offset:256 ; 8-byte Folded Reload
	s_and_not1_b32 s27, s27, exec_lo
	s_wait_loadcnt 0x0
	v_cmp_ge_u64_e32 vcc_lo, v[2:3], v[4:5]
	s_or_not1_b32 s41, vcc_lo, exec_lo
	s_branch .LBB12_1685
.LBB12_1690:                            ;   in Loop: Header=BB12_1634 Depth=1
	s_or_b32 exec_lo, exec_lo, s13
	s_and_saveexec_b32 s13, s26
	s_delay_alu instid0(SALU_CYCLE_1)
	s_xor_b32 s13, exec_lo, s13
	s_cbranch_execz .LBB12_1692
; %bb.1691:                             ;   in Loop: Header=BB12_1634 Depth=1
	v_mov_b32_e32 v1, 1
	ds_store_b32 v0, v1
	s_trap 2
.LBB12_1692:                            ;   in Loop: Header=BB12_1634 Depth=1
	s_or_b32 exec_lo, exec_lo, s12
	;;#ASMSTART
	s_wakeup
	;;#ASMEND
.LBB12_1693:                            ;   in Loop: Header=BB12_1634 Depth=1
	s_or_b32 exec_lo, exec_lo, s11
.LBB12_1694:                            ;   in Loop: Header=BB12_1634 Depth=1
	s_and_not1_saveexec_b32 s10, s10
	s_cbranch_execz .LBB12_1696
; %bb.1695:                             ;   in Loop: Header=BB12_1634 Depth=1
	global_wb scope:SCOPE_DEV
	s_wait_storecnt 0x0
	s_wait_loadcnt_dscnt 0x0
	global_inv scope:SCOPE_DEV
	s_barrier_signal -1
	s_barrier_wait -1
.LBB12_1696:                            ;   in Loop: Header=BB12_1634 Depth=1
	s_or_b32 exec_lo, exec_lo, s10
.LBB12_1697:                            ;   in Loop: Header=BB12_1634 Depth=1
	s_delay_alu instid0(SALU_CYCLE_1)
	s_or_b32 exec_lo, exec_lo, s7
	s_trap 2
	s_wait_dscnt 0x0
	ds_load_b64 v[2:3], v0
	v_min_u32_e32 v107, v107, v106
	s_wait_dscnt 0x0
	v_cmp_eq_u64_e32 vcc_lo, 0, v[2:3]
	scratch_store_b64 off, v[2:3], s33 offset:264 ; 8-byte Folded Spill
	s_cbranch_vccnz .LBB12_1705
; %bb.1698:                             ;   in Loop: Header=BB12_1634 Depth=1
	s_trap 2
	s_wait_xcnt 0x0
	ds_load_b64 v[2:3], v0
	s_wait_dscnt 0x0
	v_cmp_eq_u64_e32 vcc_lo, 0, v[2:3]
	scratch_store_b64 off, v[2:3], s33 offset:328 ; 8-byte Folded Spill
	s_cbranch_vccnz .LBB12_1705
; %bb.1699:                             ;   in Loop: Header=BB12_1634 Depth=1
	s_mov_b32 s7, -1
	s_wait_xcnt 0x0
	s_and_saveexec_b32 s10, s5
	s_cbranch_execz .LBB12_1701
; %bb.1700:                             ;   in Loop: Header=BB12_1634 Depth=1
	ds_load_b32 v1, v0 offset:720
	s_wait_dscnt 0x0
	v_and_b32_e32 v1, 15, v1
	s_delay_alu instid0(VALU_DEP_1)
	v_cmp_eq_u32_e32 vcc_lo, 0, v1
	s_or_not1_b32 s7, vcc_lo, exec_lo
.LBB12_1701:                            ;   in Loop: Header=BB12_1634 Depth=1
	s_or_b32 exec_lo, exec_lo, s10
	s_and_saveexec_b32 s10, s6
	s_cbranch_execz .LBB12_1703
; %bb.1702:                             ;   in Loop: Header=BB12_1634 Depth=1
	ds_load_b32 v1, v0 offset:784
	s_wait_dscnt 0x0
	v_and_b32_e32 v1, 15, v1
	s_delay_alu instid0(VALU_DEP_1) | instskip(SKIP_3) | instid1(SALU_CYCLE_1)
	v_cmp_eq_u32_e32 vcc_lo, 0, v1
	s_and_b32 s11, s7, vcc_lo
	s_and_not1_b32 s7, s7, exec_lo
	s_and_b32 s11, s11, exec_lo
	s_or_b32 s7, s7, s11
.LBB12_1703:                            ;   in Loop: Header=BB12_1634 Depth=1
	s_or_b32 exec_lo, exec_lo, s10
	s_xor_b32 s7, s7, -1
	s_mov_b32 s10, -1
	v_cndmask_b32_e64 v1, 0, 1, s7
	v_cmp_eq_u32_e64 s7, 0, v0
	s_delay_alu instid0(VALU_DEP_2)
	v_cmp_ne_u32_e32 vcc_lo, 0, v1
	s_cbranch_vccz .LBB12_1706
; %bb.1704:                             ;   in Loop: Header=BB12_1634 Depth=1
	s_mov_b32 s10, 0
	s_mov_b32 s26, -1
	s_branch .LBB12_1707
.LBB12_1705:                            ;   in Loop: Header=BB12_1634 Depth=1
	s_mov_b32 s7, 0
	s_wait_xcnt 0x0
	s_and_saveexec_b32 s10, s2
	s_cbranch_execnz .LBB12_3131
	s_branch .LBB12_3149
.LBB12_1706:                            ;   in Loop: Header=BB12_1634 Depth=1
	s_mov_b32 s26, 0
.LBB12_1707:                            ;   in Loop: Header=BB12_1634 Depth=1
	v_dual_cndmask_b32 v101, 0, v107, s7 :: v_dual_mov_b32 v18, 0
	s_and_not1_b32 vcc_lo, exec_lo, s10
	s_delay_alu instid0(VALU_DEP_1)
	v_lshlrev_b32_e32 v102, 1, v101
	s_cbranch_vccnz .LBB12_2227
; %bb.1708:                             ;   in Loop: Header=BB12_1634 Depth=1
	scratch_load_b64 v[0:1], off, s33 offset:328 ; 8-byte Folded Reload
	v_lshrrev_b32_e32 v103, 10, v101
	s_mov_b32 s10, 0
	s_mov_b32 s7, exec_lo
                                        ; implicit-def: $vgpr96_vgpr97
                                        ; implicit-def: $vgpr68_vgpr69
                                        ; implicit-def: $vgpr48_vgpr49
                                        ; implicit-def: $vgpr26_vgpr27
                                        ; implicit-def: $vgpr22_vgpr23
                                        ; implicit-def: $vgpr18_vgpr19
                                        ; implicit-def: $vgpr14_vgpr15
                                        ; implicit-def: $vgpr10_vgpr11
	s_delay_alu instid0(VALU_DEP_1) | instskip(SKIP_3) | instid1(VALU_DEP_2)
	v_sub_nc_u32_e32 v42, v103, v88
	s_wait_loadcnt 0x0
	v_add_nc_u64_e32 v[120:121], v[0:1], v[110:111]
	s_wait_xcnt 0x0
	v_cmpx_lt_i32_e32 0, v42
	s_cbranch_execz .LBB12_2229
; %bb.1709:                             ;   in Loop: Header=BB12_1634 Depth=1
	s_clause 0x2
	scratch_store_b32 off, v103, s33 offset:356
	scratch_store_b32 off, v102, s33 offset:348
	;; [unrolled: 1-line block ×3, first 2 shown]
	s_trap 2
	scratch_load_b64 v[2:3], off, s33 offset:264 ; 8-byte Folded Reload
	ds_load_b64 v[0:1], v0
	s_mov_b32 s12, 0
                                        ; implicit-def: $sgpr11
                                        ; implicit-def: $vgpr96_vgpr97
                                        ; implicit-def: $vgpr68_vgpr69
                                        ; implicit-def: $vgpr48_vgpr49
                                        ; implicit-def: $vgpr26_vgpr27
                                        ; implicit-def: $vgpr22_vgpr23
                                        ; implicit-def: $vgpr18_vgpr19
                                        ; implicit-def: $vgpr14_vgpr15
                                        ; implicit-def: $vgpr10_vgpr11
	s_wait_dscnt 0x0
	ds_load_b32 v4, v0
	v_add_nc_u64_e32 v[122:123], v[0:1], v[110:111]
	s_wait_dscnt 0x0
	v_lshlrev_b32_e32 v119, 16, v4
	s_wait_loadcnt 0x0
	v_add_nc_u64_e32 v[2:3], v[2:3], v[110:111]
	s_branch .LBB12_1711
.LBB12_1710:                            ;   in Loop: Header=BB12_1711 Depth=2
	s_or_b32 exec_lo, exec_lo, s13
	v_dual_lshrrev_b32 v8, 16, v55 :: v_dual_lshrrev_b32 v5, 16, v5
	v_dual_lshrrev_b32 v9, 16, v112 :: v_dual_lshrrev_b32 v55, 16, v102
	v_lshrrev_b32_e32 v80, 16, v88
	s_delay_alu instid0(VALU_DEP_3)
	v_and_or_b32 v35, 0xffff0000, v37, v8
	v_lshrrev_b32_e32 v8, 16, v118
	v_and_or_b32 v34, 0xffff0000, v36, v5
	v_and_or_b32 v36, 0xffff0000, v38, v9
	v_dual_lshrrev_b32 v9, 16, v82 :: v_dual_lshrrev_b32 v0, 16, v0
	v_and_or_b32 v81, 0xffff0000, v31, v80
	v_dual_lshrrev_b32 v5, 16, v53 :: v_dual_lshrrev_b32 v31, 16, v83
	v_and_or_b32 v80, 0xffff0000, v52, v8
	v_lshrrev_b32_e32 v8, 16, v43
	v_and_or_b32 v53, 0xffff0000, v65, v9
	v_and_or_b32 v52, 0xffff0000, v64, v0
	v_lshrrev_b32_e32 v0, 16, v60
	v_dual_lshrrev_b32 v9, 16, v84 :: v_dual_lshrrev_b32 v7, 16, v7
	v_and_or_b32 v82, 0xffff0000, v54, v5
	v_and_or_b32 v54, 0xffff0000, v66, v31
	v_cndmask_b32_e64 v31, 0, v62, s12
	v_and_or_b32 v37, 0xffff0000, v39, v55
	v_and_or_b32 v83, 0xffff0000, v4, v8
	v_dual_lshrrev_b32 v4, 16, v86 :: v_dual_lshrrev_b32 v8, 16, v100
	v_and_or_b32 v55, 0xffff0000, v67, v0
	v_and_or_b32 v7, 0xffff0000, v1, v7
	v_add_nc_u64_e32 v[0:1], v[2:3], v[108:109]
	v_and_or_b32 v6, 0xffff0000, v6, v9
	v_cndmask_b32_e64 v9, 0, v91, s12
	v_sub_nc_u32_e32 v42, v42, v31
	v_and_or_b32 v5, 0xffff0000, v33, v4
	v_and_or_b32 v4, 0xffff0000, v32, v8
	v_cndmask_b32_e64 v8, 0x800, v90, s12
	v_add_nc_u64_e32 v[32:33], v[122:123], v[108:109]
	v_cndmask_b32_e64 v3, v3, v1, s12
	v_cmp_gt_i32_e32 vcc_lo, 1, v42
	s_clause 0x3
	global_store_b128 v[120:121], v[52:55], off th:TH_STORE_NT
	global_store_b128 v[120:121], v[80:83], off offset:512 th:TH_STORE_NT
	global_store_b128 v[120:121], v[34:37], off offset:1024 th:TH_STORE_NT
	;; [unrolled: 1-line block ×3, first 2 shown]
	s_wait_xcnt 0x0
	v_add_nc_u64_e32 v[120:121], v[120:121], v[8:9]
	v_dual_cndmask_b32 v2, v2, v0, s12 :: v_dual_cndmask_b32 v123, v123, v33, s12
	v_cndmask_b32_e64 v122, v122, v32, s12
	s_or_b32 s10, vcc_lo, s10
	s_and_not1_b32 s11, s11, exec_lo
	s_and_b32 s13, s12, exec_lo
	s_delay_alu instid0(SALU_CYCLE_1)
	s_or_b32 s11, s11, s13
	s_and_not1_b32 exec_lo, exec_lo, s10
	s_cbranch_execz .LBB12_2228
.LBB12_1711:                            ;   Parent Loop BB12_1634 Depth=1
                                        ; =>  This Inner Loop Header: Depth=2
	s_clause 0x3
	global_load_b128 v[112:115], v[2:3], off th:TH_LOAD_NT
	global_load_b128 v[100:103], v[2:3], off offset:512 th:TH_LOAD_NT
	global_load_b128 v[84:87], v[2:3], off offset:1024 th:TH_LOAD_NT
	;; [unrolled: 1-line block ×3, first 2 shown]
	s_clause 0x3
	global_load_b128 v[64:67], v[122:123], off th:TH_LOAD_NT
	global_load_b128 v[52:55], v[122:123], off offset:512 th:TH_LOAD_NT
	global_load_b128 v[36:39], v[122:123], off offset:1024 th:TH_LOAD_NT
	;; [unrolled: 1-line block ×3, first 2 shown]
	s_wait_xcnt 0x0
	s_and_saveexec_b32 s13, s12
	s_cbranch_execz .LBB12_1969
; %bb.1712:                             ;   in Loop: Header=BB12_1711 Depth=2
	v_lshlrev_b32_e32 v0, 16, v96
	s_delay_alu instid0(VALU_DEP_1) | instskip(NEXT) | instid1(VALU_DEP_1)
	v_mul_f32_e32 v1, v119, v0
	v_and_b32_e32 v0, 0x7f800000, v1
	s_delay_alu instid0(VALU_DEP_1) | instskip(SKIP_1) | instid1(SALU_CYCLE_1)
	v_cmp_ne_u32_e32 vcc_lo, 0x7f800000, v0
                                        ; implicit-def: $vgpr0
	s_and_saveexec_b32 s12, vcc_lo
	s_xor_b32 s12, exec_lo, s12
; %bb.1713:                             ;   in Loop: Header=BB12_1711 Depth=2
	v_bfe_u32 v0, v1, 16, 1
	s_delay_alu instid0(VALU_DEP_1)
	v_add3_u32 v0, v1, v0, 0x7fff
                                        ; implicit-def: $vgpr1
; %bb.1714:                             ;   in Loop: Header=BB12_1711 Depth=2
	s_and_not1_saveexec_b32 s12, s12
; %bb.1715:                             ;   in Loop: Header=BB12_1711 Depth=2
	v_and_b32_e32 v0, 0xffff, v1
	v_or_b32_e32 v4, 0x10000, v1
	s_delay_alu instid0(VALU_DEP_2) | instskip(NEXT) | instid1(VALU_DEP_2)
	v_cmp_eq_u32_e32 vcc_lo, 0, v0
	v_cndmask_b32_e32 v0, v4, v1, vcc_lo
; %bb.1716:                             ;   in Loop: Header=BB12_1711 Depth=2
	s_or_b32 exec_lo, exec_lo, s12
	v_and_b32_e32 v1, 0xffff0000, v96
	s_delay_alu instid0(VALU_DEP_1) | instskip(NEXT) | instid1(VALU_DEP_1)
	v_mul_f32_e32 v4, v119, v1
	v_and_b32_e32 v1, 0x7f800000, v4
	s_delay_alu instid0(VALU_DEP_1) | instskip(SKIP_1) | instid1(SALU_CYCLE_1)
	v_cmp_ne_u32_e32 vcc_lo, 0x7f800000, v1
                                        ; implicit-def: $vgpr1
	s_and_saveexec_b32 s12, vcc_lo
	s_xor_b32 s12, exec_lo, s12
; %bb.1717:                             ;   in Loop: Header=BB12_1711 Depth=2
	v_bfe_u32 v1, v4, 16, 1
	s_delay_alu instid0(VALU_DEP_1)
	v_add3_u32 v1, v4, v1, 0x7fff
                                        ; implicit-def: $vgpr4
; %bb.1718:                             ;   in Loop: Header=BB12_1711 Depth=2
	s_and_not1_saveexec_b32 s12, s12
; %bb.1719:                             ;   in Loop: Header=BB12_1711 Depth=2
	v_and_b32_e32 v1, 0xffff, v4
	v_or_b32_e32 v5, 0x10000, v4
	s_delay_alu instid0(VALU_DEP_2) | instskip(NEXT) | instid1(VALU_DEP_2)
	v_cmp_eq_u32_e32 vcc_lo, 0, v1
	v_cndmask_b32_e32 v1, v5, v4, vcc_lo
; %bb.1720:                             ;   in Loop: Header=BB12_1711 Depth=2
	s_or_b32 exec_lo, exec_lo, s12
	v_lshlrev_b32_e32 v4, 16, v97
	s_mov_b32 s12, exec_lo
                                        ; implicit-def: $vgpr95
	s_delay_alu instid0(VALU_DEP_1) | instskip(NEXT) | instid1(VALU_DEP_1)
	v_mul_f32_e32 v4, v119, v4
	v_and_b32_e32 v5, 0x7f800000, v4
	s_delay_alu instid0(VALU_DEP_1)
	v_cmpx_ne_u32_e32 0x7f800000, v5
	s_xor_b32 s12, exec_lo, s12
; %bb.1721:                             ;   in Loop: Header=BB12_1711 Depth=2
	v_bfe_u32 v5, v4, 16, 1
	s_delay_alu instid0(VALU_DEP_1)
	v_add3_u32 v95, v4, v5, 0x7fff
                                        ; implicit-def: $vgpr4
; %bb.1722:                             ;   in Loop: Header=BB12_1711 Depth=2
	s_and_not1_saveexec_b32 s12, s12
; %bb.1723:                             ;   in Loop: Header=BB12_1711 Depth=2
	v_and_b32_e32 v5, 0xffff, v4
	v_or_b32_e32 v6, 0x10000, v4
	s_delay_alu instid0(VALU_DEP_2) | instskip(NEXT) | instid1(VALU_DEP_2)
	v_cmp_eq_u32_e32 vcc_lo, 0, v5
	v_cndmask_b32_e32 v95, v6, v4, vcc_lo
; %bb.1724:                             ;   in Loop: Header=BB12_1711 Depth=2
	s_or_b32 exec_lo, exec_lo, s12
	v_and_b32_e32 v4, 0xffff0000, v97
	s_mov_b32 s12, exec_lo
                                        ; implicit-def: $vgpr126
	s_delay_alu instid0(VALU_DEP_1) | instskip(NEXT) | instid1(VALU_DEP_1)
	v_mul_f32_e32 v4, v119, v4
	v_and_b32_e32 v5, 0x7f800000, v4
	s_delay_alu instid0(VALU_DEP_1)
	v_cmpx_ne_u32_e32 0x7f800000, v5
	s_xor_b32 s12, exec_lo, s12
; %bb.1725:                             ;   in Loop: Header=BB12_1711 Depth=2
	v_bfe_u32 v5, v4, 16, 1
	s_delay_alu instid0(VALU_DEP_1)
	v_add3_u32 v126, v4, v5, 0x7fff
                                        ; implicit-def: $vgpr4
; %bb.1726:                             ;   in Loop: Header=BB12_1711 Depth=2
	s_and_not1_saveexec_b32 s12, s12
; %bb.1727:                             ;   in Loop: Header=BB12_1711 Depth=2
	v_and_b32_e32 v5, 0xffff, v4
	v_or_b32_e32 v6, 0x10000, v4
	s_delay_alu instid0(VALU_DEP_2) | instskip(NEXT) | instid1(VALU_DEP_2)
	v_cmp_eq_u32_e32 vcc_lo, 0, v5
	v_cndmask_b32_e32 v126, v6, v4, vcc_lo
; %bb.1728:                             ;   in Loop: Header=BB12_1711 Depth=2
	s_or_b32 exec_lo, exec_lo, s12
	v_lshlrev_b32_e32 v4, 16, v98
	s_mov_b32 s12, exec_lo
                                        ; implicit-def: $vgpr94
	s_delay_alu instid0(VALU_DEP_1) | instskip(NEXT) | instid1(VALU_DEP_1)
	v_mul_f32_e32 v4, v119, v4
	v_and_b32_e32 v5, 0x7f800000, v4
	s_delay_alu instid0(VALU_DEP_1)
	v_cmpx_ne_u32_e32 0x7f800000, v5
	s_xor_b32 s12, exec_lo, s12
; %bb.1729:                             ;   in Loop: Header=BB12_1711 Depth=2
	v_bfe_u32 v5, v4, 16, 1
	s_delay_alu instid0(VALU_DEP_1)
	v_add3_u32 v94, v4, v5, 0x7fff
                                        ; implicit-def: $vgpr4
; %bb.1730:                             ;   in Loop: Header=BB12_1711 Depth=2
	s_and_not1_saveexec_b32 s12, s12
; %bb.1731:                             ;   in Loop: Header=BB12_1711 Depth=2
	v_and_b32_e32 v5, 0xffff, v4
	v_or_b32_e32 v6, 0x10000, v4
	s_delay_alu instid0(VALU_DEP_2) | instskip(NEXT) | instid1(VALU_DEP_2)
	v_cmp_eq_u32_e32 vcc_lo, 0, v5
	v_cndmask_b32_e32 v94, v6, v4, vcc_lo
; %bb.1732:                             ;   in Loop: Header=BB12_1711 Depth=2
	s_or_b32 exec_lo, exec_lo, s12
	v_and_b32_e32 v4, 0xffff0000, v98
	s_mov_b32 s12, exec_lo
                                        ; implicit-def: $vgpr60
	s_delay_alu instid0(VALU_DEP_1) | instskip(NEXT) | instid1(VALU_DEP_1)
	v_mul_f32_e32 v4, v119, v4
	v_and_b32_e32 v5, 0x7f800000, v4
	s_delay_alu instid0(VALU_DEP_1)
	v_cmpx_ne_u32_e32 0x7f800000, v5
	s_xor_b32 s12, exec_lo, s12
; %bb.1733:                             ;   in Loop: Header=BB12_1711 Depth=2
	v_bfe_u32 v5, v4, 16, 1
	s_delay_alu instid0(VALU_DEP_1)
	v_add3_u32 v60, v4, v5, 0x7fff
                                        ; implicit-def: $vgpr4
; %bb.1734:                             ;   in Loop: Header=BB12_1711 Depth=2
	s_and_not1_saveexec_b32 s12, s12
; %bb.1735:                             ;   in Loop: Header=BB12_1711 Depth=2
	v_and_b32_e32 v5, 0xffff, v4
	v_or_b32_e32 v6, 0x10000, v4
	s_delay_alu instid0(VALU_DEP_2) | instskip(NEXT) | instid1(VALU_DEP_2)
	v_cmp_eq_u32_e32 vcc_lo, 0, v5
	v_cndmask_b32_e32 v60, v6, v4, vcc_lo
; %bb.1736:                             ;   in Loop: Header=BB12_1711 Depth=2
	s_or_b32 exec_lo, exec_lo, s12
	v_lshlrev_b32_e32 v4, 16, v99
	s_mov_b32 s12, exec_lo
                                        ; implicit-def: $vgpr125
	s_delay_alu instid0(VALU_DEP_1) | instskip(NEXT) | instid1(VALU_DEP_1)
	v_mul_f32_e32 v4, v119, v4
	v_and_b32_e32 v5, 0x7f800000, v4
	s_delay_alu instid0(VALU_DEP_1)
	v_cmpx_ne_u32_e32 0x7f800000, v5
	s_xor_b32 s12, exec_lo, s12
; %bb.1737:                             ;   in Loop: Header=BB12_1711 Depth=2
	v_bfe_u32 v5, v4, 16, 1
	s_delay_alu instid0(VALU_DEP_1)
	v_add3_u32 v125, v4, v5, 0x7fff
                                        ; implicit-def: $vgpr4
; %bb.1738:                             ;   in Loop: Header=BB12_1711 Depth=2
	s_and_not1_saveexec_b32 s12, s12
; %bb.1739:                             ;   in Loop: Header=BB12_1711 Depth=2
	v_and_b32_e32 v5, 0xffff, v4
	v_or_b32_e32 v6, 0x10000, v4
	s_delay_alu instid0(VALU_DEP_2) | instskip(NEXT) | instid1(VALU_DEP_2)
	v_cmp_eq_u32_e32 vcc_lo, 0, v5
	v_cndmask_b32_e32 v125, v6, v4, vcc_lo
; %bb.1740:                             ;   in Loop: Header=BB12_1711 Depth=2
	s_or_b32 exec_lo, exec_lo, s12
	v_and_b32_e32 v4, 0xffff0000, v99
	s_mov_b32 s12, exec_lo
                                        ; implicit-def: $vgpr118
	s_delay_alu instid0(VALU_DEP_1) | instskip(NEXT) | instid1(VALU_DEP_1)
	v_mul_f32_e32 v4, v119, v4
	v_and_b32_e32 v5, 0x7f800000, v4
	s_delay_alu instid0(VALU_DEP_1)
	v_cmpx_ne_u32_e32 0x7f800000, v5
	s_xor_b32 s12, exec_lo, s12
; %bb.1741:                             ;   in Loop: Header=BB12_1711 Depth=2
	v_bfe_u32 v5, v4, 16, 1
	s_delay_alu instid0(VALU_DEP_1)
	v_add3_u32 v118, v4, v5, 0x7fff
                                        ; implicit-def: $vgpr4
; %bb.1742:                             ;   in Loop: Header=BB12_1711 Depth=2
	s_and_not1_saveexec_b32 s12, s12
; %bb.1743:                             ;   in Loop: Header=BB12_1711 Depth=2
	v_and_b32_e32 v5, 0xffff, v4
	v_or_b32_e32 v6, 0x10000, v4
	s_delay_alu instid0(VALU_DEP_2) | instskip(NEXT) | instid1(VALU_DEP_2)
	v_cmp_eq_u32_e32 vcc_lo, 0, v5
	v_cndmask_b32_e32 v118, v6, v4, vcc_lo
; %bb.1744:                             ;   in Loop: Header=BB12_1711 Depth=2
	s_or_b32 exec_lo, exec_lo, s12
	v_lshlrev_b32_e32 v4, 16, v68
	s_mov_b32 s12, exec_lo
                                        ; implicit-def: $vgpr124
	s_delay_alu instid0(VALU_DEP_1) | instskip(NEXT) | instid1(VALU_DEP_1)
	v_mul_f32_e32 v4, v119, v4
	v_and_b32_e32 v5, 0x7f800000, v4
	s_delay_alu instid0(VALU_DEP_1)
	v_cmpx_ne_u32_e32 0x7f800000, v5
	s_xor_b32 s12, exec_lo, s12
; %bb.1745:                             ;   in Loop: Header=BB12_1711 Depth=2
	v_bfe_u32 v5, v4, 16, 1
	s_delay_alu instid0(VALU_DEP_1)
	v_add3_u32 v124, v4, v5, 0x7fff
                                        ; implicit-def: $vgpr4
; %bb.1746:                             ;   in Loop: Header=BB12_1711 Depth=2
	s_and_not1_saveexec_b32 s12, s12
; %bb.1747:                             ;   in Loop: Header=BB12_1711 Depth=2
	v_and_b32_e32 v5, 0xffff, v4
	v_or_b32_e32 v6, 0x10000, v4
	s_delay_alu instid0(VALU_DEP_2) | instskip(NEXT) | instid1(VALU_DEP_2)
	v_cmp_eq_u32_e32 vcc_lo, 0, v5
	v_cndmask_b32_e32 v124, v6, v4, vcc_lo
; %bb.1748:                             ;   in Loop: Header=BB12_1711 Depth=2
	s_or_b32 exec_lo, exec_lo, s12
	v_and_b32_e32 v4, 0xffff0000, v68
	s_mov_b32 s12, exec_lo
                                        ; implicit-def: $vgpr88
	s_delay_alu instid0(VALU_DEP_1) | instskip(NEXT) | instid1(VALU_DEP_1)
	v_mul_f32_e32 v4, v119, v4
	v_and_b32_e32 v5, 0x7f800000, v4
	s_delay_alu instid0(VALU_DEP_1)
	v_cmpx_ne_u32_e32 0x7f800000, v5
	s_xor_b32 s12, exec_lo, s12
; %bb.1749:                             ;   in Loop: Header=BB12_1711 Depth=2
	v_bfe_u32 v5, v4, 16, 1
	s_delay_alu instid0(VALU_DEP_1)
	v_add3_u32 v88, v4, v5, 0x7fff
                                        ; implicit-def: $vgpr4
; %bb.1750:                             ;   in Loop: Header=BB12_1711 Depth=2
	s_and_not1_saveexec_b32 s12, s12
; %bb.1751:                             ;   in Loop: Header=BB12_1711 Depth=2
	v_and_b32_e32 v5, 0xffff, v4
	v_or_b32_e32 v6, 0x10000, v4
	s_delay_alu instid0(VALU_DEP_2) | instskip(NEXT) | instid1(VALU_DEP_2)
	v_cmp_eq_u32_e32 vcc_lo, 0, v5
	v_cndmask_b32_e32 v88, v6, v4, vcc_lo
; %bb.1752:                             ;   in Loop: Header=BB12_1711 Depth=2
	s_or_b32 exec_lo, exec_lo, s12
	v_lshlrev_b32_e32 v4, 16, v69
	s_mov_b32 s12, exec_lo
                                        ; implicit-def: $vgpr89
	s_delay_alu instid0(VALU_DEP_1) | instskip(NEXT) | instid1(VALU_DEP_1)
	v_mul_f32_e32 v4, v119, v4
	v_and_b32_e32 v5, 0x7f800000, v4
	s_delay_alu instid0(VALU_DEP_1)
	v_cmpx_ne_u32_e32 0x7f800000, v5
	s_xor_b32 s12, exec_lo, s12
; %bb.1753:                             ;   in Loop: Header=BB12_1711 Depth=2
	v_bfe_u32 v5, v4, 16, 1
	s_delay_alu instid0(VALU_DEP_1)
	v_add3_u32 v89, v4, v5, 0x7fff
                                        ; implicit-def: $vgpr4
; %bb.1754:                             ;   in Loop: Header=BB12_1711 Depth=2
	s_and_not1_saveexec_b32 s12, s12
; %bb.1755:                             ;   in Loop: Header=BB12_1711 Depth=2
	v_and_b32_e32 v5, 0xffff, v4
	v_or_b32_e32 v6, 0x10000, v4
	s_delay_alu instid0(VALU_DEP_2) | instskip(NEXT) | instid1(VALU_DEP_2)
	v_cmp_eq_u32_e32 vcc_lo, 0, v5
	v_cndmask_b32_e32 v89, v6, v4, vcc_lo
; %bb.1756:                             ;   in Loop: Header=BB12_1711 Depth=2
	s_or_b32 exec_lo, exec_lo, s12
	v_and_b32_e32 v4, 0xffff0000, v69
	s_mov_b32 s12, exec_lo
                                        ; implicit-def: $vgpr45
	s_delay_alu instid0(VALU_DEP_1) | instskip(NEXT) | instid1(VALU_DEP_1)
	v_mul_f32_e32 v4, v119, v4
	v_and_b32_e32 v5, 0x7f800000, v4
	s_delay_alu instid0(VALU_DEP_1)
	v_cmpx_ne_u32_e32 0x7f800000, v5
	s_xor_b32 s12, exec_lo, s12
; %bb.1757:                             ;   in Loop: Header=BB12_1711 Depth=2
	v_bfe_u32 v5, v4, 16, 1
	s_delay_alu instid0(VALU_DEP_1)
	v_add3_u32 v45, v4, v5, 0x7fff
                                        ; implicit-def: $vgpr4
; %bb.1758:                             ;   in Loop: Header=BB12_1711 Depth=2
	s_and_not1_saveexec_b32 s12, s12
; %bb.1759:                             ;   in Loop: Header=BB12_1711 Depth=2
	v_and_b32_e32 v5, 0xffff, v4
	v_or_b32_e32 v6, 0x10000, v4
	s_delay_alu instid0(VALU_DEP_2) | instskip(NEXT) | instid1(VALU_DEP_2)
	v_cmp_eq_u32_e32 vcc_lo, 0, v5
	v_cndmask_b32_e32 v45, v6, v4, vcc_lo
; %bb.1760:                             ;   in Loop: Header=BB12_1711 Depth=2
	s_or_b32 exec_lo, exec_lo, s12
	v_lshlrev_b32_e32 v4, 16, v70
	s_mov_b32 s12, exec_lo
                                        ; implicit-def: $vgpr31
	s_delay_alu instid0(VALU_DEP_1) | instskip(NEXT) | instid1(VALU_DEP_1)
	v_mul_f32_e32 v4, v119, v4
	v_and_b32_e32 v5, 0x7f800000, v4
	s_delay_alu instid0(VALU_DEP_1)
	v_cmpx_ne_u32_e32 0x7f800000, v5
	s_xor_b32 s12, exec_lo, s12
; %bb.1761:                             ;   in Loop: Header=BB12_1711 Depth=2
	v_bfe_u32 v5, v4, 16, 1
	s_delay_alu instid0(VALU_DEP_1)
	v_add3_u32 v31, v4, v5, 0x7fff
                                        ; implicit-def: $vgpr4
; %bb.1762:                             ;   in Loop: Header=BB12_1711 Depth=2
	s_and_not1_saveexec_b32 s12, s12
; %bb.1763:                             ;   in Loop: Header=BB12_1711 Depth=2
	v_and_b32_e32 v5, 0xffff, v4
	v_or_b32_e32 v6, 0x10000, v4
	s_delay_alu instid0(VALU_DEP_2) | instskip(NEXT) | instid1(VALU_DEP_2)
	v_cmp_eq_u32_e32 vcc_lo, 0, v5
	v_cndmask_b32_e32 v31, v6, v4, vcc_lo
; %bb.1764:                             ;   in Loop: Header=BB12_1711 Depth=2
	s_or_b32 exec_lo, exec_lo, s12
	v_and_b32_e32 v4, 0xffff0000, v70
	s_mov_b32 s12, exec_lo
                                        ; implicit-def: $vgpr43
	s_delay_alu instid0(VALU_DEP_1) | instskip(NEXT) | instid1(VALU_DEP_1)
	v_mul_f32_e32 v4, v119, v4
	v_and_b32_e32 v5, 0x7f800000, v4
	s_delay_alu instid0(VALU_DEP_1)
	v_cmpx_ne_u32_e32 0x7f800000, v5
	s_xor_b32 s12, exec_lo, s12
; %bb.1765:                             ;   in Loop: Header=BB12_1711 Depth=2
	v_bfe_u32 v5, v4, 16, 1
	s_delay_alu instid0(VALU_DEP_1)
	v_add3_u32 v43, v4, v5, 0x7fff
                                        ; implicit-def: $vgpr4
; %bb.1766:                             ;   in Loop: Header=BB12_1711 Depth=2
	s_and_not1_saveexec_b32 s12, s12
; %bb.1767:                             ;   in Loop: Header=BB12_1711 Depth=2
	v_and_b32_e32 v5, 0xffff, v4
	v_or_b32_e32 v6, 0x10000, v4
	s_delay_alu instid0(VALU_DEP_2) | instskip(NEXT) | instid1(VALU_DEP_2)
	v_cmp_eq_u32_e32 vcc_lo, 0, v5
	v_cndmask_b32_e32 v43, v6, v4, vcc_lo
; %bb.1768:                             ;   in Loop: Header=BB12_1711 Depth=2
	s_or_b32 exec_lo, exec_lo, s12
	v_lshlrev_b32_e32 v4, 16, v71
	s_mov_b32 s12, exec_lo
                                        ; implicit-def: $vgpr44
	s_delay_alu instid0(VALU_DEP_1) | instskip(NEXT) | instid1(VALU_DEP_1)
	v_mul_f32_e32 v4, v119, v4
	v_and_b32_e32 v5, 0x7f800000, v4
	s_delay_alu instid0(VALU_DEP_1)
	v_cmpx_ne_u32_e32 0x7f800000, v5
	s_xor_b32 s12, exec_lo, s12
; %bb.1769:                             ;   in Loop: Header=BB12_1711 Depth=2
	v_bfe_u32 v5, v4, 16, 1
	s_delay_alu instid0(VALU_DEP_1)
	v_add3_u32 v44, v4, v5, 0x7fff
                                        ; implicit-def: $vgpr4
; %bb.1770:                             ;   in Loop: Header=BB12_1711 Depth=2
	s_and_not1_saveexec_b32 s12, s12
; %bb.1771:                             ;   in Loop: Header=BB12_1711 Depth=2
	v_and_b32_e32 v5, 0xffff, v4
	v_or_b32_e32 v6, 0x10000, v4
	s_delay_alu instid0(VALU_DEP_2) | instskip(NEXT) | instid1(VALU_DEP_2)
	v_cmp_eq_u32_e32 vcc_lo, 0, v5
	v_cndmask_b32_e32 v44, v6, v4, vcc_lo
; %bb.1772:                             ;   in Loop: Header=BB12_1711 Depth=2
	s_or_b32 exec_lo, exec_lo, s12
	v_and_b32_e32 v4, 0xffff0000, v71
	s_mov_b32 s12, exec_lo
                                        ; implicit-def: $vgpr116
	s_delay_alu instid0(VALU_DEP_1) | instskip(NEXT) | instid1(VALU_DEP_1)
	v_mul_f32_e32 v4, v119, v4
	v_and_b32_e32 v5, 0x7f800000, v4
	s_delay_alu instid0(VALU_DEP_1)
	v_cmpx_ne_u32_e32 0x7f800000, v5
	s_xor_b32 s12, exec_lo, s12
; %bb.1773:                             ;   in Loop: Header=BB12_1711 Depth=2
	v_bfe_u32 v5, v4, 16, 1
	s_delay_alu instid0(VALU_DEP_1)
	v_add3_u32 v116, v4, v5, 0x7fff
                                        ; implicit-def: $vgpr4
; %bb.1774:                             ;   in Loop: Header=BB12_1711 Depth=2
	s_and_not1_saveexec_b32 s12, s12
; %bb.1775:                             ;   in Loop: Header=BB12_1711 Depth=2
	v_and_b32_e32 v5, 0xffff, v4
	v_or_b32_e32 v6, 0x10000, v4
	s_delay_alu instid0(VALU_DEP_2) | instskip(NEXT) | instid1(VALU_DEP_2)
	v_cmp_eq_u32_e32 vcc_lo, 0, v5
	v_cndmask_b32_e32 v116, v6, v4, vcc_lo
; %bb.1776:                             ;   in Loop: Header=BB12_1711 Depth=2
	s_or_b32 exec_lo, exec_lo, s12
	v_lshlrev_b32_e32 v4, 16, v48
	s_mov_b32 s12, exec_lo
                                        ; implicit-def: $vgpr117
	s_delay_alu instid0(VALU_DEP_1) | instskip(NEXT) | instid1(VALU_DEP_1)
	v_mul_f32_e32 v4, v119, v4
	v_and_b32_e32 v5, 0x7f800000, v4
	s_delay_alu instid0(VALU_DEP_1)
	v_cmpx_ne_u32_e32 0x7f800000, v5
	s_xor_b32 s12, exec_lo, s12
; %bb.1777:                             ;   in Loop: Header=BB12_1711 Depth=2
	v_bfe_u32 v5, v4, 16, 1
	s_delay_alu instid0(VALU_DEP_1)
	v_add3_u32 v117, v4, v5, 0x7fff
                                        ; implicit-def: $vgpr4
; %bb.1778:                             ;   in Loop: Header=BB12_1711 Depth=2
	s_and_not1_saveexec_b32 s12, s12
; %bb.1779:                             ;   in Loop: Header=BB12_1711 Depth=2
	v_and_b32_e32 v5, 0xffff, v4
	v_or_b32_e32 v6, 0x10000, v4
	s_delay_alu instid0(VALU_DEP_2) | instskip(NEXT) | instid1(VALU_DEP_2)
	v_cmp_eq_u32_e32 vcc_lo, 0, v5
	v_cndmask_b32_e32 v117, v6, v4, vcc_lo
; %bb.1780:                             ;   in Loop: Header=BB12_1711 Depth=2
	s_or_b32 exec_lo, exec_lo, s12
	v_and_b32_e32 v4, 0xffff0000, v48
	s_mov_b32 s12, exec_lo
                                        ; implicit-def: $vgpr98
	s_delay_alu instid0(VALU_DEP_1) | instskip(NEXT) | instid1(VALU_DEP_1)
	v_mul_f32_e32 v4, v119, v4
	v_and_b32_e32 v5, 0x7f800000, v4
	s_delay_alu instid0(VALU_DEP_1)
	v_cmpx_ne_u32_e32 0x7f800000, v5
	s_xor_b32 s12, exec_lo, s12
; %bb.1781:                             ;   in Loop: Header=BB12_1711 Depth=2
	v_bfe_u32 v5, v4, 16, 1
	s_delay_alu instid0(VALU_DEP_1)
	v_add3_u32 v98, v4, v5, 0x7fff
                                        ; implicit-def: $vgpr4
; %bb.1782:                             ;   in Loop: Header=BB12_1711 Depth=2
	s_and_not1_saveexec_b32 s12, s12
; %bb.1783:                             ;   in Loop: Header=BB12_1711 Depth=2
	v_and_b32_e32 v5, 0xffff, v4
	v_or_b32_e32 v6, 0x10000, v4
	s_delay_alu instid0(VALU_DEP_2) | instskip(NEXT) | instid1(VALU_DEP_2)
	v_cmp_eq_u32_e32 vcc_lo, 0, v5
	v_cndmask_b32_e32 v98, v6, v4, vcc_lo
; %bb.1784:                             ;   in Loop: Header=BB12_1711 Depth=2
	s_or_b32 exec_lo, exec_lo, s12
	v_lshlrev_b32_e32 v4, 16, v49
	s_mov_b32 s12, exec_lo
                                        ; implicit-def: $vgpr99
	s_delay_alu instid0(VALU_DEP_1) | instskip(NEXT) | instid1(VALU_DEP_1)
	v_mul_f32_e32 v4, v119, v4
	v_and_b32_e32 v5, 0x7f800000, v4
	s_delay_alu instid0(VALU_DEP_1)
	v_cmpx_ne_u32_e32 0x7f800000, v5
	s_xor_b32 s12, exec_lo, s12
; %bb.1785:                             ;   in Loop: Header=BB12_1711 Depth=2
	v_bfe_u32 v5, v4, 16, 1
	s_delay_alu instid0(VALU_DEP_1)
	v_add3_u32 v99, v4, v5, 0x7fff
                                        ; implicit-def: $vgpr4
; %bb.1786:                             ;   in Loop: Header=BB12_1711 Depth=2
	s_and_not1_saveexec_b32 s12, s12
; %bb.1787:                             ;   in Loop: Header=BB12_1711 Depth=2
	v_and_b32_e32 v5, 0xffff, v4
	v_or_b32_e32 v6, 0x10000, v4
	s_delay_alu instid0(VALU_DEP_2) | instskip(NEXT) | instid1(VALU_DEP_2)
	v_cmp_eq_u32_e32 vcc_lo, 0, v5
	v_cndmask_b32_e32 v99, v6, v4, vcc_lo
; %bb.1788:                             ;   in Loop: Header=BB12_1711 Depth=2
	s_or_b32 exec_lo, exec_lo, s12
	v_and_b32_e32 v4, 0xffff0000, v49
	s_mov_b32 s12, exec_lo
                                        ; implicit-def: $vgpr96
	s_delay_alu instid0(VALU_DEP_1) | instskip(NEXT) | instid1(VALU_DEP_1)
	v_mul_f32_e32 v4, v119, v4
	v_and_b32_e32 v5, 0x7f800000, v4
	s_delay_alu instid0(VALU_DEP_1)
	v_cmpx_ne_u32_e32 0x7f800000, v5
	s_xor_b32 s12, exec_lo, s12
; %bb.1789:                             ;   in Loop: Header=BB12_1711 Depth=2
	v_bfe_u32 v5, v4, 16, 1
	s_delay_alu instid0(VALU_DEP_1)
	v_add3_u32 v96, v4, v5, 0x7fff
                                        ; implicit-def: $vgpr4
; %bb.1790:                             ;   in Loop: Header=BB12_1711 Depth=2
	s_and_not1_saveexec_b32 s12, s12
; %bb.1791:                             ;   in Loop: Header=BB12_1711 Depth=2
	v_and_b32_e32 v5, 0xffff, v4
	v_or_b32_e32 v6, 0x10000, v4
	s_delay_alu instid0(VALU_DEP_2) | instskip(NEXT) | instid1(VALU_DEP_2)
	v_cmp_eq_u32_e32 vcc_lo, 0, v5
	v_cndmask_b32_e32 v96, v6, v4, vcc_lo
; %bb.1792:                             ;   in Loop: Header=BB12_1711 Depth=2
	s_or_b32 exec_lo, exec_lo, s12
	v_lshlrev_b32_e32 v4, 16, v50
	s_mov_b32 s12, exec_lo
                                        ; implicit-def: $vgpr97
	s_delay_alu instid0(VALU_DEP_1) | instskip(NEXT) | instid1(VALU_DEP_1)
	v_mul_f32_e32 v4, v119, v4
	v_and_b32_e32 v5, 0x7f800000, v4
	s_delay_alu instid0(VALU_DEP_1)
	v_cmpx_ne_u32_e32 0x7f800000, v5
	s_xor_b32 s12, exec_lo, s12
; %bb.1793:                             ;   in Loop: Header=BB12_1711 Depth=2
	v_bfe_u32 v5, v4, 16, 1
	s_delay_alu instid0(VALU_DEP_1)
	v_add3_u32 v97, v4, v5, 0x7fff
                                        ; implicit-def: $vgpr4
; %bb.1794:                             ;   in Loop: Header=BB12_1711 Depth=2
	s_and_not1_saveexec_b32 s12, s12
; %bb.1795:                             ;   in Loop: Header=BB12_1711 Depth=2
	v_and_b32_e32 v5, 0xffff, v4
	v_or_b32_e32 v6, 0x10000, v4
	s_delay_alu instid0(VALU_DEP_2) | instskip(NEXT) | instid1(VALU_DEP_2)
	v_cmp_eq_u32_e32 vcc_lo, 0, v5
	v_cndmask_b32_e32 v97, v6, v4, vcc_lo
; %bb.1796:                             ;   in Loop: Header=BB12_1711 Depth=2
	s_or_b32 exec_lo, exec_lo, s12
	v_and_b32_e32 v4, 0xffff0000, v50
	s_mov_b32 s12, exec_lo
                                        ; implicit-def: $vgpr70
	s_delay_alu instid0(VALU_DEP_1) | instskip(NEXT) | instid1(VALU_DEP_1)
	v_mul_f32_e32 v4, v119, v4
	v_and_b32_e32 v5, 0x7f800000, v4
	s_delay_alu instid0(VALU_DEP_1)
	v_cmpx_ne_u32_e32 0x7f800000, v5
	s_xor_b32 s12, exec_lo, s12
; %bb.1797:                             ;   in Loop: Header=BB12_1711 Depth=2
	v_bfe_u32 v5, v4, 16, 1
	s_delay_alu instid0(VALU_DEP_1)
	v_add3_u32 v70, v4, v5, 0x7fff
                                        ; implicit-def: $vgpr4
; %bb.1798:                             ;   in Loop: Header=BB12_1711 Depth=2
	s_and_not1_saveexec_b32 s12, s12
; %bb.1799:                             ;   in Loop: Header=BB12_1711 Depth=2
	v_and_b32_e32 v5, 0xffff, v4
	v_or_b32_e32 v6, 0x10000, v4
	s_delay_alu instid0(VALU_DEP_2) | instskip(NEXT) | instid1(VALU_DEP_2)
	v_cmp_eq_u32_e32 vcc_lo, 0, v5
	v_cndmask_b32_e32 v70, v6, v4, vcc_lo
; %bb.1800:                             ;   in Loop: Header=BB12_1711 Depth=2
	s_or_b32 exec_lo, exec_lo, s12
	v_lshlrev_b32_e32 v4, 16, v51
	s_mov_b32 s12, exec_lo
                                        ; implicit-def: $vgpr71
	s_delay_alu instid0(VALU_DEP_1) | instskip(NEXT) | instid1(VALU_DEP_1)
	v_mul_f32_e32 v4, v119, v4
	v_and_b32_e32 v5, 0x7f800000, v4
	s_delay_alu instid0(VALU_DEP_1)
	v_cmpx_ne_u32_e32 0x7f800000, v5
	s_xor_b32 s12, exec_lo, s12
; %bb.1801:                             ;   in Loop: Header=BB12_1711 Depth=2
	v_bfe_u32 v5, v4, 16, 1
	s_delay_alu instid0(VALU_DEP_1)
	v_add3_u32 v71, v4, v5, 0x7fff
                                        ; implicit-def: $vgpr4
; %bb.1802:                             ;   in Loop: Header=BB12_1711 Depth=2
	s_and_not1_saveexec_b32 s12, s12
; %bb.1803:                             ;   in Loop: Header=BB12_1711 Depth=2
	v_and_b32_e32 v5, 0xffff, v4
	v_or_b32_e32 v6, 0x10000, v4
	s_delay_alu instid0(VALU_DEP_2) | instskip(NEXT) | instid1(VALU_DEP_2)
	v_cmp_eq_u32_e32 vcc_lo, 0, v5
	v_cndmask_b32_e32 v71, v6, v4, vcc_lo
; %bb.1804:                             ;   in Loop: Header=BB12_1711 Depth=2
	s_or_b32 exec_lo, exec_lo, s12
	v_and_b32_e32 v4, 0xffff0000, v51
	s_mov_b32 s12, exec_lo
                                        ; implicit-def: $vgpr68
	s_delay_alu instid0(VALU_DEP_1) | instskip(NEXT) | instid1(VALU_DEP_1)
	v_mul_f32_e32 v4, v119, v4
	v_and_b32_e32 v5, 0x7f800000, v4
	s_delay_alu instid0(VALU_DEP_1)
	v_cmpx_ne_u32_e32 0x7f800000, v5
	s_xor_b32 s12, exec_lo, s12
; %bb.1805:                             ;   in Loop: Header=BB12_1711 Depth=2
	v_bfe_u32 v5, v4, 16, 1
	s_delay_alu instid0(VALU_DEP_1)
	v_add3_u32 v68, v4, v5, 0x7fff
                                        ; implicit-def: $vgpr4
; %bb.1806:                             ;   in Loop: Header=BB12_1711 Depth=2
	s_and_not1_saveexec_b32 s12, s12
; %bb.1807:                             ;   in Loop: Header=BB12_1711 Depth=2
	v_and_b32_e32 v5, 0xffff, v4
	v_or_b32_e32 v6, 0x10000, v4
	s_delay_alu instid0(VALU_DEP_2) | instskip(NEXT) | instid1(VALU_DEP_2)
	v_cmp_eq_u32_e32 vcc_lo, 0, v5
	v_cndmask_b32_e32 v68, v6, v4, vcc_lo
; %bb.1808:                             ;   in Loop: Header=BB12_1711 Depth=2
	s_or_b32 exec_lo, exec_lo, s12
	v_lshlrev_b32_e32 v4, 16, v26
	s_mov_b32 s12, exec_lo
                                        ; implicit-def: $vgpr69
	s_delay_alu instid0(VALU_DEP_1) | instskip(NEXT) | instid1(VALU_DEP_1)
	v_mul_f32_e32 v4, v119, v4
	v_and_b32_e32 v5, 0x7f800000, v4
	s_delay_alu instid0(VALU_DEP_1)
	v_cmpx_ne_u32_e32 0x7f800000, v5
	s_xor_b32 s12, exec_lo, s12
; %bb.1809:                             ;   in Loop: Header=BB12_1711 Depth=2
	v_bfe_u32 v5, v4, 16, 1
	s_delay_alu instid0(VALU_DEP_1)
	v_add3_u32 v69, v4, v5, 0x7fff
                                        ; implicit-def: $vgpr4
; %bb.1810:                             ;   in Loop: Header=BB12_1711 Depth=2
	s_and_not1_saveexec_b32 s12, s12
; %bb.1811:                             ;   in Loop: Header=BB12_1711 Depth=2
	v_and_b32_e32 v5, 0xffff, v4
	v_or_b32_e32 v6, 0x10000, v4
	s_delay_alu instid0(VALU_DEP_2) | instskip(NEXT) | instid1(VALU_DEP_2)
	v_cmp_eq_u32_e32 vcc_lo, 0, v5
	v_cndmask_b32_e32 v69, v6, v4, vcc_lo
; %bb.1812:                             ;   in Loop: Header=BB12_1711 Depth=2
	s_or_b32 exec_lo, exec_lo, s12
	v_and_b32_e32 v4, 0xffff0000, v26
	s_mov_b32 s12, exec_lo
                                        ; implicit-def: $vgpr50
	s_delay_alu instid0(VALU_DEP_1) | instskip(NEXT) | instid1(VALU_DEP_1)
	v_mul_f32_e32 v4, v119, v4
	v_and_b32_e32 v5, 0x7f800000, v4
	s_delay_alu instid0(VALU_DEP_1)
	v_cmpx_ne_u32_e32 0x7f800000, v5
	s_xor_b32 s12, exec_lo, s12
; %bb.1813:                             ;   in Loop: Header=BB12_1711 Depth=2
	v_bfe_u32 v5, v4, 16, 1
	s_delay_alu instid0(VALU_DEP_1)
	v_add3_u32 v50, v4, v5, 0x7fff
                                        ; implicit-def: $vgpr4
; %bb.1814:                             ;   in Loop: Header=BB12_1711 Depth=2
	s_and_not1_saveexec_b32 s12, s12
; %bb.1815:                             ;   in Loop: Header=BB12_1711 Depth=2
	v_and_b32_e32 v5, 0xffff, v4
	v_or_b32_e32 v6, 0x10000, v4
	s_delay_alu instid0(VALU_DEP_2) | instskip(NEXT) | instid1(VALU_DEP_2)
	v_cmp_eq_u32_e32 vcc_lo, 0, v5
	v_cndmask_b32_e32 v50, v6, v4, vcc_lo
; %bb.1816:                             ;   in Loop: Header=BB12_1711 Depth=2
	s_or_b32 exec_lo, exec_lo, s12
	v_lshlrev_b32_e32 v4, 16, v27
	s_mov_b32 s12, exec_lo
                                        ; implicit-def: $vgpr51
	s_delay_alu instid0(VALU_DEP_1) | instskip(NEXT) | instid1(VALU_DEP_1)
	v_mul_f32_e32 v4, v119, v4
	v_and_b32_e32 v5, 0x7f800000, v4
	s_delay_alu instid0(VALU_DEP_1)
	v_cmpx_ne_u32_e32 0x7f800000, v5
	s_xor_b32 s12, exec_lo, s12
; %bb.1817:                             ;   in Loop: Header=BB12_1711 Depth=2
	v_bfe_u32 v5, v4, 16, 1
	s_delay_alu instid0(VALU_DEP_1)
	v_add3_u32 v51, v4, v5, 0x7fff
                                        ; implicit-def: $vgpr4
; %bb.1818:                             ;   in Loop: Header=BB12_1711 Depth=2
	s_and_not1_saveexec_b32 s12, s12
; %bb.1819:                             ;   in Loop: Header=BB12_1711 Depth=2
	v_and_b32_e32 v5, 0xffff, v4
	v_or_b32_e32 v6, 0x10000, v4
	s_delay_alu instid0(VALU_DEP_2) | instskip(NEXT) | instid1(VALU_DEP_2)
	v_cmp_eq_u32_e32 vcc_lo, 0, v5
	v_cndmask_b32_e32 v51, v6, v4, vcc_lo
; %bb.1820:                             ;   in Loop: Header=BB12_1711 Depth=2
	s_or_b32 exec_lo, exec_lo, s12
	v_and_b32_e32 v4, 0xffff0000, v27
	s_mov_b32 s12, exec_lo
                                        ; implicit-def: $vgpr48
	s_delay_alu instid0(VALU_DEP_1) | instskip(NEXT) | instid1(VALU_DEP_1)
	v_mul_f32_e32 v4, v119, v4
	v_and_b32_e32 v5, 0x7f800000, v4
	s_delay_alu instid0(VALU_DEP_1)
	v_cmpx_ne_u32_e32 0x7f800000, v5
	s_xor_b32 s12, exec_lo, s12
; %bb.1821:                             ;   in Loop: Header=BB12_1711 Depth=2
	v_bfe_u32 v5, v4, 16, 1
	s_delay_alu instid0(VALU_DEP_1)
	v_add3_u32 v48, v4, v5, 0x7fff
                                        ; implicit-def: $vgpr4
; %bb.1822:                             ;   in Loop: Header=BB12_1711 Depth=2
	s_and_not1_saveexec_b32 s12, s12
; %bb.1823:                             ;   in Loop: Header=BB12_1711 Depth=2
	v_and_b32_e32 v5, 0xffff, v4
	v_or_b32_e32 v6, 0x10000, v4
	s_delay_alu instid0(VALU_DEP_2) | instskip(NEXT) | instid1(VALU_DEP_2)
	v_cmp_eq_u32_e32 vcc_lo, 0, v5
	v_cndmask_b32_e32 v48, v6, v4, vcc_lo
; %bb.1824:                             ;   in Loop: Header=BB12_1711 Depth=2
	s_or_b32 exec_lo, exec_lo, s12
	v_lshlrev_b32_e32 v4, 16, v28
	s_mov_b32 s12, exec_lo
                                        ; implicit-def: $vgpr49
	s_delay_alu instid0(VALU_DEP_1) | instskip(NEXT) | instid1(VALU_DEP_1)
	v_mul_f32_e32 v4, v119, v4
	v_and_b32_e32 v5, 0x7f800000, v4
	s_delay_alu instid0(VALU_DEP_1)
	v_cmpx_ne_u32_e32 0x7f800000, v5
	s_xor_b32 s12, exec_lo, s12
; %bb.1825:                             ;   in Loop: Header=BB12_1711 Depth=2
	v_bfe_u32 v5, v4, 16, 1
	s_delay_alu instid0(VALU_DEP_1)
	v_add3_u32 v49, v4, v5, 0x7fff
                                        ; implicit-def: $vgpr4
; %bb.1826:                             ;   in Loop: Header=BB12_1711 Depth=2
	s_and_not1_saveexec_b32 s12, s12
; %bb.1827:                             ;   in Loop: Header=BB12_1711 Depth=2
	v_and_b32_e32 v5, 0xffff, v4
	v_or_b32_e32 v6, 0x10000, v4
	s_delay_alu instid0(VALU_DEP_2) | instskip(NEXT) | instid1(VALU_DEP_2)
	v_cmp_eq_u32_e32 vcc_lo, 0, v5
	v_cndmask_b32_e32 v49, v6, v4, vcc_lo
; %bb.1828:                             ;   in Loop: Header=BB12_1711 Depth=2
	s_or_b32 exec_lo, exec_lo, s12
	v_and_b32_e32 v4, 0xffff0000, v28
	s_mov_b32 s12, exec_lo
                                        ; implicit-def: $vgpr27
	s_delay_alu instid0(VALU_DEP_1) | instskip(NEXT) | instid1(VALU_DEP_1)
	v_mul_f32_e32 v4, v119, v4
	v_and_b32_e32 v5, 0x7f800000, v4
	s_delay_alu instid0(VALU_DEP_1)
	v_cmpx_ne_u32_e32 0x7f800000, v5
	s_xor_b32 s12, exec_lo, s12
; %bb.1829:                             ;   in Loop: Header=BB12_1711 Depth=2
	v_bfe_u32 v5, v4, 16, 1
	s_delay_alu instid0(VALU_DEP_1)
	v_add3_u32 v27, v4, v5, 0x7fff
                                        ; implicit-def: $vgpr4
; %bb.1830:                             ;   in Loop: Header=BB12_1711 Depth=2
	s_and_not1_saveexec_b32 s12, s12
; %bb.1831:                             ;   in Loop: Header=BB12_1711 Depth=2
	v_and_b32_e32 v5, 0xffff, v4
	v_or_b32_e32 v6, 0x10000, v4
	s_delay_alu instid0(VALU_DEP_2) | instskip(NEXT) | instid1(VALU_DEP_2)
	v_cmp_eq_u32_e32 vcc_lo, 0, v5
	v_cndmask_b32_e32 v27, v6, v4, vcc_lo
; %bb.1832:                             ;   in Loop: Header=BB12_1711 Depth=2
	s_or_b32 exec_lo, exec_lo, s12
	v_lshlrev_b32_e32 v4, 16, v29
	s_mov_b32 s12, exec_lo
                                        ; implicit-def: $vgpr28
	s_delay_alu instid0(VALU_DEP_1) | instskip(NEXT) | instid1(VALU_DEP_1)
	v_mul_f32_e32 v4, v119, v4
	v_and_b32_e32 v5, 0x7f800000, v4
	s_delay_alu instid0(VALU_DEP_1)
	v_cmpx_ne_u32_e32 0x7f800000, v5
	s_xor_b32 s12, exec_lo, s12
; %bb.1833:                             ;   in Loop: Header=BB12_1711 Depth=2
	v_bfe_u32 v5, v4, 16, 1
	s_delay_alu instid0(VALU_DEP_1)
	v_add3_u32 v28, v4, v5, 0x7fff
                                        ; implicit-def: $vgpr4
; %bb.1834:                             ;   in Loop: Header=BB12_1711 Depth=2
	s_and_not1_saveexec_b32 s12, s12
; %bb.1835:                             ;   in Loop: Header=BB12_1711 Depth=2
	v_and_b32_e32 v5, 0xffff, v4
	v_or_b32_e32 v6, 0x10000, v4
	s_delay_alu instid0(VALU_DEP_2) | instskip(NEXT) | instid1(VALU_DEP_2)
	v_cmp_eq_u32_e32 vcc_lo, 0, v5
	v_cndmask_b32_e32 v28, v6, v4, vcc_lo
; %bb.1836:                             ;   in Loop: Header=BB12_1711 Depth=2
	s_or_b32 exec_lo, exec_lo, s12
	v_and_b32_e32 v4, 0xffff0000, v29
	s_mov_b32 s12, exec_lo
                                        ; implicit-def: $vgpr26
	s_delay_alu instid0(VALU_DEP_1) | instskip(NEXT) | instid1(VALU_DEP_1)
	v_mul_f32_e32 v4, v119, v4
	v_and_b32_e32 v5, 0x7f800000, v4
	s_delay_alu instid0(VALU_DEP_1)
	v_cmpx_ne_u32_e32 0x7f800000, v5
	s_xor_b32 s12, exec_lo, s12
; %bb.1837:                             ;   in Loop: Header=BB12_1711 Depth=2
	v_bfe_u32 v5, v4, 16, 1
	s_delay_alu instid0(VALU_DEP_1)
	v_add3_u32 v26, v4, v5, 0x7fff
                                        ; implicit-def: $vgpr4
; %bb.1838:                             ;   in Loop: Header=BB12_1711 Depth=2
	s_and_not1_saveexec_b32 s12, s12
; %bb.1839:                             ;   in Loop: Header=BB12_1711 Depth=2
	v_and_b32_e32 v5, 0xffff, v4
	v_or_b32_e32 v6, 0x10000, v4
	s_delay_alu instid0(VALU_DEP_2) | instskip(NEXT) | instid1(VALU_DEP_2)
	v_cmp_eq_u32_e32 vcc_lo, 0, v5
	v_cndmask_b32_e32 v26, v6, v4, vcc_lo
; %bb.1840:                             ;   in Loop: Header=BB12_1711 Depth=2
	s_or_b32 exec_lo, exec_lo, s12
	v_and_b32_e32 v0, 0xffff0000, v0
	v_lshlrev_b32_e32 v4, 16, v22
	s_delay_alu instid0(VALU_DEP_1) | instskip(NEXT) | instid1(VALU_DEP_1)
	v_add_f32_e32 v4, v4, v0
	v_and_b32_e32 v0, 0x7f800000, v4
	s_delay_alu instid0(VALU_DEP_1) | instskip(SKIP_1) | instid1(SALU_CYCLE_1)
	v_cmp_ne_u32_e32 vcc_lo, 0x7f800000, v0
                                        ; implicit-def: $vgpr0
	s_and_saveexec_b32 s12, vcc_lo
	s_xor_b32 s12, exec_lo, s12
; %bb.1841:                             ;   in Loop: Header=BB12_1711 Depth=2
	v_bfe_u32 v0, v4, 16, 1
	s_delay_alu instid0(VALU_DEP_1)
	v_add3_u32 v0, v4, v0, 0x7fff
                                        ; implicit-def: $vgpr4
; %bb.1842:                             ;   in Loop: Header=BB12_1711 Depth=2
	s_and_not1_saveexec_b32 s12, s12
; %bb.1843:                             ;   in Loop: Header=BB12_1711 Depth=2
	v_and_b32_e32 v0, 0xffff, v4
	v_or_b32_e32 v5, 0x10000, v4
	s_delay_alu instid0(VALU_DEP_2) | instskip(NEXT) | instid1(VALU_DEP_2)
	v_cmp_eq_u32_e32 vcc_lo, 0, v0
	v_cndmask_b32_e32 v0, v5, v4, vcc_lo
; %bb.1844:                             ;   in Loop: Header=BB12_1711 Depth=2
	s_or_b32 exec_lo, exec_lo, s12
	v_and_b32_e32 v4, 0xffff0000, v22
	v_and_b32_e32 v1, 0xffff0000, v1
	s_delay_alu instid0(VALU_DEP_1) | instskip(NEXT) | instid1(VALU_DEP_1)
	v_add_f32_e32 v4, v4, v1
	v_and_b32_e32 v1, 0x7f800000, v4
	s_delay_alu instid0(VALU_DEP_1) | instskip(SKIP_1) | instid1(SALU_CYCLE_1)
	v_cmp_ne_u32_e32 vcc_lo, 0x7f800000, v1
                                        ; implicit-def: $vgpr1
	s_and_saveexec_b32 s12, vcc_lo
	s_xor_b32 s12, exec_lo, s12
; %bb.1845:                             ;   in Loop: Header=BB12_1711 Depth=2
	v_bfe_u32 v1, v4, 16, 1
	s_delay_alu instid0(VALU_DEP_1)
	v_add3_u32 v1, v4, v1, 0x7fff
                                        ; implicit-def: $vgpr4
; %bb.1846:                             ;   in Loop: Header=BB12_1711 Depth=2
	s_and_not1_saveexec_b32 s12, s12
; %bb.1847:                             ;   in Loop: Header=BB12_1711 Depth=2
	v_and_b32_e32 v1, 0xffff, v4
	v_or_b32_e32 v5, 0x10000, v4
	s_delay_alu instid0(VALU_DEP_2) | instskip(NEXT) | instid1(VALU_DEP_2)
	v_cmp_eq_u32_e32 vcc_lo, 0, v1
	v_cndmask_b32_e32 v1, v5, v4, vcc_lo
; %bb.1848:                             ;   in Loop: Header=BB12_1711 Depth=2
	s_or_b32 exec_lo, exec_lo, s12
	v_and_b32_e32 v4, 0xffff0000, v95
	v_lshlrev_b32_e32 v5, 16, v23
	s_mov_b32 s12, exec_lo
                                        ; implicit-def: $vgpr29
	s_delay_alu instid0(VALU_DEP_1) | instskip(NEXT) | instid1(VALU_DEP_1)
	v_add_f32_e32 v4, v5, v4
	v_and_b32_e32 v5, 0x7f800000, v4
	s_delay_alu instid0(VALU_DEP_1)
	v_cmpx_ne_u32_e32 0x7f800000, v5
	s_xor_b32 s12, exec_lo, s12
; %bb.1849:                             ;   in Loop: Header=BB12_1711 Depth=2
	v_bfe_u32 v5, v4, 16, 1
	s_delay_alu instid0(VALU_DEP_1)
	v_add3_u32 v29, v4, v5, 0x7fff
                                        ; implicit-def: $vgpr4
; %bb.1850:                             ;   in Loop: Header=BB12_1711 Depth=2
	s_and_not1_saveexec_b32 s12, s12
; %bb.1851:                             ;   in Loop: Header=BB12_1711 Depth=2
	v_and_b32_e32 v5, 0xffff, v4
	v_or_b32_e32 v6, 0x10000, v4
	s_delay_alu instid0(VALU_DEP_2) | instskip(NEXT) | instid1(VALU_DEP_2)
	v_cmp_eq_u32_e32 vcc_lo, 0, v5
	v_cndmask_b32_e32 v29, v6, v4, vcc_lo
; %bb.1852:                             ;   in Loop: Header=BB12_1711 Depth=2
	s_or_b32 exec_lo, exec_lo, s12
	v_and_b32_e32 v4, 0xffff0000, v23
	v_and_b32_e32 v5, 0xffff0000, v126
	s_mov_b32 s12, exec_lo
                                        ; implicit-def: $vgpr95
	s_delay_alu instid0(VALU_DEP_1) | instskip(NEXT) | instid1(VALU_DEP_1)
	v_add_f32_e32 v4, v4, v5
	v_and_b32_e32 v5, 0x7f800000, v4
	s_delay_alu instid0(VALU_DEP_1)
	v_cmpx_ne_u32_e32 0x7f800000, v5
	s_xor_b32 s12, exec_lo, s12
; %bb.1853:                             ;   in Loop: Header=BB12_1711 Depth=2
	v_bfe_u32 v5, v4, 16, 1
	s_delay_alu instid0(VALU_DEP_1)
	v_add3_u32 v95, v4, v5, 0x7fff
                                        ; implicit-def: $vgpr4
; %bb.1854:                             ;   in Loop: Header=BB12_1711 Depth=2
	s_and_not1_saveexec_b32 s12, s12
; %bb.1855:                             ;   in Loop: Header=BB12_1711 Depth=2
	v_and_b32_e32 v5, 0xffff, v4
	v_or_b32_e32 v6, 0x10000, v4
	s_delay_alu instid0(VALU_DEP_2) | instskip(NEXT) | instid1(VALU_DEP_2)
	v_cmp_eq_u32_e32 vcc_lo, 0, v5
	v_cndmask_b32_e32 v95, v6, v4, vcc_lo
; %bb.1856:                             ;   in Loop: Header=BB12_1711 Depth=2
	s_or_b32 exec_lo, exec_lo, s12
	v_and_b32_e32 v4, 0xffff0000, v94
	v_lshlrev_b32_e32 v5, 16, v24
	s_mov_b32 s12, exec_lo
                                        ; implicit-def: $vgpr94
	s_delay_alu instid0(VALU_DEP_1) | instskip(NEXT) | instid1(VALU_DEP_1)
	v_add_f32_e32 v4, v5, v4
	v_and_b32_e32 v5, 0x7f800000, v4
	s_delay_alu instid0(VALU_DEP_1)
	v_cmpx_ne_u32_e32 0x7f800000, v5
	s_xor_b32 s12, exec_lo, s12
; %bb.1857:                             ;   in Loop: Header=BB12_1711 Depth=2
	v_bfe_u32 v5, v4, 16, 1
	s_delay_alu instid0(VALU_DEP_1)
	v_add3_u32 v94, v4, v5, 0x7fff
                                        ; implicit-def: $vgpr4
; %bb.1858:                             ;   in Loop: Header=BB12_1711 Depth=2
	s_and_not1_saveexec_b32 s12, s12
; %bb.1859:                             ;   in Loop: Header=BB12_1711 Depth=2
	v_and_b32_e32 v5, 0xffff, v4
	v_or_b32_e32 v6, 0x10000, v4
	s_delay_alu instid0(VALU_DEP_2) | instskip(NEXT) | instid1(VALU_DEP_2)
	v_cmp_eq_u32_e32 vcc_lo, 0, v5
	v_cndmask_b32_e32 v94, v6, v4, vcc_lo
; %bb.1860:                             ;   in Loop: Header=BB12_1711 Depth=2
	s_or_b32 exec_lo, exec_lo, s12
	v_and_b32_e32 v4, 0xffff0000, v24
	v_and_b32_e32 v5, 0xffff0000, v60
	s_mov_b32 s12, exec_lo
                                        ; implicit-def: $vgpr60
	s_delay_alu instid0(VALU_DEP_1) | instskip(NEXT) | instid1(VALU_DEP_1)
	v_add_f32_e32 v4, v4, v5
	v_and_b32_e32 v5, 0x7f800000, v4
	s_delay_alu instid0(VALU_DEP_1)
	v_cmpx_ne_u32_e32 0x7f800000, v5
	s_xor_b32 s12, exec_lo, s12
; %bb.1861:                             ;   in Loop: Header=BB12_1711 Depth=2
	v_bfe_u32 v5, v4, 16, 1
	s_delay_alu instid0(VALU_DEP_1)
	v_add3_u32 v60, v4, v5, 0x7fff
                                        ; implicit-def: $vgpr4
; %bb.1862:                             ;   in Loop: Header=BB12_1711 Depth=2
	s_and_not1_saveexec_b32 s12, s12
; %bb.1863:                             ;   in Loop: Header=BB12_1711 Depth=2
	v_and_b32_e32 v5, 0xffff, v4
	v_or_b32_e32 v6, 0x10000, v4
	s_delay_alu instid0(VALU_DEP_2) | instskip(NEXT) | instid1(VALU_DEP_2)
	v_cmp_eq_u32_e32 vcc_lo, 0, v5
	v_cndmask_b32_e32 v60, v6, v4, vcc_lo
; %bb.1864:                             ;   in Loop: Header=BB12_1711 Depth=2
	s_or_b32 exec_lo, exec_lo, s12
	v_and_b32_e32 v4, 0xffff0000, v125
	v_lshlrev_b32_e32 v5, 16, v25
	s_mov_b32 s12, exec_lo
                                        ; implicit-def: $vgpr110
	s_delay_alu instid0(VALU_DEP_1) | instskip(NEXT) | instid1(VALU_DEP_1)
	v_add_f32_e32 v4, v5, v4
	v_and_b32_e32 v5, 0x7f800000, v4
	s_delay_alu instid0(VALU_DEP_1)
	v_cmpx_ne_u32_e32 0x7f800000, v5
	s_xor_b32 s12, exec_lo, s12
; %bb.1865:                             ;   in Loop: Header=BB12_1711 Depth=2
	v_bfe_u32 v5, v4, 16, 1
	s_delay_alu instid0(VALU_DEP_1)
	v_add3_u32 v110, v4, v5, 0x7fff
                                        ; implicit-def: $vgpr4
; %bb.1866:                             ;   in Loop: Header=BB12_1711 Depth=2
	s_and_not1_saveexec_b32 s12, s12
; %bb.1867:                             ;   in Loop: Header=BB12_1711 Depth=2
	v_and_b32_e32 v5, 0xffff, v4
	v_or_b32_e32 v6, 0x10000, v4
	s_delay_alu instid0(VALU_DEP_2) | instskip(NEXT) | instid1(VALU_DEP_2)
	v_cmp_eq_u32_e32 vcc_lo, 0, v5
	v_cndmask_b32_e32 v110, v6, v4, vcc_lo
; %bb.1868:                             ;   in Loop: Header=BB12_1711 Depth=2
	s_or_b32 exec_lo, exec_lo, s12
	v_and_b32_e32 v4, 0xffff0000, v25
	v_and_b32_e32 v5, 0xffff0000, v118
	s_mov_b32 s12, exec_lo
                                        ; implicit-def: $vgpr118
	s_delay_alu instid0(VALU_DEP_1) | instskip(NEXT) | instid1(VALU_DEP_1)
	v_add_f32_e32 v4, v4, v5
	v_and_b32_e32 v5, 0x7f800000, v4
	s_delay_alu instid0(VALU_DEP_1)
	v_cmpx_ne_u32_e32 0x7f800000, v5
	s_xor_b32 s12, exec_lo, s12
; %bb.1869:                             ;   in Loop: Header=BB12_1711 Depth=2
	v_bfe_u32 v5, v4, 16, 1
	s_delay_alu instid0(VALU_DEP_1)
	v_add3_u32 v118, v4, v5, 0x7fff
                                        ; implicit-def: $vgpr4
; %bb.1870:                             ;   in Loop: Header=BB12_1711 Depth=2
	s_and_not1_saveexec_b32 s12, s12
; %bb.1871:                             ;   in Loop: Header=BB12_1711 Depth=2
	v_and_b32_e32 v5, 0xffff, v4
	v_or_b32_e32 v6, 0x10000, v4
	s_delay_alu instid0(VALU_DEP_2) | instskip(NEXT) | instid1(VALU_DEP_2)
	v_cmp_eq_u32_e32 vcc_lo, 0, v5
	v_cndmask_b32_e32 v118, v6, v4, vcc_lo
; %bb.1872:                             ;   in Loop: Header=BB12_1711 Depth=2
	s_or_b32 exec_lo, exec_lo, s12
	v_and_b32_e32 v4, 0xffff0000, v124
	v_lshlrev_b32_e32 v5, 16, v18
	s_mov_b32 s12, exec_lo
                                        ; implicit-def: $vgpr111
	s_delay_alu instid0(VALU_DEP_1) | instskip(NEXT) | instid1(VALU_DEP_1)
	v_add_f32_e32 v4, v5, v4
	v_and_b32_e32 v5, 0x7f800000, v4
	s_delay_alu instid0(VALU_DEP_1)
	v_cmpx_ne_u32_e32 0x7f800000, v5
	s_xor_b32 s12, exec_lo, s12
; %bb.1873:                             ;   in Loop: Header=BB12_1711 Depth=2
	v_bfe_u32 v5, v4, 16, 1
	s_delay_alu instid0(VALU_DEP_1)
	v_add3_u32 v111, v4, v5, 0x7fff
                                        ; implicit-def: $vgpr4
; %bb.1874:                             ;   in Loop: Header=BB12_1711 Depth=2
	s_and_not1_saveexec_b32 s12, s12
; %bb.1875:                             ;   in Loop: Header=BB12_1711 Depth=2
	v_and_b32_e32 v5, 0xffff, v4
	v_or_b32_e32 v6, 0x10000, v4
	s_delay_alu instid0(VALU_DEP_2) | instskip(NEXT) | instid1(VALU_DEP_2)
	v_cmp_eq_u32_e32 vcc_lo, 0, v5
	v_cndmask_b32_e32 v111, v6, v4, vcc_lo
; %bb.1876:                             ;   in Loop: Header=BB12_1711 Depth=2
	s_or_b32 exec_lo, exec_lo, s12
	v_and_b32_e32 v4, 0xffff0000, v18
	v_and_b32_e32 v5, 0xffff0000, v88
	s_mov_b32 s12, exec_lo
                                        ; implicit-def: $vgpr88
	s_delay_alu instid0(VALU_DEP_1) | instskip(NEXT) | instid1(VALU_DEP_1)
	v_add_f32_e32 v4, v4, v5
	v_and_b32_e32 v5, 0x7f800000, v4
	s_delay_alu instid0(VALU_DEP_1)
	v_cmpx_ne_u32_e32 0x7f800000, v5
	s_xor_b32 s12, exec_lo, s12
; %bb.1877:                             ;   in Loop: Header=BB12_1711 Depth=2
	v_bfe_u32 v5, v4, 16, 1
	s_delay_alu instid0(VALU_DEP_1)
	v_add3_u32 v88, v4, v5, 0x7fff
                                        ; implicit-def: $vgpr4
; %bb.1878:                             ;   in Loop: Header=BB12_1711 Depth=2
	s_and_not1_saveexec_b32 s12, s12
; %bb.1879:                             ;   in Loop: Header=BB12_1711 Depth=2
	v_and_b32_e32 v5, 0xffff, v4
	v_or_b32_e32 v6, 0x10000, v4
	s_delay_alu instid0(VALU_DEP_2) | instskip(NEXT) | instid1(VALU_DEP_2)
	v_cmp_eq_u32_e32 vcc_lo, 0, v5
	v_cndmask_b32_e32 v88, v6, v4, vcc_lo
; %bb.1880:                             ;   in Loop: Header=BB12_1711 Depth=2
	s_or_b32 exec_lo, exec_lo, s12
	v_and_b32_e32 v4, 0xffff0000, v89
	v_lshlrev_b32_e32 v5, 16, v19
	s_mov_b32 s12, exec_lo
                                        ; implicit-def: $vgpr89
	s_delay_alu instid0(VALU_DEP_1) | instskip(NEXT) | instid1(VALU_DEP_1)
	v_add_f32_e32 v4, v5, v4
	v_and_b32_e32 v5, 0x7f800000, v4
	s_delay_alu instid0(VALU_DEP_1)
	v_cmpx_ne_u32_e32 0x7f800000, v5
	s_xor_b32 s12, exec_lo, s12
; %bb.1881:                             ;   in Loop: Header=BB12_1711 Depth=2
	v_bfe_u32 v5, v4, 16, 1
	s_delay_alu instid0(VALU_DEP_1)
	v_add3_u32 v89, v4, v5, 0x7fff
                                        ; implicit-def: $vgpr4
; %bb.1882:                             ;   in Loop: Header=BB12_1711 Depth=2
	s_and_not1_saveexec_b32 s12, s12
; %bb.1883:                             ;   in Loop: Header=BB12_1711 Depth=2
	v_and_b32_e32 v5, 0xffff, v4
	v_or_b32_e32 v6, 0x10000, v4
	s_delay_alu instid0(VALU_DEP_2) | instskip(NEXT) | instid1(VALU_DEP_2)
	v_cmp_eq_u32_e32 vcc_lo, 0, v5
	v_cndmask_b32_e32 v89, v6, v4, vcc_lo
; %bb.1884:                             ;   in Loop: Header=BB12_1711 Depth=2
	s_or_b32 exec_lo, exec_lo, s12
	v_and_b32_e32 v4, 0xffff0000, v19
	v_and_b32_e32 v5, 0xffff0000, v45
	s_mov_b32 s12, exec_lo
                                        ; implicit-def: $vgpr45
	s_delay_alu instid0(VALU_DEP_1) | instskip(NEXT) | instid1(VALU_DEP_1)
	v_add_f32_e32 v4, v4, v5
	v_and_b32_e32 v5, 0x7f800000, v4
	s_delay_alu instid0(VALU_DEP_1)
	v_cmpx_ne_u32_e32 0x7f800000, v5
	s_xor_b32 s12, exec_lo, s12
; %bb.1885:                             ;   in Loop: Header=BB12_1711 Depth=2
	v_bfe_u32 v5, v4, 16, 1
	s_delay_alu instid0(VALU_DEP_1)
	v_add3_u32 v45, v4, v5, 0x7fff
                                        ; implicit-def: $vgpr4
; %bb.1886:                             ;   in Loop: Header=BB12_1711 Depth=2
	s_and_not1_saveexec_b32 s12, s12
; %bb.1887:                             ;   in Loop: Header=BB12_1711 Depth=2
	v_and_b32_e32 v5, 0xffff, v4
	v_or_b32_e32 v6, 0x10000, v4
	s_delay_alu instid0(VALU_DEP_2) | instskip(NEXT) | instid1(VALU_DEP_2)
	v_cmp_eq_u32_e32 vcc_lo, 0, v5
	v_cndmask_b32_e32 v45, v6, v4, vcc_lo
; %bb.1888:                             ;   in Loop: Header=BB12_1711 Depth=2
	s_or_b32 exec_lo, exec_lo, s12
	v_and_b32_e32 v4, 0xffff0000, v31
	v_lshlrev_b32_e32 v5, 16, v20
	s_mov_b32 s12, exec_lo
                                        ; implicit-def: $vgpr31
	s_delay_alu instid0(VALU_DEP_1) | instskip(NEXT) | instid1(VALU_DEP_1)
	v_add_f32_e32 v4, v5, v4
	v_and_b32_e32 v5, 0x7f800000, v4
	s_delay_alu instid0(VALU_DEP_1)
	v_cmpx_ne_u32_e32 0x7f800000, v5
	s_xor_b32 s12, exec_lo, s12
; %bb.1889:                             ;   in Loop: Header=BB12_1711 Depth=2
	v_bfe_u32 v5, v4, 16, 1
	s_delay_alu instid0(VALU_DEP_1)
	v_add3_u32 v31, v4, v5, 0x7fff
                                        ; implicit-def: $vgpr4
; %bb.1890:                             ;   in Loop: Header=BB12_1711 Depth=2
	s_and_not1_saveexec_b32 s12, s12
; %bb.1891:                             ;   in Loop: Header=BB12_1711 Depth=2
	v_and_b32_e32 v5, 0xffff, v4
	v_or_b32_e32 v6, 0x10000, v4
	s_delay_alu instid0(VALU_DEP_2) | instskip(NEXT) | instid1(VALU_DEP_2)
	v_cmp_eq_u32_e32 vcc_lo, 0, v5
	v_cndmask_b32_e32 v31, v6, v4, vcc_lo
; %bb.1892:                             ;   in Loop: Header=BB12_1711 Depth=2
	s_or_b32 exec_lo, exec_lo, s12
	v_and_b32_e32 v4, 0xffff0000, v20
	v_and_b32_e32 v5, 0xffff0000, v43
	s_mov_b32 s12, exec_lo
                                        ; implicit-def: $vgpr43
	s_delay_alu instid0(VALU_DEP_1) | instskip(NEXT) | instid1(VALU_DEP_1)
	v_add_f32_e32 v4, v4, v5
	v_and_b32_e32 v5, 0x7f800000, v4
	s_delay_alu instid0(VALU_DEP_1)
	v_cmpx_ne_u32_e32 0x7f800000, v5
	s_xor_b32 s12, exec_lo, s12
; %bb.1893:                             ;   in Loop: Header=BB12_1711 Depth=2
	v_bfe_u32 v5, v4, 16, 1
	s_delay_alu instid0(VALU_DEP_1)
	v_add3_u32 v43, v4, v5, 0x7fff
                                        ; implicit-def: $vgpr4
; %bb.1894:                             ;   in Loop: Header=BB12_1711 Depth=2
	s_and_not1_saveexec_b32 s12, s12
; %bb.1895:                             ;   in Loop: Header=BB12_1711 Depth=2
	v_and_b32_e32 v5, 0xffff, v4
	v_or_b32_e32 v6, 0x10000, v4
	s_delay_alu instid0(VALU_DEP_2) | instskip(NEXT) | instid1(VALU_DEP_2)
	v_cmp_eq_u32_e32 vcc_lo, 0, v5
	v_cndmask_b32_e32 v43, v6, v4, vcc_lo
; %bb.1896:                             ;   in Loop: Header=BB12_1711 Depth=2
	s_or_b32 exec_lo, exec_lo, s12
	v_and_b32_e32 v4, 0xffff0000, v44
	v_lshlrev_b32_e32 v5, 16, v21
	s_mov_b32 s12, exec_lo
                                        ; implicit-def: $vgpr44
	s_delay_alu instid0(VALU_DEP_1) | instskip(NEXT) | instid1(VALU_DEP_1)
	v_add_f32_e32 v4, v5, v4
	v_and_b32_e32 v5, 0x7f800000, v4
	s_delay_alu instid0(VALU_DEP_1)
	v_cmpx_ne_u32_e32 0x7f800000, v5
	s_xor_b32 s12, exec_lo, s12
; %bb.1897:                             ;   in Loop: Header=BB12_1711 Depth=2
	v_bfe_u32 v5, v4, 16, 1
	s_delay_alu instid0(VALU_DEP_1)
	v_add3_u32 v44, v4, v5, 0x7fff
                                        ; implicit-def: $vgpr4
; %bb.1898:                             ;   in Loop: Header=BB12_1711 Depth=2
	s_and_not1_saveexec_b32 s12, s12
; %bb.1899:                             ;   in Loop: Header=BB12_1711 Depth=2
	v_and_b32_e32 v5, 0xffff, v4
	v_or_b32_e32 v6, 0x10000, v4
	s_delay_alu instid0(VALU_DEP_2) | instskip(NEXT) | instid1(VALU_DEP_2)
	v_cmp_eq_u32_e32 vcc_lo, 0, v5
	v_cndmask_b32_e32 v44, v6, v4, vcc_lo
; %bb.1900:                             ;   in Loop: Header=BB12_1711 Depth=2
	s_or_b32 exec_lo, exec_lo, s12
	v_and_b32_e32 v4, 0xffff0000, v21
	v_and_b32_e32 v5, 0xffff0000, v116
	s_delay_alu instid0(VALU_DEP_1) | instskip(NEXT) | instid1(VALU_DEP_1)
	v_add_f32_e32 v5, v4, v5
	v_and_b32_e32 v4, 0x7f800000, v5
	s_delay_alu instid0(VALU_DEP_1) | instskip(SKIP_1) | instid1(SALU_CYCLE_1)
	v_cmp_ne_u32_e32 vcc_lo, 0x7f800000, v4
                                        ; implicit-def: $vgpr4
	s_and_saveexec_b32 s12, vcc_lo
	s_xor_b32 s12, exec_lo, s12
; %bb.1901:                             ;   in Loop: Header=BB12_1711 Depth=2
	v_bfe_u32 v4, v5, 16, 1
	s_delay_alu instid0(VALU_DEP_1)
	v_add3_u32 v4, v5, v4, 0x7fff
                                        ; implicit-def: $vgpr5
; %bb.1902:                             ;   in Loop: Header=BB12_1711 Depth=2
	s_and_not1_saveexec_b32 s12, s12
; %bb.1903:                             ;   in Loop: Header=BB12_1711 Depth=2
	v_and_b32_e32 v4, 0xffff, v5
	v_or_b32_e32 v6, 0x10000, v5
	s_delay_alu instid0(VALU_DEP_2) | instskip(NEXT) | instid1(VALU_DEP_2)
	v_cmp_eq_u32_e32 vcc_lo, 0, v4
	v_cndmask_b32_e32 v4, v6, v5, vcc_lo
; %bb.1904:                             ;   in Loop: Header=BB12_1711 Depth=2
	s_or_b32 exec_lo, exec_lo, s12
	v_and_b32_e32 v5, 0xffff0000, v117
	v_lshlrev_b32_e32 v6, 16, v14
	s_delay_alu instid0(VALU_DEP_1) | instskip(NEXT) | instid1(VALU_DEP_1)
	v_add_f32_e32 v6, v6, v5
	v_and_b32_e32 v5, 0x7f800000, v6
	s_delay_alu instid0(VALU_DEP_1) | instskip(SKIP_1) | instid1(SALU_CYCLE_1)
	v_cmp_ne_u32_e32 vcc_lo, 0x7f800000, v5
                                        ; implicit-def: $vgpr5
	s_and_saveexec_b32 s12, vcc_lo
	s_xor_b32 s12, exec_lo, s12
; %bb.1905:                             ;   in Loop: Header=BB12_1711 Depth=2
	v_bfe_u32 v5, v6, 16, 1
	s_delay_alu instid0(VALU_DEP_1)
	v_add3_u32 v5, v6, v5, 0x7fff
                                        ; implicit-def: $vgpr6
; %bb.1906:                             ;   in Loop: Header=BB12_1711 Depth=2
	s_and_not1_saveexec_b32 s12, s12
; %bb.1907:                             ;   in Loop: Header=BB12_1711 Depth=2
	v_and_b32_e32 v5, 0xffff, v6
	v_or_b32_e32 v7, 0x10000, v6
	s_delay_alu instid0(VALU_DEP_2) | instskip(NEXT) | instid1(VALU_DEP_2)
	v_cmp_eq_u32_e32 vcc_lo, 0, v5
	v_cndmask_b32_e32 v5, v7, v6, vcc_lo
; %bb.1908:                             ;   in Loop: Header=BB12_1711 Depth=2
	s_or_b32 exec_lo, exec_lo, s12
	v_and_b32_e32 v6, 0xffff0000, v14
	v_and_b32_e32 v7, 0xffff0000, v98
	s_mov_b32 s12, exec_lo
                                        ; implicit-def: $vgpr98
	s_delay_alu instid0(VALU_DEP_1) | instskip(NEXT) | instid1(VALU_DEP_1)
	v_add_f32_e32 v6, v6, v7
	v_and_b32_e32 v7, 0x7f800000, v6
	s_delay_alu instid0(VALU_DEP_1)
	v_cmpx_ne_u32_e32 0x7f800000, v7
	s_xor_b32 s12, exec_lo, s12
; %bb.1909:                             ;   in Loop: Header=BB12_1711 Depth=2
	v_bfe_u32 v7, v6, 16, 1
	s_delay_alu instid0(VALU_DEP_1)
	v_add3_u32 v98, v6, v7, 0x7fff
                                        ; implicit-def: $vgpr6
; %bb.1910:                             ;   in Loop: Header=BB12_1711 Depth=2
	s_and_not1_saveexec_b32 s12, s12
; %bb.1911:                             ;   in Loop: Header=BB12_1711 Depth=2
	v_and_b32_e32 v7, 0xffff, v6
	v_or_b32_e32 v8, 0x10000, v6
	s_delay_alu instid0(VALU_DEP_2) | instskip(NEXT) | instid1(VALU_DEP_2)
	v_cmp_eq_u32_e32 vcc_lo, 0, v7
	v_cndmask_b32_e32 v98, v8, v6, vcc_lo
; %bb.1912:                             ;   in Loop: Header=BB12_1711 Depth=2
	s_or_b32 exec_lo, exec_lo, s12
	v_and_b32_e32 v6, 0xffff0000, v99
	v_lshlrev_b32_e32 v7, 16, v15
	s_mov_b32 s12, exec_lo
                                        ; implicit-def: $vgpr99
	s_delay_alu instid0(VALU_DEP_1) | instskip(NEXT) | instid1(VALU_DEP_1)
	v_add_f32_e32 v6, v7, v6
	v_and_b32_e32 v7, 0x7f800000, v6
	s_delay_alu instid0(VALU_DEP_1)
	v_cmpx_ne_u32_e32 0x7f800000, v7
	s_xor_b32 s12, exec_lo, s12
; %bb.1913:                             ;   in Loop: Header=BB12_1711 Depth=2
	v_bfe_u32 v7, v6, 16, 1
	s_delay_alu instid0(VALU_DEP_1)
	v_add3_u32 v99, v6, v7, 0x7fff
                                        ; implicit-def: $vgpr6
; %bb.1914:                             ;   in Loop: Header=BB12_1711 Depth=2
	s_and_not1_saveexec_b32 s12, s12
; %bb.1915:                             ;   in Loop: Header=BB12_1711 Depth=2
	v_and_b32_e32 v7, 0xffff, v6
	v_or_b32_e32 v8, 0x10000, v6
	s_delay_alu instid0(VALU_DEP_2) | instskip(NEXT) | instid1(VALU_DEP_2)
	v_cmp_eq_u32_e32 vcc_lo, 0, v7
	v_cndmask_b32_e32 v99, v8, v6, vcc_lo
; %bb.1916:                             ;   in Loop: Header=BB12_1711 Depth=2
	s_or_b32 exec_lo, exec_lo, s12
	v_and_b32_e32 v6, 0xffff0000, v15
	v_and_b32_e32 v7, 0xffff0000, v96
	s_mov_b32 s12, exec_lo
                                        ; implicit-def: $vgpr96
	s_delay_alu instid0(VALU_DEP_1) | instskip(NEXT) | instid1(VALU_DEP_1)
	v_add_f32_e32 v6, v6, v7
	v_and_b32_e32 v7, 0x7f800000, v6
	s_delay_alu instid0(VALU_DEP_1)
	v_cmpx_ne_u32_e32 0x7f800000, v7
	s_xor_b32 s12, exec_lo, s12
; %bb.1917:                             ;   in Loop: Header=BB12_1711 Depth=2
	v_bfe_u32 v7, v6, 16, 1
	s_delay_alu instid0(VALU_DEP_1)
	v_add3_u32 v96, v6, v7, 0x7fff
                                        ; implicit-def: $vgpr6
; %bb.1918:                             ;   in Loop: Header=BB12_1711 Depth=2
	s_and_not1_saveexec_b32 s12, s12
; %bb.1919:                             ;   in Loop: Header=BB12_1711 Depth=2
	v_and_b32_e32 v7, 0xffff, v6
	v_or_b32_e32 v8, 0x10000, v6
	s_delay_alu instid0(VALU_DEP_2) | instskip(NEXT) | instid1(VALU_DEP_2)
	v_cmp_eq_u32_e32 vcc_lo, 0, v7
	v_cndmask_b32_e32 v96, v8, v6, vcc_lo
; %bb.1920:                             ;   in Loop: Header=BB12_1711 Depth=2
	s_or_b32 exec_lo, exec_lo, s12
	v_and_b32_e32 v6, 0xffff0000, v97
	v_lshlrev_b32_e32 v7, 16, v16
	s_mov_b32 s12, exec_lo
                                        ; implicit-def: $vgpr97
	s_delay_alu instid0(VALU_DEP_1) | instskip(NEXT) | instid1(VALU_DEP_1)
	v_add_f32_e32 v6, v7, v6
	v_and_b32_e32 v7, 0x7f800000, v6
	s_delay_alu instid0(VALU_DEP_1)
	v_cmpx_ne_u32_e32 0x7f800000, v7
	s_xor_b32 s12, exec_lo, s12
; %bb.1921:                             ;   in Loop: Header=BB12_1711 Depth=2
	v_bfe_u32 v7, v6, 16, 1
	s_delay_alu instid0(VALU_DEP_1)
	v_add3_u32 v97, v6, v7, 0x7fff
                                        ; implicit-def: $vgpr6
; %bb.1922:                             ;   in Loop: Header=BB12_1711 Depth=2
	s_and_not1_saveexec_b32 s12, s12
; %bb.1923:                             ;   in Loop: Header=BB12_1711 Depth=2
	v_and_b32_e32 v7, 0xffff, v6
	v_or_b32_e32 v8, 0x10000, v6
	s_delay_alu instid0(VALU_DEP_2) | instskip(NEXT) | instid1(VALU_DEP_2)
	v_cmp_eq_u32_e32 vcc_lo, 0, v7
	v_cndmask_b32_e32 v97, v8, v6, vcc_lo
; %bb.1924:                             ;   in Loop: Header=BB12_1711 Depth=2
	s_or_b32 exec_lo, exec_lo, s12
	v_and_b32_e32 v6, 0xffff0000, v16
	v_and_b32_e32 v7, 0xffff0000, v70
	s_mov_b32 s12, exec_lo
                                        ; implicit-def: $vgpr70
	s_delay_alu instid0(VALU_DEP_1) | instskip(NEXT) | instid1(VALU_DEP_1)
	v_add_f32_e32 v6, v6, v7
	v_and_b32_e32 v7, 0x7f800000, v6
	s_delay_alu instid0(VALU_DEP_1)
	v_cmpx_ne_u32_e32 0x7f800000, v7
	s_xor_b32 s12, exec_lo, s12
; %bb.1925:                             ;   in Loop: Header=BB12_1711 Depth=2
	v_bfe_u32 v7, v6, 16, 1
	s_delay_alu instid0(VALU_DEP_1)
	v_add3_u32 v70, v6, v7, 0x7fff
                                        ; implicit-def: $vgpr6
; %bb.1926:                             ;   in Loop: Header=BB12_1711 Depth=2
	s_and_not1_saveexec_b32 s12, s12
; %bb.1927:                             ;   in Loop: Header=BB12_1711 Depth=2
	v_and_b32_e32 v7, 0xffff, v6
	v_or_b32_e32 v8, 0x10000, v6
	s_delay_alu instid0(VALU_DEP_2) | instskip(NEXT) | instid1(VALU_DEP_2)
	v_cmp_eq_u32_e32 vcc_lo, 0, v7
	v_cndmask_b32_e32 v70, v8, v6, vcc_lo
; %bb.1928:                             ;   in Loop: Header=BB12_1711 Depth=2
	s_or_b32 exec_lo, exec_lo, s12
	v_and_b32_e32 v6, 0xffff0000, v71
	v_lshlrev_b32_e32 v7, 16, v17
	s_mov_b32 s12, exec_lo
                                        ; implicit-def: $vgpr71
	s_delay_alu instid0(VALU_DEP_1) | instskip(NEXT) | instid1(VALU_DEP_1)
	v_add_f32_e32 v6, v7, v6
	v_and_b32_e32 v7, 0x7f800000, v6
	s_delay_alu instid0(VALU_DEP_1)
	v_cmpx_ne_u32_e32 0x7f800000, v7
	s_xor_b32 s12, exec_lo, s12
; %bb.1929:                             ;   in Loop: Header=BB12_1711 Depth=2
	v_bfe_u32 v7, v6, 16, 1
	s_delay_alu instid0(VALU_DEP_1)
	v_add3_u32 v71, v6, v7, 0x7fff
                                        ; implicit-def: $vgpr6
; %bb.1930:                             ;   in Loop: Header=BB12_1711 Depth=2
	s_and_not1_saveexec_b32 s12, s12
; %bb.1931:                             ;   in Loop: Header=BB12_1711 Depth=2
	v_and_b32_e32 v7, 0xffff, v6
	v_or_b32_e32 v8, 0x10000, v6
	s_delay_alu instid0(VALU_DEP_2) | instskip(NEXT) | instid1(VALU_DEP_2)
	v_cmp_eq_u32_e32 vcc_lo, 0, v7
	v_cndmask_b32_e32 v71, v8, v6, vcc_lo
; %bb.1932:                             ;   in Loop: Header=BB12_1711 Depth=2
	s_or_b32 exec_lo, exec_lo, s12
	v_and_b32_e32 v6, 0xffff0000, v17
	v_and_b32_e32 v7, 0xffff0000, v68
	s_mov_b32 s12, exec_lo
                                        ; implicit-def: $vgpr68
	s_delay_alu instid0(VALU_DEP_1) | instskip(NEXT) | instid1(VALU_DEP_1)
	v_add_f32_e32 v6, v6, v7
	v_and_b32_e32 v7, 0x7f800000, v6
	s_delay_alu instid0(VALU_DEP_1)
	v_cmpx_ne_u32_e32 0x7f800000, v7
	s_xor_b32 s12, exec_lo, s12
; %bb.1933:                             ;   in Loop: Header=BB12_1711 Depth=2
	v_bfe_u32 v7, v6, 16, 1
	s_delay_alu instid0(VALU_DEP_1)
	v_add3_u32 v68, v6, v7, 0x7fff
                                        ; implicit-def: $vgpr6
; %bb.1934:                             ;   in Loop: Header=BB12_1711 Depth=2
	s_and_not1_saveexec_b32 s12, s12
; %bb.1935:                             ;   in Loop: Header=BB12_1711 Depth=2
	v_and_b32_e32 v7, 0xffff, v6
	v_or_b32_e32 v8, 0x10000, v6
	s_delay_alu instid0(VALU_DEP_2) | instskip(NEXT) | instid1(VALU_DEP_2)
	v_cmp_eq_u32_e32 vcc_lo, 0, v7
	v_cndmask_b32_e32 v68, v8, v6, vcc_lo
; %bb.1936:                             ;   in Loop: Header=BB12_1711 Depth=2
	s_or_b32 exec_lo, exec_lo, s12
	v_and_b32_e32 v6, 0xffff0000, v69
	v_lshlrev_b32_e32 v7, 16, v10
	s_mov_b32 s12, exec_lo
                                        ; implicit-def: $vgpr116
	s_delay_alu instid0(VALU_DEP_1) | instskip(NEXT) | instid1(VALU_DEP_1)
	v_add_f32_e32 v6, v7, v6
	v_and_b32_e32 v7, 0x7f800000, v6
	s_delay_alu instid0(VALU_DEP_1)
	v_cmpx_ne_u32_e32 0x7f800000, v7
	s_xor_b32 s12, exec_lo, s12
; %bb.1937:                             ;   in Loop: Header=BB12_1711 Depth=2
	v_bfe_u32 v7, v6, 16, 1
	s_delay_alu instid0(VALU_DEP_1)
	v_add3_u32 v116, v6, v7, 0x7fff
                                        ; implicit-def: $vgpr6
; %bb.1938:                             ;   in Loop: Header=BB12_1711 Depth=2
	s_and_not1_saveexec_b32 s12, s12
; %bb.1939:                             ;   in Loop: Header=BB12_1711 Depth=2
	v_and_b32_e32 v7, 0xffff, v6
	v_or_b32_e32 v8, 0x10000, v6
	s_delay_alu instid0(VALU_DEP_2) | instskip(NEXT) | instid1(VALU_DEP_2)
	v_cmp_eq_u32_e32 vcc_lo, 0, v7
	v_cndmask_b32_e32 v116, v8, v6, vcc_lo
; %bb.1940:                             ;   in Loop: Header=BB12_1711 Depth=2
	s_or_b32 exec_lo, exec_lo, s12
	v_and_b32_e32 v6, 0xffff0000, v10
	v_and_b32_e32 v7, 0xffff0000, v50
	s_mov_b32 s12, exec_lo
                                        ; implicit-def: $vgpr117
	s_delay_alu instid0(VALU_DEP_1) | instskip(NEXT) | instid1(VALU_DEP_1)
	v_add_f32_e32 v6, v6, v7
	v_and_b32_e32 v7, 0x7f800000, v6
	s_delay_alu instid0(VALU_DEP_1)
	v_cmpx_ne_u32_e32 0x7f800000, v7
	s_xor_b32 s12, exec_lo, s12
; %bb.1941:                             ;   in Loop: Header=BB12_1711 Depth=2
	v_bfe_u32 v7, v6, 16, 1
	s_delay_alu instid0(VALU_DEP_1)
	v_add3_u32 v117, v6, v7, 0x7fff
                                        ; implicit-def: $vgpr6
; %bb.1942:                             ;   in Loop: Header=BB12_1711 Depth=2
	s_and_not1_saveexec_b32 s12, s12
; %bb.1943:                             ;   in Loop: Header=BB12_1711 Depth=2
	v_and_b32_e32 v7, 0xffff, v6
	v_or_b32_e32 v8, 0x10000, v6
	s_delay_alu instid0(VALU_DEP_2) | instskip(NEXT) | instid1(VALU_DEP_2)
	v_cmp_eq_u32_e32 vcc_lo, 0, v7
	v_cndmask_b32_e32 v117, v8, v6, vcc_lo
; %bb.1944:                             ;   in Loop: Header=BB12_1711 Depth=2
	s_or_b32 exec_lo, exec_lo, s12
	v_and_b32_e32 v6, 0xffff0000, v51
	v_lshlrev_b32_e32 v7, 16, v11
	s_mov_b32 s12, exec_lo
                                        ; implicit-def: $vgpr56
	s_delay_alu instid0(VALU_DEP_1) | instskip(NEXT) | instid1(VALU_DEP_1)
	v_add_f32_e32 v6, v7, v6
	v_and_b32_e32 v7, 0x7f800000, v6
	s_delay_alu instid0(VALU_DEP_1)
	v_cmpx_ne_u32_e32 0x7f800000, v7
	s_xor_b32 s12, exec_lo, s12
; %bb.1945:                             ;   in Loop: Header=BB12_1711 Depth=2
	v_bfe_u32 v7, v6, 16, 1
	s_delay_alu instid0(VALU_DEP_1)
	v_add3_u32 v56, v6, v7, 0x7fff
                                        ; implicit-def: $vgpr6
; %bb.1946:                             ;   in Loop: Header=BB12_1711 Depth=2
	s_and_not1_saveexec_b32 s12, s12
; %bb.1947:                             ;   in Loop: Header=BB12_1711 Depth=2
	v_and_b32_e32 v7, 0xffff, v6
	v_or_b32_e32 v8, 0x10000, v6
	s_delay_alu instid0(VALU_DEP_2) | instskip(NEXT) | instid1(VALU_DEP_2)
	v_cmp_eq_u32_e32 vcc_lo, 0, v7
	v_cndmask_b32_e32 v56, v8, v6, vcc_lo
; %bb.1948:                             ;   in Loop: Header=BB12_1711 Depth=2
	s_or_b32 exec_lo, exec_lo, s12
	v_and_b32_e32 v6, 0xffff0000, v11
	v_and_b32_e32 v7, 0xffff0000, v48
	s_mov_b32 s12, exec_lo
                                        ; implicit-def: $vgpr57
	s_delay_alu instid0(VALU_DEP_1) | instskip(NEXT) | instid1(VALU_DEP_1)
	v_add_f32_e32 v6, v6, v7
	v_and_b32_e32 v7, 0x7f800000, v6
	s_delay_alu instid0(VALU_DEP_1)
	v_cmpx_ne_u32_e32 0x7f800000, v7
	s_xor_b32 s12, exec_lo, s12
; %bb.1949:                             ;   in Loop: Header=BB12_1711 Depth=2
	v_bfe_u32 v7, v6, 16, 1
	s_delay_alu instid0(VALU_DEP_1)
	v_add3_u32 v57, v6, v7, 0x7fff
                                        ; implicit-def: $vgpr6
; %bb.1950:                             ;   in Loop: Header=BB12_1711 Depth=2
	s_and_not1_saveexec_b32 s12, s12
; %bb.1951:                             ;   in Loop: Header=BB12_1711 Depth=2
	v_and_b32_e32 v7, 0xffff, v6
	v_or_b32_e32 v8, 0x10000, v6
	s_delay_alu instid0(VALU_DEP_2) | instskip(NEXT) | instid1(VALU_DEP_2)
	v_cmp_eq_u32_e32 vcc_lo, 0, v7
	v_cndmask_b32_e32 v57, v8, v6, vcc_lo
; %bb.1952:                             ;   in Loop: Header=BB12_1711 Depth=2
	s_or_b32 exec_lo, exec_lo, s12
	v_and_b32_e32 v6, 0xffff0000, v49
	v_lshlrev_b32_e32 v7, 16, v12
	s_mov_b32 s12, exec_lo
                                        ; implicit-def: $vgpr58
	s_delay_alu instid0(VALU_DEP_1) | instskip(NEXT) | instid1(VALU_DEP_1)
	v_add_f32_e32 v6, v7, v6
	v_and_b32_e32 v7, 0x7f800000, v6
	s_delay_alu instid0(VALU_DEP_1)
	v_cmpx_ne_u32_e32 0x7f800000, v7
	s_xor_b32 s12, exec_lo, s12
; %bb.1953:                             ;   in Loop: Header=BB12_1711 Depth=2
	v_bfe_u32 v7, v6, 16, 1
	s_delay_alu instid0(VALU_DEP_1)
	v_add3_u32 v58, v6, v7, 0x7fff
                                        ; implicit-def: $vgpr6
; %bb.1954:                             ;   in Loop: Header=BB12_1711 Depth=2
	s_and_not1_saveexec_b32 s12, s12
; %bb.1955:                             ;   in Loop: Header=BB12_1711 Depth=2
	v_and_b32_e32 v7, 0xffff, v6
	v_or_b32_e32 v8, 0x10000, v6
	s_delay_alu instid0(VALU_DEP_2) | instskip(NEXT) | instid1(VALU_DEP_2)
	v_cmp_eq_u32_e32 vcc_lo, 0, v7
	v_cndmask_b32_e32 v58, v8, v6, vcc_lo
; %bb.1956:                             ;   in Loop: Header=BB12_1711 Depth=2
	s_or_b32 exec_lo, exec_lo, s12
	v_and_b32_e32 v6, 0xffff0000, v12
	v_and_b32_e32 v7, 0xffff0000, v27
	s_mov_b32 s12, exec_lo
                                        ; implicit-def: $vgpr59
	s_delay_alu instid0(VALU_DEP_1) | instskip(NEXT) | instid1(VALU_DEP_1)
	v_add_f32_e32 v6, v6, v7
	v_and_b32_e32 v7, 0x7f800000, v6
	s_delay_alu instid0(VALU_DEP_1)
	v_cmpx_ne_u32_e32 0x7f800000, v7
	s_xor_b32 s12, exec_lo, s12
; %bb.1957:                             ;   in Loop: Header=BB12_1711 Depth=2
	v_bfe_u32 v7, v6, 16, 1
	s_delay_alu instid0(VALU_DEP_1)
	v_add3_u32 v59, v6, v7, 0x7fff
                                        ; implicit-def: $vgpr6
; %bb.1958:                             ;   in Loop: Header=BB12_1711 Depth=2
	s_and_not1_saveexec_b32 s12, s12
; %bb.1959:                             ;   in Loop: Header=BB12_1711 Depth=2
	v_and_b32_e32 v7, 0xffff, v6
	v_or_b32_e32 v8, 0x10000, v6
	s_delay_alu instid0(VALU_DEP_2) | instskip(NEXT) | instid1(VALU_DEP_2)
	v_cmp_eq_u32_e32 vcc_lo, 0, v7
	v_cndmask_b32_e32 v59, v8, v6, vcc_lo
; %bb.1960:                             ;   in Loop: Header=BB12_1711 Depth=2
	s_or_b32 exec_lo, exec_lo, s12
	v_and_b32_e32 v6, 0xffff0000, v28
	v_lshlrev_b32_e32 v7, 16, v13
	s_delay_alu instid0(VALU_DEP_1) | instskip(NEXT) | instid1(VALU_DEP_1)
	v_add_f32_e32 v7, v7, v6
	v_and_b32_e32 v6, 0x7f800000, v7
	s_delay_alu instid0(VALU_DEP_1) | instskip(SKIP_1) | instid1(SALU_CYCLE_1)
	v_cmp_ne_u32_e32 vcc_lo, 0x7f800000, v6
                                        ; implicit-def: $vgpr6
	s_and_saveexec_b32 s12, vcc_lo
	s_xor_b32 s12, exec_lo, s12
; %bb.1961:                             ;   in Loop: Header=BB12_1711 Depth=2
	v_bfe_u32 v6, v7, 16, 1
	s_delay_alu instid0(VALU_DEP_1)
	v_add3_u32 v6, v7, v6, 0x7fff
                                        ; implicit-def: $vgpr7
; %bb.1962:                             ;   in Loop: Header=BB12_1711 Depth=2
	s_and_not1_saveexec_b32 s12, s12
; %bb.1963:                             ;   in Loop: Header=BB12_1711 Depth=2
	v_and_b32_e32 v6, 0xffff, v7
	v_or_b32_e32 v8, 0x10000, v7
	s_delay_alu instid0(VALU_DEP_2) | instskip(NEXT) | instid1(VALU_DEP_2)
	v_cmp_eq_u32_e32 vcc_lo, 0, v6
	v_cndmask_b32_e32 v6, v8, v7, vcc_lo
; %bb.1964:                             ;   in Loop: Header=BB12_1711 Depth=2
	s_or_b32 exec_lo, exec_lo, s12
	v_and_b32_e32 v7, 0xffff0000, v13
	v_and_b32_e32 v8, 0xffff0000, v26
	s_delay_alu instid0(VALU_DEP_1) | instskip(NEXT) | instid1(VALU_DEP_1)
	v_add_f32_e32 v8, v7, v8
	v_and_b32_e32 v7, 0x7f800000, v8
	s_delay_alu instid0(VALU_DEP_1) | instskip(SKIP_1) | instid1(SALU_CYCLE_1)
	v_cmp_ne_u32_e32 vcc_lo, 0x7f800000, v7
                                        ; implicit-def: $vgpr7
	s_and_saveexec_b32 s12, vcc_lo
	s_xor_b32 s12, exec_lo, s12
; %bb.1965:                             ;   in Loop: Header=BB12_1711 Depth=2
	v_bfe_u32 v7, v8, 16, 1
	s_delay_alu instid0(VALU_DEP_1)
	v_add3_u32 v7, v8, v7, 0x7fff
                                        ; implicit-def: $vgpr8
; %bb.1966:                             ;   in Loop: Header=BB12_1711 Depth=2
	s_and_not1_saveexec_b32 s12, s12
; %bb.1967:                             ;   in Loop: Header=BB12_1711 Depth=2
	v_and_b32_e32 v7, 0xffff, v8
	v_or_b32_e32 v9, 0x10000, v8
	s_delay_alu instid0(VALU_DEP_2) | instskip(NEXT) | instid1(VALU_DEP_2)
	v_cmp_eq_u32_e32 vcc_lo, 0, v7
	v_cndmask_b32_e32 v7, v9, v8, vcc_lo
; %bb.1968:                             ;   in Loop: Header=BB12_1711 Depth=2
	s_or_b32 exec_lo, exec_lo, s12
	v_dual_lshrrev_b32 v8, 16, v99 :: v_dual_lshrrev_b32 v5, 16, v5
	v_dual_lshrrev_b32 v9, 16, v97 :: v_dual_lshrrev_b32 v26, 16, v71
	v_lshrrev_b32_e32 v27, 16, v89
	s_delay_alu instid0(VALU_DEP_3) | instskip(SKIP_1) | instid1(VALU_DEP_4)
	v_and_or_b32 v49, 0xffff0000, v96, v8
	v_lshrrev_b32_e32 v8, 16, v111
	v_and_or_b32 v50, 0xffff0000, v70, v9
	v_dual_lshrrev_b32 v9, 16, v29 :: v_dual_lshrrev_b32 v0, 16, v0
	v_and_or_b32 v48, 0xffff0000, v98, v5
	v_and_or_b32 v51, 0xffff0000, v68, v26
	;; [unrolled: 1-line block ×3, first 2 shown]
	v_dual_lshrrev_b32 v5, 16, v31 :: v_dual_lshrrev_b32 v8, 16, v44
	v_lshrrev_b32_e32 v26, 16, v94
	v_and_or_b32 v96, 0xffff0000, v1, v0
	v_lshrrev_b32_e32 v0, 16, v110
	s_delay_alu instid0(VALU_DEP_4)
	v_and_or_b32 v70, 0xffff0000, v43, v5
	v_and_or_b32 v71, 0xffff0000, v4, v8
	v_lshrrev_b32_e32 v1, 16, v56
	v_dual_lshrrev_b32 v4, 16, v116 :: v_dual_lshrrev_b32 v5, 16, v58
	v_lshrrev_b32_e32 v6, 16, v6
	v_and_or_b32 v97, 0xffff0000, v95, v9
	v_and_or_b32 v98, 0xffff0000, v60, v26
	v_and_or_b32 v99, 0xffff0000, v118, v0
	v_and_or_b32 v69, 0xffff0000, v45, v27
	v_and_or_b32 v27, 0xffff0000, v57, v1
	v_and_or_b32 v26, 0xffff0000, v117, v4
	v_and_or_b32 v28, 0xffff0000, v59, v5
	v_and_or_b32 v29, 0xffff0000, v7, v6
	s_clause 0x3
	global_store_b128 v[120:121], v[96:99], off th:TH_STORE_NT
	global_store_b128 v[120:121], v[68:71], off offset:512 th:TH_STORE_NT
	global_store_b128 v[120:121], v[48:51], off offset:1024 th:TH_STORE_NT
	;; [unrolled: 1-line block ×3, first 2 shown]
	s_wait_xcnt 0x0
	v_add_nc_u64_e32 v[120:121], v[120:121], v[90:91]
.LBB12_1969:                            ;   in Loop: Header=BB12_1711 Depth=2
	s_or_b32 exec_lo, exec_lo, s13
	v_sub_nc_u32_e32 v42, v42, v62
	v_add_nc_u64_e32 v[2:3], v[2:3], v[90:91]
	v_add_nc_u64_e32 v[122:123], v[122:123], v[90:91]
	s_delay_alu instid0(VALU_DEP_3)
	v_cmp_lt_i32_e64 s12, 0, v42
	s_and_saveexec_b32 s13, s12
	s_cbranch_execz .LBB12_1971
; %bb.1970:                             ;   in Loop: Header=BB12_1711 Depth=2
	s_clause 0x3
	global_load_b128 v[96:99], v[2:3], off th:TH_LOAD_NT
	global_load_b128 v[68:71], v[2:3], off offset:512 th:TH_LOAD_NT
	global_load_b128 v[48:51], v[2:3], off offset:1024 th:TH_LOAD_NT
	;; [unrolled: 1-line block ×3, first 2 shown]
	s_clause 0x3
	global_load_b128 v[22:25], v[122:123], off th:TH_LOAD_NT
	global_load_b128 v[18:21], v[122:123], off offset:512 th:TH_LOAD_NT
	global_load_b128 v[14:17], v[122:123], off offset:1024 th:TH_LOAD_NT
	;; [unrolled: 1-line block ×3, first 2 shown]
	s_wait_xcnt 0x4
	v_add_nc_u64_e32 v[2:3], 0x800, v[2:3]
	s_wait_xcnt 0x0
	v_add_nc_u64_e32 v[122:123], 0x800, v[122:123]
.LBB12_1971:                            ;   in Loop: Header=BB12_1711 Depth=2
	s_or_b32 exec_lo, exec_lo, s13
	s_wait_loadcnt 0x7
	v_lshlrev_b32_e32 v0, 16, v112
	s_delay_alu instid0(VALU_DEP_1) | instskip(NEXT) | instid1(VALU_DEP_1)
	v_mul_f32_e32 v1, v119, v0
	v_and_b32_e32 v0, 0x7f800000, v1
	s_delay_alu instid0(VALU_DEP_1) | instskip(SKIP_1) | instid1(SALU_CYCLE_1)
	v_cmp_ne_u32_e32 vcc_lo, 0x7f800000, v0
                                        ; implicit-def: $vgpr0
	s_and_saveexec_b32 s13, vcc_lo
	s_xor_b32 s13, exec_lo, s13
; %bb.1972:                             ;   in Loop: Header=BB12_1711 Depth=2
	v_bfe_u32 v0, v1, 16, 1
	s_delay_alu instid0(VALU_DEP_1)
	v_add3_u32 v0, v1, v0, 0x7fff
                                        ; implicit-def: $vgpr1
; %bb.1973:                             ;   in Loop: Header=BB12_1711 Depth=2
	s_and_not1_saveexec_b32 s13, s13
; %bb.1974:                             ;   in Loop: Header=BB12_1711 Depth=2
	v_and_b32_e32 v0, 0xffff, v1
	v_or_b32_e32 v4, 0x10000, v1
	s_delay_alu instid0(VALU_DEP_2) | instskip(NEXT) | instid1(VALU_DEP_2)
	v_cmp_eq_u32_e32 vcc_lo, 0, v0
	v_cndmask_b32_e32 v0, v4, v1, vcc_lo
; %bb.1975:                             ;   in Loop: Header=BB12_1711 Depth=2
	s_or_b32 exec_lo, exec_lo, s13
	v_and_b32_e32 v1, 0xffff0000, v112
	s_mov_b32 s13, exec_lo
                                        ; implicit-def: $vgpr126
	s_delay_alu instid0(VALU_DEP_1) | instskip(NEXT) | instid1(VALU_DEP_1)
	v_mul_f32_e32 v1, v119, v1
	v_and_b32_e32 v4, 0x7f800000, v1
	s_delay_alu instid0(VALU_DEP_1)
	v_cmpx_ne_u32_e32 0x7f800000, v4
	s_xor_b32 s13, exec_lo, s13
; %bb.1976:                             ;   in Loop: Header=BB12_1711 Depth=2
	v_bfe_u32 v4, v1, 16, 1
	s_delay_alu instid0(VALU_DEP_1)
	v_add3_u32 v126, v1, v4, 0x7fff
                                        ; implicit-def: $vgpr1
; %bb.1977:                             ;   in Loop: Header=BB12_1711 Depth=2
	s_and_not1_saveexec_b32 s13, s13
; %bb.1978:                             ;   in Loop: Header=BB12_1711 Depth=2
	v_and_b32_e32 v4, 0xffff, v1
	v_or_b32_e32 v5, 0x10000, v1
	s_delay_alu instid0(VALU_DEP_2) | instskip(NEXT) | instid1(VALU_DEP_2)
	v_cmp_eq_u32_e32 vcc_lo, 0, v4
	v_cndmask_b32_e32 v126, v5, v1, vcc_lo
; %bb.1979:                             ;   in Loop: Header=BB12_1711 Depth=2
	s_or_b32 exec_lo, exec_lo, s13
	v_lshlrev_b32_e32 v1, 16, v113
	s_mov_b32 s13, exec_lo
                                        ; implicit-def: $vgpr110
	s_delay_alu instid0(VALU_DEP_1) | instskip(NEXT) | instid1(VALU_DEP_1)
	v_mul_f32_e32 v1, v119, v1
	v_and_b32_e32 v4, 0x7f800000, v1
	s_delay_alu instid0(VALU_DEP_1)
	v_cmpx_ne_u32_e32 0x7f800000, v4
	s_xor_b32 s13, exec_lo, s13
; %bb.1980:                             ;   in Loop: Header=BB12_1711 Depth=2
	v_bfe_u32 v4, v1, 16, 1
	s_delay_alu instid0(VALU_DEP_1)
	v_add3_u32 v110, v1, v4, 0x7fff
                                        ; implicit-def: $vgpr1
; %bb.1981:                             ;   in Loop: Header=BB12_1711 Depth=2
	s_and_not1_saveexec_b32 s13, s13
; %bb.1982:                             ;   in Loop: Header=BB12_1711 Depth=2
	v_and_b32_e32 v4, 0xffff, v1
	v_or_b32_e32 v5, 0x10000, v1
	s_delay_alu instid0(VALU_DEP_2) | instskip(NEXT) | instid1(VALU_DEP_2)
	v_cmp_eq_u32_e32 vcc_lo, 0, v4
	v_cndmask_b32_e32 v110, v5, v1, vcc_lo
; %bb.1983:                             ;   in Loop: Header=BB12_1711 Depth=2
	s_or_b32 exec_lo, exec_lo, s13
	v_and_b32_e32 v1, 0xffff0000, v113
	s_mov_b32 s13, exec_lo
                                        ; implicit-def: $vgpr94
	s_delay_alu instid0(VALU_DEP_1) | instskip(NEXT) | instid1(VALU_DEP_1)
	v_mul_f32_e32 v1, v119, v1
	v_and_b32_e32 v4, 0x7f800000, v1
	s_delay_alu instid0(VALU_DEP_1)
	v_cmpx_ne_u32_e32 0x7f800000, v4
	s_xor_b32 s13, exec_lo, s13
; %bb.1984:                             ;   in Loop: Header=BB12_1711 Depth=2
	v_bfe_u32 v4, v1, 16, 1
	s_delay_alu instid0(VALU_DEP_1)
	v_add3_u32 v94, v1, v4, 0x7fff
                                        ; implicit-def: $vgpr1
; %bb.1985:                             ;   in Loop: Header=BB12_1711 Depth=2
	s_and_not1_saveexec_b32 s13, s13
; %bb.1986:                             ;   in Loop: Header=BB12_1711 Depth=2
	v_and_b32_e32 v4, 0xffff, v1
	v_or_b32_e32 v5, 0x10000, v1
	s_delay_alu instid0(VALU_DEP_2) | instskip(NEXT) | instid1(VALU_DEP_2)
	v_cmp_eq_u32_e32 vcc_lo, 0, v4
	v_cndmask_b32_e32 v94, v5, v1, vcc_lo
; %bb.1987:                             ;   in Loop: Header=BB12_1711 Depth=2
	s_or_b32 exec_lo, exec_lo, s13
	v_lshlrev_b32_e32 v1, 16, v114
	s_mov_b32 s13, exec_lo
                                        ; implicit-def: $vgpr95
	s_delay_alu instid0(VALU_DEP_1) | instskip(NEXT) | instid1(VALU_DEP_1)
	v_mul_f32_e32 v1, v119, v1
	v_and_b32_e32 v4, 0x7f800000, v1
	s_delay_alu instid0(VALU_DEP_1)
	v_cmpx_ne_u32_e32 0x7f800000, v4
	s_xor_b32 s13, exec_lo, s13
; %bb.1988:                             ;   in Loop: Header=BB12_1711 Depth=2
	v_bfe_u32 v4, v1, 16, 1
	s_delay_alu instid0(VALU_DEP_1)
	v_add3_u32 v95, v1, v4, 0x7fff
                                        ; implicit-def: $vgpr1
; %bb.1989:                             ;   in Loop: Header=BB12_1711 Depth=2
	s_and_not1_saveexec_b32 s13, s13
; %bb.1990:                             ;   in Loop: Header=BB12_1711 Depth=2
	v_and_b32_e32 v4, 0xffff, v1
	v_or_b32_e32 v5, 0x10000, v1
	s_delay_alu instid0(VALU_DEP_2) | instskip(NEXT) | instid1(VALU_DEP_2)
	v_cmp_eq_u32_e32 vcc_lo, 0, v4
	v_cndmask_b32_e32 v95, v5, v1, vcc_lo
; %bb.1991:                             ;   in Loop: Header=BB12_1711 Depth=2
	s_or_b32 exec_lo, exec_lo, s13
	v_and_b32_e32 v1, 0xffff0000, v114
	s_mov_b32 s13, exec_lo
                                        ; implicit-def: $vgpr60
	s_delay_alu instid0(VALU_DEP_1) | instskip(NEXT) | instid1(VALU_DEP_1)
	v_mul_f32_e32 v1, v119, v1
	v_and_b32_e32 v4, 0x7f800000, v1
	s_delay_alu instid0(VALU_DEP_1)
	v_cmpx_ne_u32_e32 0x7f800000, v4
	s_xor_b32 s13, exec_lo, s13
; %bb.1992:                             ;   in Loop: Header=BB12_1711 Depth=2
	v_bfe_u32 v4, v1, 16, 1
	s_delay_alu instid0(VALU_DEP_1)
	v_add3_u32 v60, v1, v4, 0x7fff
                                        ; implicit-def: $vgpr1
; %bb.1993:                             ;   in Loop: Header=BB12_1711 Depth=2
	s_and_not1_saveexec_b32 s13, s13
; %bb.1994:                             ;   in Loop: Header=BB12_1711 Depth=2
	v_and_b32_e32 v4, 0xffff, v1
	v_or_b32_e32 v5, 0x10000, v1
	s_delay_alu instid0(VALU_DEP_2) | instskip(NEXT) | instid1(VALU_DEP_2)
	v_cmp_eq_u32_e32 vcc_lo, 0, v4
	v_cndmask_b32_e32 v60, v5, v1, vcc_lo
; %bb.1995:                             ;   in Loop: Header=BB12_1711 Depth=2
	s_or_b32 exec_lo, exec_lo, s13
	v_lshlrev_b32_e32 v1, 16, v115
	s_mov_b32 s13, exec_lo
                                        ; implicit-def: $vgpr125
	s_delay_alu instid0(VALU_DEP_1) | instskip(NEXT) | instid1(VALU_DEP_1)
	v_mul_f32_e32 v1, v119, v1
	v_and_b32_e32 v4, 0x7f800000, v1
	s_delay_alu instid0(VALU_DEP_1)
	v_cmpx_ne_u32_e32 0x7f800000, v4
	s_xor_b32 s13, exec_lo, s13
; %bb.1996:                             ;   in Loop: Header=BB12_1711 Depth=2
	v_bfe_u32 v4, v1, 16, 1
	s_delay_alu instid0(VALU_DEP_1)
	v_add3_u32 v125, v1, v4, 0x7fff
                                        ; implicit-def: $vgpr1
; %bb.1997:                             ;   in Loop: Header=BB12_1711 Depth=2
	s_and_not1_saveexec_b32 s13, s13
; %bb.1998:                             ;   in Loop: Header=BB12_1711 Depth=2
	v_and_b32_e32 v4, 0xffff, v1
	v_or_b32_e32 v5, 0x10000, v1
	s_delay_alu instid0(VALU_DEP_2) | instskip(NEXT) | instid1(VALU_DEP_2)
	v_cmp_eq_u32_e32 vcc_lo, 0, v4
	v_cndmask_b32_e32 v125, v5, v1, vcc_lo
; %bb.1999:                             ;   in Loop: Header=BB12_1711 Depth=2
	s_or_b32 exec_lo, exec_lo, s13
	v_and_b32_e32 v1, 0xffff0000, v115
	s_mov_b32 s13, exec_lo
                                        ; implicit-def: $vgpr118
	s_delay_alu instid0(VALU_DEP_1) | instskip(NEXT) | instid1(VALU_DEP_1)
	v_mul_f32_e32 v1, v119, v1
	v_and_b32_e32 v4, 0x7f800000, v1
	s_delay_alu instid0(VALU_DEP_1)
	v_cmpx_ne_u32_e32 0x7f800000, v4
	s_xor_b32 s13, exec_lo, s13
; %bb.2000:                             ;   in Loop: Header=BB12_1711 Depth=2
	v_bfe_u32 v4, v1, 16, 1
	s_delay_alu instid0(VALU_DEP_1)
	v_add3_u32 v118, v1, v4, 0x7fff
                                        ; implicit-def: $vgpr1
; %bb.2001:                             ;   in Loop: Header=BB12_1711 Depth=2
	s_and_not1_saveexec_b32 s13, s13
; %bb.2002:                             ;   in Loop: Header=BB12_1711 Depth=2
	v_and_b32_e32 v4, 0xffff, v1
	v_or_b32_e32 v5, 0x10000, v1
	s_delay_alu instid0(VALU_DEP_2) | instskip(NEXT) | instid1(VALU_DEP_2)
	v_cmp_eq_u32_e32 vcc_lo, 0, v4
	v_cndmask_b32_e32 v118, v5, v1, vcc_lo
; %bb.2003:                             ;   in Loop: Header=BB12_1711 Depth=2
	s_or_b32 exec_lo, exec_lo, s13
	s_wait_loadcnt 0x6
	v_lshlrev_b32_e32 v1, 16, v100
	s_mov_b32 s13, exec_lo
                                        ; implicit-def: $vgpr124
	s_delay_alu instid0(VALU_DEP_1) | instskip(NEXT) | instid1(VALU_DEP_1)
	v_mul_f32_e32 v1, v119, v1
	v_and_b32_e32 v4, 0x7f800000, v1
	s_delay_alu instid0(VALU_DEP_1)
	v_cmpx_ne_u32_e32 0x7f800000, v4
	s_xor_b32 s13, exec_lo, s13
; %bb.2004:                             ;   in Loop: Header=BB12_1711 Depth=2
	v_bfe_u32 v4, v1, 16, 1
	s_delay_alu instid0(VALU_DEP_1)
	v_add3_u32 v124, v1, v4, 0x7fff
                                        ; implicit-def: $vgpr1
; %bb.2005:                             ;   in Loop: Header=BB12_1711 Depth=2
	s_and_not1_saveexec_b32 s13, s13
; %bb.2006:                             ;   in Loop: Header=BB12_1711 Depth=2
	v_and_b32_e32 v4, 0xffff, v1
	v_or_b32_e32 v5, 0x10000, v1
	s_delay_alu instid0(VALU_DEP_2) | instskip(NEXT) | instid1(VALU_DEP_2)
	v_cmp_eq_u32_e32 vcc_lo, 0, v4
	v_cndmask_b32_e32 v124, v5, v1, vcc_lo
; %bb.2007:                             ;   in Loop: Header=BB12_1711 Depth=2
	s_or_b32 exec_lo, exec_lo, s13
	v_and_b32_e32 v1, 0xffff0000, v100
	s_mov_b32 s13, exec_lo
                                        ; implicit-def: $vgpr88
	s_delay_alu instid0(VALU_DEP_1) | instskip(NEXT) | instid1(VALU_DEP_1)
	v_mul_f32_e32 v1, v119, v1
	v_and_b32_e32 v4, 0x7f800000, v1
	s_delay_alu instid0(VALU_DEP_1)
	v_cmpx_ne_u32_e32 0x7f800000, v4
	s_xor_b32 s13, exec_lo, s13
; %bb.2008:                             ;   in Loop: Header=BB12_1711 Depth=2
	v_bfe_u32 v4, v1, 16, 1
	s_delay_alu instid0(VALU_DEP_1)
	v_add3_u32 v88, v1, v4, 0x7fff
                                        ; implicit-def: $vgpr1
; %bb.2009:                             ;   in Loop: Header=BB12_1711 Depth=2
	s_and_not1_saveexec_b32 s13, s13
; %bb.2010:                             ;   in Loop: Header=BB12_1711 Depth=2
	v_and_b32_e32 v4, 0xffff, v1
	v_or_b32_e32 v5, 0x10000, v1
	s_delay_alu instid0(VALU_DEP_2) | instskip(NEXT) | instid1(VALU_DEP_2)
	v_cmp_eq_u32_e32 vcc_lo, 0, v4
	v_cndmask_b32_e32 v88, v5, v1, vcc_lo
; %bb.2011:                             ;   in Loop: Header=BB12_1711 Depth=2
	s_or_b32 exec_lo, exec_lo, s13
	v_lshlrev_b32_e32 v1, 16, v101
	s_mov_b32 s13, exec_lo
                                        ; implicit-def: $vgpr89
	s_delay_alu instid0(VALU_DEP_1) | instskip(NEXT) | instid1(VALU_DEP_1)
	v_mul_f32_e32 v1, v119, v1
	v_and_b32_e32 v4, 0x7f800000, v1
	s_delay_alu instid0(VALU_DEP_1)
	v_cmpx_ne_u32_e32 0x7f800000, v4
	s_xor_b32 s13, exec_lo, s13
; %bb.2012:                             ;   in Loop: Header=BB12_1711 Depth=2
	v_bfe_u32 v4, v1, 16, 1
	s_delay_alu instid0(VALU_DEP_1)
	v_add3_u32 v89, v1, v4, 0x7fff
                                        ; implicit-def: $vgpr1
; %bb.2013:                             ;   in Loop: Header=BB12_1711 Depth=2
	s_and_not1_saveexec_b32 s13, s13
; %bb.2014:                             ;   in Loop: Header=BB12_1711 Depth=2
	v_and_b32_e32 v4, 0xffff, v1
	v_or_b32_e32 v5, 0x10000, v1
	s_delay_alu instid0(VALU_DEP_2) | instskip(NEXT) | instid1(VALU_DEP_2)
	v_cmp_eq_u32_e32 vcc_lo, 0, v4
	v_cndmask_b32_e32 v89, v5, v1, vcc_lo
; %bb.2015:                             ;   in Loop: Header=BB12_1711 Depth=2
	s_or_b32 exec_lo, exec_lo, s13
	v_and_b32_e32 v1, 0xffff0000, v101
	s_mov_b32 s13, exec_lo
                                        ; implicit-def: $vgpr31
	s_delay_alu instid0(VALU_DEP_1) | instskip(NEXT) | instid1(VALU_DEP_1)
	v_mul_f32_e32 v1, v119, v1
	v_and_b32_e32 v4, 0x7f800000, v1
	s_delay_alu instid0(VALU_DEP_1)
	v_cmpx_ne_u32_e32 0x7f800000, v4
	s_xor_b32 s13, exec_lo, s13
; %bb.2016:                             ;   in Loop: Header=BB12_1711 Depth=2
	v_bfe_u32 v4, v1, 16, 1
	s_delay_alu instid0(VALU_DEP_1)
	v_add3_u32 v31, v1, v4, 0x7fff
                                        ; implicit-def: $vgpr1
; %bb.2017:                             ;   in Loop: Header=BB12_1711 Depth=2
	s_and_not1_saveexec_b32 s13, s13
; %bb.2018:                             ;   in Loop: Header=BB12_1711 Depth=2
	v_and_b32_e32 v4, 0xffff, v1
	v_or_b32_e32 v5, 0x10000, v1
	s_delay_alu instid0(VALU_DEP_2) | instskip(NEXT) | instid1(VALU_DEP_2)
	v_cmp_eq_u32_e32 vcc_lo, 0, v4
	v_cndmask_b32_e32 v31, v5, v1, vcc_lo
; %bb.2019:                             ;   in Loop: Header=BB12_1711 Depth=2
	s_or_b32 exec_lo, exec_lo, s13
	v_lshlrev_b32_e32 v1, 16, v102
	s_mov_b32 s13, exec_lo
                                        ; implicit-def: $vgpr45
	s_delay_alu instid0(VALU_DEP_1) | instskip(NEXT) | instid1(VALU_DEP_1)
	v_mul_f32_e32 v1, v119, v1
	v_and_b32_e32 v4, 0x7f800000, v1
	s_delay_alu instid0(VALU_DEP_1)
	v_cmpx_ne_u32_e32 0x7f800000, v4
	s_xor_b32 s13, exec_lo, s13
; %bb.2020:                             ;   in Loop: Header=BB12_1711 Depth=2
	v_bfe_u32 v4, v1, 16, 1
	s_delay_alu instid0(VALU_DEP_1)
	v_add3_u32 v45, v1, v4, 0x7fff
                                        ; implicit-def: $vgpr1
; %bb.2021:                             ;   in Loop: Header=BB12_1711 Depth=2
	s_and_not1_saveexec_b32 s13, s13
; %bb.2022:                             ;   in Loop: Header=BB12_1711 Depth=2
	v_and_b32_e32 v4, 0xffff, v1
	v_or_b32_e32 v5, 0x10000, v1
	s_delay_alu instid0(VALU_DEP_2) | instskip(NEXT) | instid1(VALU_DEP_2)
	v_cmp_eq_u32_e32 vcc_lo, 0, v4
	v_cndmask_b32_e32 v45, v5, v1, vcc_lo
; %bb.2023:                             ;   in Loop: Header=BB12_1711 Depth=2
	s_or_b32 exec_lo, exec_lo, s13
	v_and_b32_e32 v1, 0xffff0000, v102
	s_mov_b32 s13, exec_lo
                                        ; implicit-def: $vgpr43
	s_delay_alu instid0(VALU_DEP_1) | instskip(NEXT) | instid1(VALU_DEP_1)
	v_mul_f32_e32 v1, v119, v1
	v_and_b32_e32 v4, 0x7f800000, v1
	s_delay_alu instid0(VALU_DEP_1)
	v_cmpx_ne_u32_e32 0x7f800000, v4
	s_xor_b32 s13, exec_lo, s13
; %bb.2024:                             ;   in Loop: Header=BB12_1711 Depth=2
	v_bfe_u32 v4, v1, 16, 1
	s_delay_alu instid0(VALU_DEP_1)
	v_add3_u32 v43, v1, v4, 0x7fff
                                        ; implicit-def: $vgpr1
; %bb.2025:                             ;   in Loop: Header=BB12_1711 Depth=2
	s_and_not1_saveexec_b32 s13, s13
; %bb.2026:                             ;   in Loop: Header=BB12_1711 Depth=2
	v_and_b32_e32 v4, 0xffff, v1
	v_or_b32_e32 v5, 0x10000, v1
	s_delay_alu instid0(VALU_DEP_2) | instskip(NEXT) | instid1(VALU_DEP_2)
	v_cmp_eq_u32_e32 vcc_lo, 0, v4
	v_cndmask_b32_e32 v43, v5, v1, vcc_lo
; %bb.2027:                             ;   in Loop: Header=BB12_1711 Depth=2
	s_or_b32 exec_lo, exec_lo, s13
	v_lshlrev_b32_e32 v1, 16, v103
	s_mov_b32 s13, exec_lo
                                        ; implicit-def: $vgpr44
	s_delay_alu instid0(VALU_DEP_1) | instskip(NEXT) | instid1(VALU_DEP_1)
	v_mul_f32_e32 v1, v119, v1
	v_and_b32_e32 v4, 0x7f800000, v1
	s_delay_alu instid0(VALU_DEP_1)
	v_cmpx_ne_u32_e32 0x7f800000, v4
	s_xor_b32 s13, exec_lo, s13
; %bb.2028:                             ;   in Loop: Header=BB12_1711 Depth=2
	v_bfe_u32 v4, v1, 16, 1
	s_delay_alu instid0(VALU_DEP_1)
	v_add3_u32 v44, v1, v4, 0x7fff
                                        ; implicit-def: $vgpr1
; %bb.2029:                             ;   in Loop: Header=BB12_1711 Depth=2
	s_and_not1_saveexec_b32 s13, s13
; %bb.2030:                             ;   in Loop: Header=BB12_1711 Depth=2
	v_and_b32_e32 v4, 0xffff, v1
	v_or_b32_e32 v5, 0x10000, v1
	s_delay_alu instid0(VALU_DEP_2) | instskip(NEXT) | instid1(VALU_DEP_2)
	v_cmp_eq_u32_e32 vcc_lo, 0, v4
	v_cndmask_b32_e32 v44, v5, v1, vcc_lo
; %bb.2031:                             ;   in Loop: Header=BB12_1711 Depth=2
	s_or_b32 exec_lo, exec_lo, s13
	v_and_b32_e32 v1, 0xffff0000, v103
	s_mov_b32 s13, exec_lo
                                        ; implicit-def: $vgpr116
	s_delay_alu instid0(VALU_DEP_1) | instskip(NEXT) | instid1(VALU_DEP_1)
	v_mul_f32_e32 v1, v119, v1
	v_and_b32_e32 v4, 0x7f800000, v1
	s_delay_alu instid0(VALU_DEP_1)
	v_cmpx_ne_u32_e32 0x7f800000, v4
	s_xor_b32 s13, exec_lo, s13
; %bb.2032:                             ;   in Loop: Header=BB12_1711 Depth=2
	v_bfe_u32 v4, v1, 16, 1
	s_delay_alu instid0(VALU_DEP_1)
	v_add3_u32 v116, v1, v4, 0x7fff
                                        ; implicit-def: $vgpr1
; %bb.2033:                             ;   in Loop: Header=BB12_1711 Depth=2
	s_and_not1_saveexec_b32 s13, s13
; %bb.2034:                             ;   in Loop: Header=BB12_1711 Depth=2
	v_and_b32_e32 v4, 0xffff, v1
	v_or_b32_e32 v5, 0x10000, v1
	s_delay_alu instid0(VALU_DEP_2) | instskip(NEXT) | instid1(VALU_DEP_2)
	v_cmp_eq_u32_e32 vcc_lo, 0, v4
	v_cndmask_b32_e32 v116, v5, v1, vcc_lo
; %bb.2035:                             ;   in Loop: Header=BB12_1711 Depth=2
	s_or_b32 exec_lo, exec_lo, s13
	s_wait_loadcnt 0x5
	v_lshlrev_b32_e32 v1, 16, v84
	s_mov_b32 s13, exec_lo
                                        ; implicit-def: $vgpr117
	s_delay_alu instid0(VALU_DEP_1) | instskip(NEXT) | instid1(VALU_DEP_1)
	v_mul_f32_e32 v1, v119, v1
	v_and_b32_e32 v4, 0x7f800000, v1
	s_delay_alu instid0(VALU_DEP_1)
	v_cmpx_ne_u32_e32 0x7f800000, v4
	s_xor_b32 s13, exec_lo, s13
; %bb.2036:                             ;   in Loop: Header=BB12_1711 Depth=2
	v_bfe_u32 v4, v1, 16, 1
	s_delay_alu instid0(VALU_DEP_1)
	v_add3_u32 v117, v1, v4, 0x7fff
                                        ; implicit-def: $vgpr1
; %bb.2037:                             ;   in Loop: Header=BB12_1711 Depth=2
	s_and_not1_saveexec_b32 s13, s13
; %bb.2038:                             ;   in Loop: Header=BB12_1711 Depth=2
	v_and_b32_e32 v4, 0xffff, v1
	v_or_b32_e32 v5, 0x10000, v1
	s_delay_alu instid0(VALU_DEP_2) | instskip(NEXT) | instid1(VALU_DEP_2)
	v_cmp_eq_u32_e32 vcc_lo, 0, v4
	v_cndmask_b32_e32 v117, v5, v1, vcc_lo
; %bb.2039:                             ;   in Loop: Header=BB12_1711 Depth=2
	s_or_b32 exec_lo, exec_lo, s13
	v_and_b32_e32 v1, 0xffff0000, v84
	s_mov_b32 s13, exec_lo
                                        ; implicit-def: $vgpr114
	s_delay_alu instid0(VALU_DEP_1) | instskip(NEXT) | instid1(VALU_DEP_1)
	v_mul_f32_e32 v1, v119, v1
	v_and_b32_e32 v4, 0x7f800000, v1
	s_delay_alu instid0(VALU_DEP_1)
	v_cmpx_ne_u32_e32 0x7f800000, v4
	s_xor_b32 s13, exec_lo, s13
; %bb.2040:                             ;   in Loop: Header=BB12_1711 Depth=2
	v_bfe_u32 v4, v1, 16, 1
	s_delay_alu instid0(VALU_DEP_1)
	v_add3_u32 v114, v1, v4, 0x7fff
                                        ; implicit-def: $vgpr1
; %bb.2041:                             ;   in Loop: Header=BB12_1711 Depth=2
	s_and_not1_saveexec_b32 s13, s13
; %bb.2042:                             ;   in Loop: Header=BB12_1711 Depth=2
	v_and_b32_e32 v4, 0xffff, v1
	v_or_b32_e32 v5, 0x10000, v1
	s_delay_alu instid0(VALU_DEP_2) | instskip(NEXT) | instid1(VALU_DEP_2)
	v_cmp_eq_u32_e32 vcc_lo, 0, v4
	v_cndmask_b32_e32 v114, v5, v1, vcc_lo
; %bb.2043:                             ;   in Loop: Header=BB12_1711 Depth=2
	s_or_b32 exec_lo, exec_lo, s13
	v_lshlrev_b32_e32 v1, 16, v85
	s_mov_b32 s13, exec_lo
                                        ; implicit-def: $vgpr115
	s_delay_alu instid0(VALU_DEP_1) | instskip(NEXT) | instid1(VALU_DEP_1)
	v_mul_f32_e32 v1, v119, v1
	v_and_b32_e32 v4, 0x7f800000, v1
	s_delay_alu instid0(VALU_DEP_1)
	v_cmpx_ne_u32_e32 0x7f800000, v4
	s_xor_b32 s13, exec_lo, s13
; %bb.2044:                             ;   in Loop: Header=BB12_1711 Depth=2
	v_bfe_u32 v4, v1, 16, 1
	s_delay_alu instid0(VALU_DEP_1)
	v_add3_u32 v115, v1, v4, 0x7fff
                                        ; implicit-def: $vgpr1
; %bb.2045:                             ;   in Loop: Header=BB12_1711 Depth=2
	s_and_not1_saveexec_b32 s13, s13
; %bb.2046:                             ;   in Loop: Header=BB12_1711 Depth=2
	v_and_b32_e32 v4, 0xffff, v1
	v_or_b32_e32 v5, 0x10000, v1
	s_delay_alu instid0(VALU_DEP_2) | instskip(NEXT) | instid1(VALU_DEP_2)
	v_cmp_eq_u32_e32 vcc_lo, 0, v4
	v_cndmask_b32_e32 v115, v5, v1, vcc_lo
; %bb.2047:                             ;   in Loop: Header=BB12_1711 Depth=2
	s_or_b32 exec_lo, exec_lo, s13
	v_and_b32_e32 v1, 0xffff0000, v85
	s_mov_b32 s13, exec_lo
                                        ; implicit-def: $vgpr112
	s_delay_alu instid0(VALU_DEP_1) | instskip(NEXT) | instid1(VALU_DEP_1)
	v_mul_f32_e32 v1, v119, v1
	v_and_b32_e32 v4, 0x7f800000, v1
	s_delay_alu instid0(VALU_DEP_1)
	v_cmpx_ne_u32_e32 0x7f800000, v4
	s_xor_b32 s13, exec_lo, s13
; %bb.2048:                             ;   in Loop: Header=BB12_1711 Depth=2
	v_bfe_u32 v4, v1, 16, 1
	s_delay_alu instid0(VALU_DEP_1)
	v_add3_u32 v112, v1, v4, 0x7fff
                                        ; implicit-def: $vgpr1
; %bb.2049:                             ;   in Loop: Header=BB12_1711 Depth=2
	s_and_not1_saveexec_b32 s13, s13
; %bb.2050:                             ;   in Loop: Header=BB12_1711 Depth=2
	v_and_b32_e32 v4, 0xffff, v1
	v_or_b32_e32 v5, 0x10000, v1
	s_delay_alu instid0(VALU_DEP_2) | instskip(NEXT) | instid1(VALU_DEP_2)
	v_cmp_eq_u32_e32 vcc_lo, 0, v4
	v_cndmask_b32_e32 v112, v5, v1, vcc_lo
; %bb.2051:                             ;   in Loop: Header=BB12_1711 Depth=2
	s_or_b32 exec_lo, exec_lo, s13
	v_lshlrev_b32_e32 v1, 16, v86
	s_mov_b32 s13, exec_lo
                                        ; implicit-def: $vgpr113
	s_delay_alu instid0(VALU_DEP_1) | instskip(NEXT) | instid1(VALU_DEP_1)
	v_mul_f32_e32 v1, v119, v1
	v_and_b32_e32 v4, 0x7f800000, v1
	s_delay_alu instid0(VALU_DEP_1)
	v_cmpx_ne_u32_e32 0x7f800000, v4
	s_xor_b32 s13, exec_lo, s13
; %bb.2052:                             ;   in Loop: Header=BB12_1711 Depth=2
	v_bfe_u32 v4, v1, 16, 1
	s_delay_alu instid0(VALU_DEP_1)
	v_add3_u32 v113, v1, v4, 0x7fff
                                        ; implicit-def: $vgpr1
; %bb.2053:                             ;   in Loop: Header=BB12_1711 Depth=2
	s_and_not1_saveexec_b32 s13, s13
; %bb.2054:                             ;   in Loop: Header=BB12_1711 Depth=2
	v_and_b32_e32 v4, 0xffff, v1
	v_or_b32_e32 v5, 0x10000, v1
	s_delay_alu instid0(VALU_DEP_2) | instskip(NEXT) | instid1(VALU_DEP_2)
	v_cmp_eq_u32_e32 vcc_lo, 0, v4
	v_cndmask_b32_e32 v113, v5, v1, vcc_lo
; %bb.2055:                             ;   in Loop: Header=BB12_1711 Depth=2
	s_or_b32 exec_lo, exec_lo, s13
	v_and_b32_e32 v1, 0xffff0000, v86
	s_mov_b32 s13, exec_lo
                                        ; implicit-def: $vgpr102
	s_delay_alu instid0(VALU_DEP_1) | instskip(NEXT) | instid1(VALU_DEP_1)
	v_mul_f32_e32 v1, v119, v1
	v_and_b32_e32 v4, 0x7f800000, v1
	s_delay_alu instid0(VALU_DEP_1)
	v_cmpx_ne_u32_e32 0x7f800000, v4
	s_xor_b32 s13, exec_lo, s13
; %bb.2056:                             ;   in Loop: Header=BB12_1711 Depth=2
	v_bfe_u32 v4, v1, 16, 1
	s_delay_alu instid0(VALU_DEP_1)
	v_add3_u32 v102, v1, v4, 0x7fff
                                        ; implicit-def: $vgpr1
; %bb.2057:                             ;   in Loop: Header=BB12_1711 Depth=2
	s_and_not1_saveexec_b32 s13, s13
; %bb.2058:                             ;   in Loop: Header=BB12_1711 Depth=2
	v_and_b32_e32 v4, 0xffff, v1
	v_or_b32_e32 v5, 0x10000, v1
	s_delay_alu instid0(VALU_DEP_2) | instskip(NEXT) | instid1(VALU_DEP_2)
	v_cmp_eq_u32_e32 vcc_lo, 0, v4
	v_cndmask_b32_e32 v102, v5, v1, vcc_lo
; %bb.2059:                             ;   in Loop: Header=BB12_1711 Depth=2
	s_or_b32 exec_lo, exec_lo, s13
	v_lshlrev_b32_e32 v1, 16, v87
	s_mov_b32 s13, exec_lo
                                        ; implicit-def: $vgpr103
	s_delay_alu instid0(VALU_DEP_1) | instskip(NEXT) | instid1(VALU_DEP_1)
	v_mul_f32_e32 v1, v119, v1
	v_and_b32_e32 v4, 0x7f800000, v1
	s_delay_alu instid0(VALU_DEP_1)
	v_cmpx_ne_u32_e32 0x7f800000, v4
	s_xor_b32 s13, exec_lo, s13
; %bb.2060:                             ;   in Loop: Header=BB12_1711 Depth=2
	v_bfe_u32 v4, v1, 16, 1
	s_delay_alu instid0(VALU_DEP_1)
	v_add3_u32 v103, v1, v4, 0x7fff
                                        ; implicit-def: $vgpr1
; %bb.2061:                             ;   in Loop: Header=BB12_1711 Depth=2
	s_and_not1_saveexec_b32 s13, s13
; %bb.2062:                             ;   in Loop: Header=BB12_1711 Depth=2
	v_and_b32_e32 v4, 0xffff, v1
	v_or_b32_e32 v5, 0x10000, v1
	s_delay_alu instid0(VALU_DEP_2) | instskip(NEXT) | instid1(VALU_DEP_2)
	v_cmp_eq_u32_e32 vcc_lo, 0, v4
	v_cndmask_b32_e32 v103, v5, v1, vcc_lo
; %bb.2063:                             ;   in Loop: Header=BB12_1711 Depth=2
	s_or_b32 exec_lo, exec_lo, s13
	v_and_b32_e32 v1, 0xffff0000, v87
	s_mov_b32 s13, exec_lo
                                        ; implicit-def: $vgpr100
	s_delay_alu instid0(VALU_DEP_1) | instskip(NEXT) | instid1(VALU_DEP_1)
	v_mul_f32_e32 v1, v119, v1
	v_and_b32_e32 v4, 0x7f800000, v1
	s_delay_alu instid0(VALU_DEP_1)
	v_cmpx_ne_u32_e32 0x7f800000, v4
	s_xor_b32 s13, exec_lo, s13
; %bb.2064:                             ;   in Loop: Header=BB12_1711 Depth=2
	v_bfe_u32 v4, v1, 16, 1
	s_delay_alu instid0(VALU_DEP_1)
	v_add3_u32 v100, v1, v4, 0x7fff
                                        ; implicit-def: $vgpr1
; %bb.2065:                             ;   in Loop: Header=BB12_1711 Depth=2
	s_and_not1_saveexec_b32 s13, s13
; %bb.2066:                             ;   in Loop: Header=BB12_1711 Depth=2
	v_and_b32_e32 v4, 0xffff, v1
	v_or_b32_e32 v5, 0x10000, v1
	s_delay_alu instid0(VALU_DEP_2) | instskip(NEXT) | instid1(VALU_DEP_2)
	v_cmp_eq_u32_e32 vcc_lo, 0, v4
	v_cndmask_b32_e32 v100, v5, v1, vcc_lo
; %bb.2067:                             ;   in Loop: Header=BB12_1711 Depth=2
	s_or_b32 exec_lo, exec_lo, s13
	s_wait_loadcnt 0x4
	v_lshlrev_b32_e32 v1, 16, v80
	s_mov_b32 s13, exec_lo
                                        ; implicit-def: $vgpr101
	s_delay_alu instid0(VALU_DEP_1) | instskip(NEXT) | instid1(VALU_DEP_1)
	v_mul_f32_e32 v1, v119, v1
	v_and_b32_e32 v4, 0x7f800000, v1
	s_delay_alu instid0(VALU_DEP_1)
	v_cmpx_ne_u32_e32 0x7f800000, v4
	s_xor_b32 s13, exec_lo, s13
; %bb.2068:                             ;   in Loop: Header=BB12_1711 Depth=2
	v_bfe_u32 v4, v1, 16, 1
	s_delay_alu instid0(VALU_DEP_1)
	v_add3_u32 v101, v1, v4, 0x7fff
                                        ; implicit-def: $vgpr1
; %bb.2069:                             ;   in Loop: Header=BB12_1711 Depth=2
	s_and_not1_saveexec_b32 s13, s13
; %bb.2070:                             ;   in Loop: Header=BB12_1711 Depth=2
	v_and_b32_e32 v4, 0xffff, v1
	v_or_b32_e32 v5, 0x10000, v1
	s_delay_alu instid0(VALU_DEP_2) | instskip(NEXT) | instid1(VALU_DEP_2)
	v_cmp_eq_u32_e32 vcc_lo, 0, v4
	v_cndmask_b32_e32 v101, v5, v1, vcc_lo
; %bb.2071:                             ;   in Loop: Header=BB12_1711 Depth=2
	s_or_b32 exec_lo, exec_lo, s13
	v_and_b32_e32 v1, 0xffff0000, v80
	s_mov_b32 s13, exec_lo
                                        ; implicit-def: $vgpr86
	s_delay_alu instid0(VALU_DEP_1) | instskip(NEXT) | instid1(VALU_DEP_1)
	v_mul_f32_e32 v1, v119, v1
	v_and_b32_e32 v4, 0x7f800000, v1
	s_delay_alu instid0(VALU_DEP_1)
	v_cmpx_ne_u32_e32 0x7f800000, v4
	s_xor_b32 s13, exec_lo, s13
; %bb.2072:                             ;   in Loop: Header=BB12_1711 Depth=2
	v_bfe_u32 v4, v1, 16, 1
	s_delay_alu instid0(VALU_DEP_1)
	v_add3_u32 v86, v1, v4, 0x7fff
                                        ; implicit-def: $vgpr1
; %bb.2073:                             ;   in Loop: Header=BB12_1711 Depth=2
	s_and_not1_saveexec_b32 s13, s13
; %bb.2074:                             ;   in Loop: Header=BB12_1711 Depth=2
	v_and_b32_e32 v4, 0xffff, v1
	v_or_b32_e32 v5, 0x10000, v1
	s_delay_alu instid0(VALU_DEP_2) | instskip(NEXT) | instid1(VALU_DEP_2)
	v_cmp_eq_u32_e32 vcc_lo, 0, v4
	v_cndmask_b32_e32 v86, v5, v1, vcc_lo
; %bb.2075:                             ;   in Loop: Header=BB12_1711 Depth=2
	s_or_b32 exec_lo, exec_lo, s13
	v_lshlrev_b32_e32 v1, 16, v81
	s_mov_b32 s13, exec_lo
                                        ; implicit-def: $vgpr87
	s_delay_alu instid0(VALU_DEP_1) | instskip(NEXT) | instid1(VALU_DEP_1)
	v_mul_f32_e32 v1, v119, v1
	v_and_b32_e32 v4, 0x7f800000, v1
	s_delay_alu instid0(VALU_DEP_1)
	v_cmpx_ne_u32_e32 0x7f800000, v4
	s_xor_b32 s13, exec_lo, s13
; %bb.2076:                             ;   in Loop: Header=BB12_1711 Depth=2
	v_bfe_u32 v4, v1, 16, 1
	s_delay_alu instid0(VALU_DEP_1)
	v_add3_u32 v87, v1, v4, 0x7fff
                                        ; implicit-def: $vgpr1
; %bb.2077:                             ;   in Loop: Header=BB12_1711 Depth=2
	s_and_not1_saveexec_b32 s13, s13
; %bb.2078:                             ;   in Loop: Header=BB12_1711 Depth=2
	v_and_b32_e32 v4, 0xffff, v1
	v_or_b32_e32 v5, 0x10000, v1
	s_delay_alu instid0(VALU_DEP_2) | instskip(NEXT) | instid1(VALU_DEP_2)
	v_cmp_eq_u32_e32 vcc_lo, 0, v4
	v_cndmask_b32_e32 v87, v5, v1, vcc_lo
; %bb.2079:                             ;   in Loop: Header=BB12_1711 Depth=2
	s_or_b32 exec_lo, exec_lo, s13
	v_and_b32_e32 v1, 0xffff0000, v81
	s_mov_b32 s13, exec_lo
                                        ; implicit-def: $vgpr84
	s_delay_alu instid0(VALU_DEP_1) | instskip(NEXT) | instid1(VALU_DEP_1)
	v_mul_f32_e32 v1, v119, v1
	v_and_b32_e32 v4, 0x7f800000, v1
	s_delay_alu instid0(VALU_DEP_1)
	v_cmpx_ne_u32_e32 0x7f800000, v4
	s_xor_b32 s13, exec_lo, s13
; %bb.2080:                             ;   in Loop: Header=BB12_1711 Depth=2
	v_bfe_u32 v4, v1, 16, 1
	s_delay_alu instid0(VALU_DEP_1)
	v_add3_u32 v84, v1, v4, 0x7fff
                                        ; implicit-def: $vgpr1
; %bb.2081:                             ;   in Loop: Header=BB12_1711 Depth=2
	s_and_not1_saveexec_b32 s13, s13
; %bb.2082:                             ;   in Loop: Header=BB12_1711 Depth=2
	v_and_b32_e32 v4, 0xffff, v1
	v_or_b32_e32 v5, 0x10000, v1
	s_delay_alu instid0(VALU_DEP_2) | instskip(NEXT) | instid1(VALU_DEP_2)
	v_cmp_eq_u32_e32 vcc_lo, 0, v4
	v_cndmask_b32_e32 v84, v5, v1, vcc_lo
; %bb.2083:                             ;   in Loop: Header=BB12_1711 Depth=2
	s_or_b32 exec_lo, exec_lo, s13
	v_lshlrev_b32_e32 v1, 16, v82
	s_mov_b32 s13, exec_lo
                                        ; implicit-def: $vgpr85
	s_delay_alu instid0(VALU_DEP_1) | instskip(NEXT) | instid1(VALU_DEP_1)
	v_mul_f32_e32 v1, v119, v1
	v_and_b32_e32 v4, 0x7f800000, v1
	s_delay_alu instid0(VALU_DEP_1)
	v_cmpx_ne_u32_e32 0x7f800000, v4
	s_xor_b32 s13, exec_lo, s13
; %bb.2084:                             ;   in Loop: Header=BB12_1711 Depth=2
	v_bfe_u32 v4, v1, 16, 1
	s_delay_alu instid0(VALU_DEP_1)
	v_add3_u32 v85, v1, v4, 0x7fff
                                        ; implicit-def: $vgpr1
; %bb.2085:                             ;   in Loop: Header=BB12_1711 Depth=2
	s_and_not1_saveexec_b32 s13, s13
; %bb.2086:                             ;   in Loop: Header=BB12_1711 Depth=2
	v_and_b32_e32 v4, 0xffff, v1
	v_or_b32_e32 v5, 0x10000, v1
	s_delay_alu instid0(VALU_DEP_2) | instskip(NEXT) | instid1(VALU_DEP_2)
	v_cmp_eq_u32_e32 vcc_lo, 0, v4
	v_cndmask_b32_e32 v85, v5, v1, vcc_lo
; %bb.2087:                             ;   in Loop: Header=BB12_1711 Depth=2
	s_or_b32 exec_lo, exec_lo, s13
	v_and_b32_e32 v1, 0xffff0000, v82
	s_mov_b32 s13, exec_lo
                                        ; implicit-def: $vgpr80
	s_delay_alu instid0(VALU_DEP_1) | instskip(NEXT) | instid1(VALU_DEP_1)
	v_mul_f32_e32 v1, v119, v1
	v_and_b32_e32 v4, 0x7f800000, v1
	s_delay_alu instid0(VALU_DEP_1)
	v_cmpx_ne_u32_e32 0x7f800000, v4
	s_xor_b32 s13, exec_lo, s13
; %bb.2088:                             ;   in Loop: Header=BB12_1711 Depth=2
	v_bfe_u32 v4, v1, 16, 1
	s_delay_alu instid0(VALU_DEP_1)
	v_add3_u32 v80, v1, v4, 0x7fff
                                        ; implicit-def: $vgpr1
; %bb.2089:                             ;   in Loop: Header=BB12_1711 Depth=2
	s_and_not1_saveexec_b32 s13, s13
; %bb.2090:                             ;   in Loop: Header=BB12_1711 Depth=2
	v_and_b32_e32 v4, 0xffff, v1
	v_or_b32_e32 v5, 0x10000, v1
	s_delay_alu instid0(VALU_DEP_2) | instskip(NEXT) | instid1(VALU_DEP_2)
	v_cmp_eq_u32_e32 vcc_lo, 0, v4
	v_cndmask_b32_e32 v80, v5, v1, vcc_lo
; %bb.2091:                             ;   in Loop: Header=BB12_1711 Depth=2
	s_or_b32 exec_lo, exec_lo, s13
	v_lshlrev_b32_e32 v1, 16, v83
	s_mov_b32 s13, exec_lo
                                        ; implicit-def: $vgpr81
	s_delay_alu instid0(VALU_DEP_1) | instskip(NEXT) | instid1(VALU_DEP_1)
	v_mul_f32_e32 v1, v119, v1
	v_and_b32_e32 v4, 0x7f800000, v1
	s_delay_alu instid0(VALU_DEP_1)
	v_cmpx_ne_u32_e32 0x7f800000, v4
	s_xor_b32 s13, exec_lo, s13
; %bb.2092:                             ;   in Loop: Header=BB12_1711 Depth=2
	v_bfe_u32 v4, v1, 16, 1
	s_delay_alu instid0(VALU_DEP_1)
	v_add3_u32 v81, v1, v4, 0x7fff
                                        ; implicit-def: $vgpr1
; %bb.2093:                             ;   in Loop: Header=BB12_1711 Depth=2
	s_and_not1_saveexec_b32 s13, s13
; %bb.2094:                             ;   in Loop: Header=BB12_1711 Depth=2
	v_and_b32_e32 v4, 0xffff, v1
	v_or_b32_e32 v5, 0x10000, v1
	s_delay_alu instid0(VALU_DEP_2) | instskip(NEXT) | instid1(VALU_DEP_2)
	v_cmp_eq_u32_e32 vcc_lo, 0, v4
	v_cndmask_b32_e32 v81, v5, v1, vcc_lo
; %bb.2095:                             ;   in Loop: Header=BB12_1711 Depth=2
	s_or_b32 exec_lo, exec_lo, s13
	v_and_b32_e32 v1, 0xffff0000, v83
	s_delay_alu instid0(VALU_DEP_1) | instskip(NEXT) | instid1(VALU_DEP_1)
	v_mul_f32_e32 v4, v119, v1
	v_and_b32_e32 v1, 0x7f800000, v4
	s_delay_alu instid0(VALU_DEP_1) | instskip(SKIP_1) | instid1(SALU_CYCLE_1)
	v_cmp_ne_u32_e32 vcc_lo, 0x7f800000, v1
                                        ; implicit-def: $vgpr1
	s_and_saveexec_b32 s13, vcc_lo
	s_xor_b32 s13, exec_lo, s13
; %bb.2096:                             ;   in Loop: Header=BB12_1711 Depth=2
	v_bfe_u32 v1, v4, 16, 1
	s_delay_alu instid0(VALU_DEP_1)
	v_add3_u32 v1, v4, v1, 0x7fff
                                        ; implicit-def: $vgpr4
; %bb.2097:                             ;   in Loop: Header=BB12_1711 Depth=2
	s_and_not1_saveexec_b32 s13, s13
; %bb.2098:                             ;   in Loop: Header=BB12_1711 Depth=2
	v_and_b32_e32 v1, 0xffff, v4
	v_or_b32_e32 v5, 0x10000, v4
	s_delay_alu instid0(VALU_DEP_2) | instskip(NEXT) | instid1(VALU_DEP_2)
	v_cmp_eq_u32_e32 vcc_lo, 0, v1
	v_cndmask_b32_e32 v1, v5, v4, vcc_lo
; %bb.2099:                             ;   in Loop: Header=BB12_1711 Depth=2
	s_or_b32 exec_lo, exec_lo, s13
	v_and_b32_e32 v0, 0xffff0000, v0
	s_wait_loadcnt 0x3
	v_lshlrev_b32_e32 v4, 16, v64
	s_delay_alu instid0(VALU_DEP_1) | instskip(NEXT) | instid1(VALU_DEP_1)
	v_add_f32_e32 v4, v4, v0
	v_and_b32_e32 v0, 0x7f800000, v4
	s_delay_alu instid0(VALU_DEP_1) | instskip(SKIP_1) | instid1(SALU_CYCLE_1)
	v_cmp_ne_u32_e32 vcc_lo, 0x7f800000, v0
                                        ; implicit-def: $vgpr0
	s_and_saveexec_b32 s13, vcc_lo
	s_xor_b32 s13, exec_lo, s13
; %bb.2100:                             ;   in Loop: Header=BB12_1711 Depth=2
	v_bfe_u32 v0, v4, 16, 1
	s_delay_alu instid0(VALU_DEP_1)
	v_add3_u32 v0, v4, v0, 0x7fff
                                        ; implicit-def: $vgpr4
; %bb.2101:                             ;   in Loop: Header=BB12_1711 Depth=2
	s_and_not1_saveexec_b32 s13, s13
; %bb.2102:                             ;   in Loop: Header=BB12_1711 Depth=2
	v_and_b32_e32 v0, 0xffff, v4
	v_or_b32_e32 v5, 0x10000, v4
	s_delay_alu instid0(VALU_DEP_2) | instskip(NEXT) | instid1(VALU_DEP_2)
	v_cmp_eq_u32_e32 vcc_lo, 0, v0
	v_cndmask_b32_e32 v0, v5, v4, vcc_lo
; %bb.2103:                             ;   in Loop: Header=BB12_1711 Depth=2
	s_or_b32 exec_lo, exec_lo, s13
	v_and_b32_e32 v4, 0xffff0000, v64
	v_and_b32_e32 v5, 0xffff0000, v126
	s_mov_b32 s13, exec_lo
                                        ; implicit-def: $vgpr64
	s_delay_alu instid0(VALU_DEP_1) | instskip(NEXT) | instid1(VALU_DEP_1)
	v_add_f32_e32 v4, v4, v5
	v_and_b32_e32 v5, 0x7f800000, v4
	s_delay_alu instid0(VALU_DEP_1)
	v_cmpx_ne_u32_e32 0x7f800000, v5
	s_xor_b32 s13, exec_lo, s13
; %bb.2104:                             ;   in Loop: Header=BB12_1711 Depth=2
	v_bfe_u32 v5, v4, 16, 1
	s_delay_alu instid0(VALU_DEP_1)
	v_add3_u32 v64, v4, v5, 0x7fff
                                        ; implicit-def: $vgpr4
; %bb.2105:                             ;   in Loop: Header=BB12_1711 Depth=2
	s_and_not1_saveexec_b32 s13, s13
; %bb.2106:                             ;   in Loop: Header=BB12_1711 Depth=2
	v_and_b32_e32 v5, 0xffff, v4
	v_or_b32_e32 v6, 0x10000, v4
	s_delay_alu instid0(VALU_DEP_2) | instskip(NEXT) | instid1(VALU_DEP_2)
	v_cmp_eq_u32_e32 vcc_lo, 0, v5
	v_cndmask_b32_e32 v64, v6, v4, vcc_lo
; %bb.2107:                             ;   in Loop: Header=BB12_1711 Depth=2
	s_or_b32 exec_lo, exec_lo, s13
	v_and_b32_e32 v4, 0xffff0000, v110
	v_lshlrev_b32_e32 v5, 16, v65
	s_mov_b32 s13, exec_lo
                                        ; implicit-def: $vgpr82
	s_delay_alu instid0(VALU_DEP_1) | instskip(NEXT) | instid1(VALU_DEP_1)
	v_add_f32_e32 v4, v5, v4
	v_and_b32_e32 v5, 0x7f800000, v4
	s_delay_alu instid0(VALU_DEP_1)
	v_cmpx_ne_u32_e32 0x7f800000, v5
	s_xor_b32 s13, exec_lo, s13
; %bb.2108:                             ;   in Loop: Header=BB12_1711 Depth=2
	v_bfe_u32 v5, v4, 16, 1
	s_delay_alu instid0(VALU_DEP_1)
	v_add3_u32 v82, v4, v5, 0x7fff
                                        ; implicit-def: $vgpr4
; %bb.2109:                             ;   in Loop: Header=BB12_1711 Depth=2
	s_and_not1_saveexec_b32 s13, s13
; %bb.2110:                             ;   in Loop: Header=BB12_1711 Depth=2
	v_and_b32_e32 v5, 0xffff, v4
	v_or_b32_e32 v6, 0x10000, v4
	s_delay_alu instid0(VALU_DEP_2) | instskip(NEXT) | instid1(VALU_DEP_2)
	v_cmp_eq_u32_e32 vcc_lo, 0, v5
	v_cndmask_b32_e32 v82, v6, v4, vcc_lo
; %bb.2111:                             ;   in Loop: Header=BB12_1711 Depth=2
	s_or_b32 exec_lo, exec_lo, s13
	v_and_b32_e32 v4, 0xffff0000, v65
	v_and_b32_e32 v5, 0xffff0000, v94
	s_mov_b32 s13, exec_lo
                                        ; implicit-def: $vgpr65
	s_delay_alu instid0(VALU_DEP_1) | instskip(NEXT) | instid1(VALU_DEP_1)
	v_add_f32_e32 v4, v4, v5
	v_and_b32_e32 v5, 0x7f800000, v4
	s_delay_alu instid0(VALU_DEP_1)
	v_cmpx_ne_u32_e32 0x7f800000, v5
	s_xor_b32 s13, exec_lo, s13
; %bb.2112:                             ;   in Loop: Header=BB12_1711 Depth=2
	v_bfe_u32 v5, v4, 16, 1
	s_delay_alu instid0(VALU_DEP_1)
	v_add3_u32 v65, v4, v5, 0x7fff
                                        ; implicit-def: $vgpr4
; %bb.2113:                             ;   in Loop: Header=BB12_1711 Depth=2
	s_and_not1_saveexec_b32 s13, s13
; %bb.2114:                             ;   in Loop: Header=BB12_1711 Depth=2
	v_and_b32_e32 v5, 0xffff, v4
	v_or_b32_e32 v6, 0x10000, v4
	s_delay_alu instid0(VALU_DEP_2) | instskip(NEXT) | instid1(VALU_DEP_2)
	v_cmp_eq_u32_e32 vcc_lo, 0, v5
	v_cndmask_b32_e32 v65, v6, v4, vcc_lo
; %bb.2115:                             ;   in Loop: Header=BB12_1711 Depth=2
	s_or_b32 exec_lo, exec_lo, s13
	v_and_b32_e32 v4, 0xffff0000, v95
	v_lshlrev_b32_e32 v5, 16, v66
	s_mov_b32 s13, exec_lo
                                        ; implicit-def: $vgpr83
	s_delay_alu instid0(VALU_DEP_1) | instskip(NEXT) | instid1(VALU_DEP_1)
	v_add_f32_e32 v4, v5, v4
	v_and_b32_e32 v5, 0x7f800000, v4
	s_delay_alu instid0(VALU_DEP_1)
	v_cmpx_ne_u32_e32 0x7f800000, v5
	s_xor_b32 s13, exec_lo, s13
; %bb.2116:                             ;   in Loop: Header=BB12_1711 Depth=2
	v_bfe_u32 v5, v4, 16, 1
	s_delay_alu instid0(VALU_DEP_1)
	v_add3_u32 v83, v4, v5, 0x7fff
                                        ; implicit-def: $vgpr4
; %bb.2117:                             ;   in Loop: Header=BB12_1711 Depth=2
	s_and_not1_saveexec_b32 s13, s13
; %bb.2118:                             ;   in Loop: Header=BB12_1711 Depth=2
	v_and_b32_e32 v5, 0xffff, v4
	v_or_b32_e32 v6, 0x10000, v4
	s_delay_alu instid0(VALU_DEP_2) | instskip(NEXT) | instid1(VALU_DEP_2)
	v_cmp_eq_u32_e32 vcc_lo, 0, v5
	v_cndmask_b32_e32 v83, v6, v4, vcc_lo
; %bb.2119:                             ;   in Loop: Header=BB12_1711 Depth=2
	s_or_b32 exec_lo, exec_lo, s13
	v_and_b32_e32 v4, 0xffff0000, v66
	v_and_b32_e32 v5, 0xffff0000, v60
	s_mov_b32 s13, exec_lo
                                        ; implicit-def: $vgpr66
	s_delay_alu instid0(VALU_DEP_1) | instskip(NEXT) | instid1(VALU_DEP_1)
	v_add_f32_e32 v4, v4, v5
	v_and_b32_e32 v5, 0x7f800000, v4
	s_delay_alu instid0(VALU_DEP_1)
	v_cmpx_ne_u32_e32 0x7f800000, v5
	s_xor_b32 s13, exec_lo, s13
; %bb.2120:                             ;   in Loop: Header=BB12_1711 Depth=2
	v_bfe_u32 v5, v4, 16, 1
	s_delay_alu instid0(VALU_DEP_1)
	v_add3_u32 v66, v4, v5, 0x7fff
                                        ; implicit-def: $vgpr4
; %bb.2121:                             ;   in Loop: Header=BB12_1711 Depth=2
	s_and_not1_saveexec_b32 s13, s13
; %bb.2122:                             ;   in Loop: Header=BB12_1711 Depth=2
	v_and_b32_e32 v5, 0xffff, v4
	v_or_b32_e32 v6, 0x10000, v4
	s_delay_alu instid0(VALU_DEP_2) | instskip(NEXT) | instid1(VALU_DEP_2)
	v_cmp_eq_u32_e32 vcc_lo, 0, v5
	v_cndmask_b32_e32 v66, v6, v4, vcc_lo
; %bb.2123:                             ;   in Loop: Header=BB12_1711 Depth=2
	s_or_b32 exec_lo, exec_lo, s13
	v_and_b32_e32 v4, 0xffff0000, v125
	v_lshlrev_b32_e32 v5, 16, v67
	s_mov_b32 s13, exec_lo
                                        ; implicit-def: $vgpr60
	s_delay_alu instid0(VALU_DEP_1) | instskip(NEXT) | instid1(VALU_DEP_1)
	v_add_f32_e32 v4, v5, v4
	v_and_b32_e32 v5, 0x7f800000, v4
	s_delay_alu instid0(VALU_DEP_1)
	v_cmpx_ne_u32_e32 0x7f800000, v5
	s_xor_b32 s13, exec_lo, s13
; %bb.2124:                             ;   in Loop: Header=BB12_1711 Depth=2
	v_bfe_u32 v5, v4, 16, 1
	s_delay_alu instid0(VALU_DEP_1)
	v_add3_u32 v60, v4, v5, 0x7fff
                                        ; implicit-def: $vgpr4
; %bb.2125:                             ;   in Loop: Header=BB12_1711 Depth=2
	s_and_not1_saveexec_b32 s13, s13
; %bb.2126:                             ;   in Loop: Header=BB12_1711 Depth=2
	v_and_b32_e32 v5, 0xffff, v4
	v_or_b32_e32 v6, 0x10000, v4
	s_delay_alu instid0(VALU_DEP_2) | instskip(NEXT) | instid1(VALU_DEP_2)
	v_cmp_eq_u32_e32 vcc_lo, 0, v5
	v_cndmask_b32_e32 v60, v6, v4, vcc_lo
; %bb.2127:                             ;   in Loop: Header=BB12_1711 Depth=2
	s_or_b32 exec_lo, exec_lo, s13
	v_and_b32_e32 v4, 0xffff0000, v67
	v_and_b32_e32 v5, 0xffff0000, v118
	s_mov_b32 s13, exec_lo
                                        ; implicit-def: $vgpr67
	s_delay_alu instid0(VALU_DEP_1) | instskip(NEXT) | instid1(VALU_DEP_1)
	v_add_f32_e32 v4, v4, v5
	v_and_b32_e32 v5, 0x7f800000, v4
	s_delay_alu instid0(VALU_DEP_1)
	v_cmpx_ne_u32_e32 0x7f800000, v5
	s_xor_b32 s13, exec_lo, s13
; %bb.2128:                             ;   in Loop: Header=BB12_1711 Depth=2
	v_bfe_u32 v5, v4, 16, 1
	s_delay_alu instid0(VALU_DEP_1)
	v_add3_u32 v67, v4, v5, 0x7fff
                                        ; implicit-def: $vgpr4
; %bb.2129:                             ;   in Loop: Header=BB12_1711 Depth=2
	s_and_not1_saveexec_b32 s13, s13
; %bb.2130:                             ;   in Loop: Header=BB12_1711 Depth=2
	v_and_b32_e32 v5, 0xffff, v4
	v_or_b32_e32 v6, 0x10000, v4
	s_delay_alu instid0(VALU_DEP_2) | instskip(NEXT) | instid1(VALU_DEP_2)
	v_cmp_eq_u32_e32 vcc_lo, 0, v5
	v_cndmask_b32_e32 v67, v6, v4, vcc_lo
; %bb.2131:                             ;   in Loop: Header=BB12_1711 Depth=2
	s_or_b32 exec_lo, exec_lo, s13
	v_and_b32_e32 v4, 0xffff0000, v124
	s_wait_loadcnt 0x2
	v_lshlrev_b32_e32 v5, 16, v52
	s_mov_b32 s13, exec_lo
                                        ; implicit-def: $vgpr118
	s_delay_alu instid0(VALU_DEP_1) | instskip(NEXT) | instid1(VALU_DEP_1)
	v_add_f32_e32 v4, v5, v4
	v_and_b32_e32 v5, 0x7f800000, v4
	s_delay_alu instid0(VALU_DEP_1)
	v_cmpx_ne_u32_e32 0x7f800000, v5
	s_xor_b32 s13, exec_lo, s13
; %bb.2132:                             ;   in Loop: Header=BB12_1711 Depth=2
	v_bfe_u32 v5, v4, 16, 1
	s_delay_alu instid0(VALU_DEP_1)
	v_add3_u32 v118, v4, v5, 0x7fff
                                        ; implicit-def: $vgpr4
; %bb.2133:                             ;   in Loop: Header=BB12_1711 Depth=2
	s_and_not1_saveexec_b32 s13, s13
; %bb.2134:                             ;   in Loop: Header=BB12_1711 Depth=2
	v_and_b32_e32 v5, 0xffff, v4
	v_or_b32_e32 v6, 0x10000, v4
	s_delay_alu instid0(VALU_DEP_2) | instskip(NEXT) | instid1(VALU_DEP_2)
	v_cmp_eq_u32_e32 vcc_lo, 0, v5
	v_cndmask_b32_e32 v118, v6, v4, vcc_lo
; %bb.2135:                             ;   in Loop: Header=BB12_1711 Depth=2
	s_or_b32 exec_lo, exec_lo, s13
	v_and_b32_e32 v4, 0xffff0000, v52
	v_and_b32_e32 v5, 0xffff0000, v88
	s_mov_b32 s13, exec_lo
                                        ; implicit-def: $vgpr52
	s_delay_alu instid0(VALU_DEP_1) | instskip(NEXT) | instid1(VALU_DEP_1)
	v_add_f32_e32 v4, v4, v5
	v_and_b32_e32 v5, 0x7f800000, v4
	s_delay_alu instid0(VALU_DEP_1)
	v_cmpx_ne_u32_e32 0x7f800000, v5
	s_xor_b32 s13, exec_lo, s13
; %bb.2136:                             ;   in Loop: Header=BB12_1711 Depth=2
	v_bfe_u32 v5, v4, 16, 1
	s_delay_alu instid0(VALU_DEP_1)
	v_add3_u32 v52, v4, v5, 0x7fff
                                        ; implicit-def: $vgpr4
; %bb.2137:                             ;   in Loop: Header=BB12_1711 Depth=2
	s_and_not1_saveexec_b32 s13, s13
; %bb.2138:                             ;   in Loop: Header=BB12_1711 Depth=2
	v_and_b32_e32 v5, 0xffff, v4
	v_or_b32_e32 v6, 0x10000, v4
	s_delay_alu instid0(VALU_DEP_2) | instskip(NEXT) | instid1(VALU_DEP_2)
	v_cmp_eq_u32_e32 vcc_lo, 0, v5
	v_cndmask_b32_e32 v52, v6, v4, vcc_lo
; %bb.2139:                             ;   in Loop: Header=BB12_1711 Depth=2
	s_or_b32 exec_lo, exec_lo, s13
	v_and_b32_e32 v4, 0xffff0000, v89
	v_lshlrev_b32_e32 v5, 16, v53
	s_mov_b32 s13, exec_lo
                                        ; implicit-def: $vgpr88
	s_delay_alu instid0(VALU_DEP_1) | instskip(NEXT) | instid1(VALU_DEP_1)
	v_add_f32_e32 v4, v5, v4
	v_and_b32_e32 v5, 0x7f800000, v4
	s_delay_alu instid0(VALU_DEP_1)
	v_cmpx_ne_u32_e32 0x7f800000, v5
	s_xor_b32 s13, exec_lo, s13
; %bb.2140:                             ;   in Loop: Header=BB12_1711 Depth=2
	v_bfe_u32 v5, v4, 16, 1
	s_delay_alu instid0(VALU_DEP_1)
	v_add3_u32 v88, v4, v5, 0x7fff
                                        ; implicit-def: $vgpr4
; %bb.2141:                             ;   in Loop: Header=BB12_1711 Depth=2
	s_and_not1_saveexec_b32 s13, s13
; %bb.2142:                             ;   in Loop: Header=BB12_1711 Depth=2
	v_and_b32_e32 v5, 0xffff, v4
	v_or_b32_e32 v6, 0x10000, v4
	s_delay_alu instid0(VALU_DEP_2) | instskip(NEXT) | instid1(VALU_DEP_2)
	v_cmp_eq_u32_e32 vcc_lo, 0, v5
	v_cndmask_b32_e32 v88, v6, v4, vcc_lo
; %bb.2143:                             ;   in Loop: Header=BB12_1711 Depth=2
	s_or_b32 exec_lo, exec_lo, s13
	v_and_b32_e32 v4, 0xffff0000, v53
	v_and_b32_e32 v5, 0xffff0000, v31
	s_mov_b32 s13, exec_lo
                                        ; implicit-def: $vgpr31
	s_delay_alu instid0(VALU_DEP_1) | instskip(NEXT) | instid1(VALU_DEP_1)
	v_add_f32_e32 v4, v4, v5
	v_and_b32_e32 v5, 0x7f800000, v4
	s_delay_alu instid0(VALU_DEP_1)
	v_cmpx_ne_u32_e32 0x7f800000, v5
	s_xor_b32 s13, exec_lo, s13
; %bb.2144:                             ;   in Loop: Header=BB12_1711 Depth=2
	v_bfe_u32 v5, v4, 16, 1
	s_delay_alu instid0(VALU_DEP_1)
	v_add3_u32 v31, v4, v5, 0x7fff
                                        ; implicit-def: $vgpr4
; %bb.2145:                             ;   in Loop: Header=BB12_1711 Depth=2
	s_and_not1_saveexec_b32 s13, s13
; %bb.2146:                             ;   in Loop: Header=BB12_1711 Depth=2
	v_and_b32_e32 v5, 0xffff, v4
	v_or_b32_e32 v6, 0x10000, v4
	s_delay_alu instid0(VALU_DEP_2) | instskip(NEXT) | instid1(VALU_DEP_2)
	v_cmp_eq_u32_e32 vcc_lo, 0, v5
	v_cndmask_b32_e32 v31, v6, v4, vcc_lo
; %bb.2147:                             ;   in Loop: Header=BB12_1711 Depth=2
	s_or_b32 exec_lo, exec_lo, s13
	v_and_b32_e32 v4, 0xffff0000, v45
	v_lshlrev_b32_e32 v5, 16, v54
	s_mov_b32 s13, exec_lo
                                        ; implicit-def: $vgpr53
	s_delay_alu instid0(VALU_DEP_1) | instskip(NEXT) | instid1(VALU_DEP_1)
	v_add_f32_e32 v4, v5, v4
	v_and_b32_e32 v5, 0x7f800000, v4
	s_delay_alu instid0(VALU_DEP_1)
	v_cmpx_ne_u32_e32 0x7f800000, v5
	s_xor_b32 s13, exec_lo, s13
; %bb.2148:                             ;   in Loop: Header=BB12_1711 Depth=2
	v_bfe_u32 v5, v4, 16, 1
	s_delay_alu instid0(VALU_DEP_1)
	v_add3_u32 v53, v4, v5, 0x7fff
                                        ; implicit-def: $vgpr4
; %bb.2149:                             ;   in Loop: Header=BB12_1711 Depth=2
	s_and_not1_saveexec_b32 s13, s13
; %bb.2150:                             ;   in Loop: Header=BB12_1711 Depth=2
	v_and_b32_e32 v5, 0xffff, v4
	v_or_b32_e32 v6, 0x10000, v4
	s_delay_alu instid0(VALU_DEP_2) | instskip(NEXT) | instid1(VALU_DEP_2)
	v_cmp_eq_u32_e32 vcc_lo, 0, v5
	v_cndmask_b32_e32 v53, v6, v4, vcc_lo
; %bb.2151:                             ;   in Loop: Header=BB12_1711 Depth=2
	s_or_b32 exec_lo, exec_lo, s13
	v_and_b32_e32 v4, 0xffff0000, v54
	v_and_b32_e32 v5, 0xffff0000, v43
	s_mov_b32 s13, exec_lo
                                        ; implicit-def: $vgpr54
	s_delay_alu instid0(VALU_DEP_1) | instskip(NEXT) | instid1(VALU_DEP_1)
	v_add_f32_e32 v4, v4, v5
	v_and_b32_e32 v5, 0x7f800000, v4
	s_delay_alu instid0(VALU_DEP_1)
	v_cmpx_ne_u32_e32 0x7f800000, v5
	s_xor_b32 s13, exec_lo, s13
; %bb.2152:                             ;   in Loop: Header=BB12_1711 Depth=2
	v_bfe_u32 v5, v4, 16, 1
	s_delay_alu instid0(VALU_DEP_1)
	v_add3_u32 v54, v4, v5, 0x7fff
                                        ; implicit-def: $vgpr4
; %bb.2153:                             ;   in Loop: Header=BB12_1711 Depth=2
	s_and_not1_saveexec_b32 s13, s13
; %bb.2154:                             ;   in Loop: Header=BB12_1711 Depth=2
	v_and_b32_e32 v5, 0xffff, v4
	v_or_b32_e32 v6, 0x10000, v4
	s_delay_alu instid0(VALU_DEP_2) | instskip(NEXT) | instid1(VALU_DEP_2)
	v_cmp_eq_u32_e32 vcc_lo, 0, v5
	v_cndmask_b32_e32 v54, v6, v4, vcc_lo
; %bb.2155:                             ;   in Loop: Header=BB12_1711 Depth=2
	s_or_b32 exec_lo, exec_lo, s13
	v_and_b32_e32 v4, 0xffff0000, v44
	v_lshlrev_b32_e32 v5, 16, v55
	s_mov_b32 s13, exec_lo
                                        ; implicit-def: $vgpr43
	s_delay_alu instid0(VALU_DEP_1) | instskip(NEXT) | instid1(VALU_DEP_1)
	v_add_f32_e32 v4, v5, v4
	v_and_b32_e32 v5, 0x7f800000, v4
	s_delay_alu instid0(VALU_DEP_1)
	v_cmpx_ne_u32_e32 0x7f800000, v5
	s_xor_b32 s13, exec_lo, s13
; %bb.2156:                             ;   in Loop: Header=BB12_1711 Depth=2
	v_bfe_u32 v5, v4, 16, 1
	s_delay_alu instid0(VALU_DEP_1)
	v_add3_u32 v43, v4, v5, 0x7fff
                                        ; implicit-def: $vgpr4
; %bb.2157:                             ;   in Loop: Header=BB12_1711 Depth=2
	s_and_not1_saveexec_b32 s13, s13
; %bb.2158:                             ;   in Loop: Header=BB12_1711 Depth=2
	v_and_b32_e32 v5, 0xffff, v4
	v_or_b32_e32 v6, 0x10000, v4
	s_delay_alu instid0(VALU_DEP_2) | instskip(NEXT) | instid1(VALU_DEP_2)
	v_cmp_eq_u32_e32 vcc_lo, 0, v5
	v_cndmask_b32_e32 v43, v6, v4, vcc_lo
; %bb.2159:                             ;   in Loop: Header=BB12_1711 Depth=2
	s_or_b32 exec_lo, exec_lo, s13
	v_and_b32_e32 v4, 0xffff0000, v55
	v_and_b32_e32 v5, 0xffff0000, v116
	s_delay_alu instid0(VALU_DEP_1) | instskip(NEXT) | instid1(VALU_DEP_1)
	v_add_f32_e32 v5, v4, v5
	v_and_b32_e32 v4, 0x7f800000, v5
	s_delay_alu instid0(VALU_DEP_1) | instskip(SKIP_1) | instid1(SALU_CYCLE_1)
	v_cmp_ne_u32_e32 vcc_lo, 0x7f800000, v4
                                        ; implicit-def: $vgpr4
	s_and_saveexec_b32 s13, vcc_lo
	s_xor_b32 s13, exec_lo, s13
; %bb.2160:                             ;   in Loop: Header=BB12_1711 Depth=2
	v_bfe_u32 v4, v5, 16, 1
	s_delay_alu instid0(VALU_DEP_1)
	v_add3_u32 v4, v5, v4, 0x7fff
                                        ; implicit-def: $vgpr5
; %bb.2161:                             ;   in Loop: Header=BB12_1711 Depth=2
	s_and_not1_saveexec_b32 s13, s13
; %bb.2162:                             ;   in Loop: Header=BB12_1711 Depth=2
	v_and_b32_e32 v4, 0xffff, v5
	v_or_b32_e32 v6, 0x10000, v5
	s_delay_alu instid0(VALU_DEP_2) | instskip(NEXT) | instid1(VALU_DEP_2)
	v_cmp_eq_u32_e32 vcc_lo, 0, v4
	v_cndmask_b32_e32 v4, v6, v5, vcc_lo
; %bb.2163:                             ;   in Loop: Header=BB12_1711 Depth=2
	s_or_b32 exec_lo, exec_lo, s13
	v_and_b32_e32 v5, 0xffff0000, v117
	s_wait_loadcnt 0x1
	v_lshlrev_b32_e32 v6, 16, v36
	s_delay_alu instid0(VALU_DEP_1) | instskip(NEXT) | instid1(VALU_DEP_1)
	v_add_f32_e32 v6, v6, v5
	v_and_b32_e32 v5, 0x7f800000, v6
	s_delay_alu instid0(VALU_DEP_1) | instskip(SKIP_1) | instid1(SALU_CYCLE_1)
	v_cmp_ne_u32_e32 vcc_lo, 0x7f800000, v5
                                        ; implicit-def: $vgpr5
	s_and_saveexec_b32 s13, vcc_lo
	s_xor_b32 s13, exec_lo, s13
; %bb.2164:                             ;   in Loop: Header=BB12_1711 Depth=2
	v_bfe_u32 v5, v6, 16, 1
	s_delay_alu instid0(VALU_DEP_1)
	v_add3_u32 v5, v6, v5, 0x7fff
                                        ; implicit-def: $vgpr6
; %bb.2165:                             ;   in Loop: Header=BB12_1711 Depth=2
	s_and_not1_saveexec_b32 s13, s13
; %bb.2166:                             ;   in Loop: Header=BB12_1711 Depth=2
	v_and_b32_e32 v5, 0xffff, v6
	v_or_b32_e32 v7, 0x10000, v6
	s_delay_alu instid0(VALU_DEP_2) | instskip(NEXT) | instid1(VALU_DEP_2)
	v_cmp_eq_u32_e32 vcc_lo, 0, v5
	v_cndmask_b32_e32 v5, v7, v6, vcc_lo
; %bb.2167:                             ;   in Loop: Header=BB12_1711 Depth=2
	s_or_b32 exec_lo, exec_lo, s13
	v_and_b32_e32 v6, 0xffff0000, v36
	v_and_b32_e32 v7, 0xffff0000, v114
	s_mov_b32 s13, exec_lo
                                        ; implicit-def: $vgpr36
	s_delay_alu instid0(VALU_DEP_1) | instskip(NEXT) | instid1(VALU_DEP_1)
	v_add_f32_e32 v6, v6, v7
	v_and_b32_e32 v7, 0x7f800000, v6
	s_delay_alu instid0(VALU_DEP_1)
	v_cmpx_ne_u32_e32 0x7f800000, v7
	s_xor_b32 s13, exec_lo, s13
; %bb.2168:                             ;   in Loop: Header=BB12_1711 Depth=2
	v_bfe_u32 v7, v6, 16, 1
	s_delay_alu instid0(VALU_DEP_1)
	v_add3_u32 v36, v6, v7, 0x7fff
                                        ; implicit-def: $vgpr6
; %bb.2169:                             ;   in Loop: Header=BB12_1711 Depth=2
	s_and_not1_saveexec_b32 s13, s13
; %bb.2170:                             ;   in Loop: Header=BB12_1711 Depth=2
	v_and_b32_e32 v7, 0xffff, v6
	v_or_b32_e32 v8, 0x10000, v6
	s_delay_alu instid0(VALU_DEP_2) | instskip(NEXT) | instid1(VALU_DEP_2)
	v_cmp_eq_u32_e32 vcc_lo, 0, v7
	v_cndmask_b32_e32 v36, v8, v6, vcc_lo
; %bb.2171:                             ;   in Loop: Header=BB12_1711 Depth=2
	s_or_b32 exec_lo, exec_lo, s13
	v_and_b32_e32 v6, 0xffff0000, v115
	v_lshlrev_b32_e32 v7, 16, v37
	s_mov_b32 s13, exec_lo
                                        ; implicit-def: $vgpr55
	s_delay_alu instid0(VALU_DEP_1) | instskip(NEXT) | instid1(VALU_DEP_1)
	v_add_f32_e32 v6, v7, v6
	v_and_b32_e32 v7, 0x7f800000, v6
	s_delay_alu instid0(VALU_DEP_1)
	v_cmpx_ne_u32_e32 0x7f800000, v7
	s_xor_b32 s13, exec_lo, s13
; %bb.2172:                             ;   in Loop: Header=BB12_1711 Depth=2
	v_bfe_u32 v7, v6, 16, 1
	s_delay_alu instid0(VALU_DEP_1)
	v_add3_u32 v55, v6, v7, 0x7fff
                                        ; implicit-def: $vgpr6
; %bb.2173:                             ;   in Loop: Header=BB12_1711 Depth=2
	s_and_not1_saveexec_b32 s13, s13
; %bb.2174:                             ;   in Loop: Header=BB12_1711 Depth=2
	v_and_b32_e32 v7, 0xffff, v6
	v_or_b32_e32 v8, 0x10000, v6
	s_delay_alu instid0(VALU_DEP_2) | instskip(NEXT) | instid1(VALU_DEP_2)
	v_cmp_eq_u32_e32 vcc_lo, 0, v7
	v_cndmask_b32_e32 v55, v8, v6, vcc_lo
; %bb.2175:                             ;   in Loop: Header=BB12_1711 Depth=2
	s_or_b32 exec_lo, exec_lo, s13
	v_and_b32_e32 v6, 0xffff0000, v37
	v_and_b32_e32 v7, 0xffff0000, v112
	s_mov_b32 s13, exec_lo
                                        ; implicit-def: $vgpr37
	s_delay_alu instid0(VALU_DEP_1) | instskip(NEXT) | instid1(VALU_DEP_1)
	v_add_f32_e32 v6, v6, v7
	v_and_b32_e32 v7, 0x7f800000, v6
	s_delay_alu instid0(VALU_DEP_1)
	v_cmpx_ne_u32_e32 0x7f800000, v7
	s_xor_b32 s13, exec_lo, s13
; %bb.2176:                             ;   in Loop: Header=BB12_1711 Depth=2
	v_bfe_u32 v7, v6, 16, 1
	s_delay_alu instid0(VALU_DEP_1)
	v_add3_u32 v37, v6, v7, 0x7fff
                                        ; implicit-def: $vgpr6
; %bb.2177:                             ;   in Loop: Header=BB12_1711 Depth=2
	s_and_not1_saveexec_b32 s13, s13
; %bb.2178:                             ;   in Loop: Header=BB12_1711 Depth=2
	v_and_b32_e32 v7, 0xffff, v6
	v_or_b32_e32 v8, 0x10000, v6
	s_delay_alu instid0(VALU_DEP_2) | instskip(NEXT) | instid1(VALU_DEP_2)
	v_cmp_eq_u32_e32 vcc_lo, 0, v7
	v_cndmask_b32_e32 v37, v8, v6, vcc_lo
; %bb.2179:                             ;   in Loop: Header=BB12_1711 Depth=2
	s_or_b32 exec_lo, exec_lo, s13
	v_and_b32_e32 v6, 0xffff0000, v113
	v_lshlrev_b32_e32 v7, 16, v38
	s_mov_b32 s13, exec_lo
                                        ; implicit-def: $vgpr112
	s_delay_alu instid0(VALU_DEP_1) | instskip(NEXT) | instid1(VALU_DEP_1)
	v_add_f32_e32 v6, v7, v6
	v_and_b32_e32 v7, 0x7f800000, v6
	s_delay_alu instid0(VALU_DEP_1)
	v_cmpx_ne_u32_e32 0x7f800000, v7
	s_xor_b32 s13, exec_lo, s13
; %bb.2180:                             ;   in Loop: Header=BB12_1711 Depth=2
	v_bfe_u32 v7, v6, 16, 1
	s_delay_alu instid0(VALU_DEP_1)
	v_add3_u32 v112, v6, v7, 0x7fff
                                        ; implicit-def: $vgpr6
; %bb.2181:                             ;   in Loop: Header=BB12_1711 Depth=2
	s_and_not1_saveexec_b32 s13, s13
; %bb.2182:                             ;   in Loop: Header=BB12_1711 Depth=2
	v_and_b32_e32 v7, 0xffff, v6
	v_or_b32_e32 v8, 0x10000, v6
	s_delay_alu instid0(VALU_DEP_2) | instskip(NEXT) | instid1(VALU_DEP_2)
	v_cmp_eq_u32_e32 vcc_lo, 0, v7
	v_cndmask_b32_e32 v112, v8, v6, vcc_lo
; %bb.2183:                             ;   in Loop: Header=BB12_1711 Depth=2
	s_or_b32 exec_lo, exec_lo, s13
	v_and_b32_e32 v6, 0xffff0000, v38
	v_and_b32_e32 v7, 0xffff0000, v102
	s_mov_b32 s13, exec_lo
                                        ; implicit-def: $vgpr38
	s_delay_alu instid0(VALU_DEP_1) | instskip(NEXT) | instid1(VALU_DEP_1)
	v_add_f32_e32 v6, v6, v7
	v_and_b32_e32 v7, 0x7f800000, v6
	s_delay_alu instid0(VALU_DEP_1)
	v_cmpx_ne_u32_e32 0x7f800000, v7
	s_xor_b32 s13, exec_lo, s13
; %bb.2184:                             ;   in Loop: Header=BB12_1711 Depth=2
	v_bfe_u32 v7, v6, 16, 1
	s_delay_alu instid0(VALU_DEP_1)
	v_add3_u32 v38, v6, v7, 0x7fff
                                        ; implicit-def: $vgpr6
; %bb.2185:                             ;   in Loop: Header=BB12_1711 Depth=2
	s_and_not1_saveexec_b32 s13, s13
; %bb.2186:                             ;   in Loop: Header=BB12_1711 Depth=2
	v_and_b32_e32 v7, 0xffff, v6
	v_or_b32_e32 v8, 0x10000, v6
	s_delay_alu instid0(VALU_DEP_2) | instskip(NEXT) | instid1(VALU_DEP_2)
	v_cmp_eq_u32_e32 vcc_lo, 0, v7
	v_cndmask_b32_e32 v38, v8, v6, vcc_lo
; %bb.2187:                             ;   in Loop: Header=BB12_1711 Depth=2
	s_or_b32 exec_lo, exec_lo, s13
	v_and_b32_e32 v6, 0xffff0000, v103
	v_lshlrev_b32_e32 v7, 16, v39
	s_mov_b32 s13, exec_lo
                                        ; implicit-def: $vgpr102
	s_delay_alu instid0(VALU_DEP_1) | instskip(NEXT) | instid1(VALU_DEP_1)
	v_add_f32_e32 v6, v7, v6
	v_and_b32_e32 v7, 0x7f800000, v6
	s_delay_alu instid0(VALU_DEP_1)
	v_cmpx_ne_u32_e32 0x7f800000, v7
	s_xor_b32 s13, exec_lo, s13
; %bb.2188:                             ;   in Loop: Header=BB12_1711 Depth=2
	v_bfe_u32 v7, v6, 16, 1
	s_delay_alu instid0(VALU_DEP_1)
	v_add3_u32 v102, v6, v7, 0x7fff
                                        ; implicit-def: $vgpr6
; %bb.2189:                             ;   in Loop: Header=BB12_1711 Depth=2
	s_and_not1_saveexec_b32 s13, s13
; %bb.2190:                             ;   in Loop: Header=BB12_1711 Depth=2
	v_and_b32_e32 v7, 0xffff, v6
	v_or_b32_e32 v8, 0x10000, v6
	s_delay_alu instid0(VALU_DEP_2) | instskip(NEXT) | instid1(VALU_DEP_2)
	v_cmp_eq_u32_e32 vcc_lo, 0, v7
	v_cndmask_b32_e32 v102, v8, v6, vcc_lo
; %bb.2191:                             ;   in Loop: Header=BB12_1711 Depth=2
	s_or_b32 exec_lo, exec_lo, s13
	v_and_b32_e32 v6, 0xffff0000, v39
	v_and_b32_e32 v7, 0xffff0000, v100
	s_mov_b32 s13, exec_lo
                                        ; implicit-def: $vgpr39
	s_delay_alu instid0(VALU_DEP_1) | instskip(NEXT) | instid1(VALU_DEP_1)
	v_add_f32_e32 v6, v6, v7
	v_and_b32_e32 v7, 0x7f800000, v6
	s_delay_alu instid0(VALU_DEP_1)
	v_cmpx_ne_u32_e32 0x7f800000, v7
	s_xor_b32 s13, exec_lo, s13
; %bb.2192:                             ;   in Loop: Header=BB12_1711 Depth=2
	v_bfe_u32 v7, v6, 16, 1
	s_delay_alu instid0(VALU_DEP_1)
	v_add3_u32 v39, v6, v7, 0x7fff
                                        ; implicit-def: $vgpr6
; %bb.2193:                             ;   in Loop: Header=BB12_1711 Depth=2
	s_and_not1_saveexec_b32 s13, s13
; %bb.2194:                             ;   in Loop: Header=BB12_1711 Depth=2
	v_and_b32_e32 v7, 0xffff, v6
	v_or_b32_e32 v8, 0x10000, v6
	s_delay_alu instid0(VALU_DEP_2) | instskip(NEXT) | instid1(VALU_DEP_2)
	v_cmp_eq_u32_e32 vcc_lo, 0, v7
	v_cndmask_b32_e32 v39, v8, v6, vcc_lo
; %bb.2195:                             ;   in Loop: Header=BB12_1711 Depth=2
	s_or_b32 exec_lo, exec_lo, s13
	v_and_b32_e32 v6, 0xffff0000, v101
	s_wait_loadcnt 0x0
	v_lshlrev_b32_e32 v7, 16, v32
	s_mov_b32 s13, exec_lo
                                        ; implicit-def: $vgpr100
	s_delay_alu instid0(VALU_DEP_1) | instskip(NEXT) | instid1(VALU_DEP_1)
	v_add_f32_e32 v6, v7, v6
	v_and_b32_e32 v7, 0x7f800000, v6
	s_delay_alu instid0(VALU_DEP_1)
	v_cmpx_ne_u32_e32 0x7f800000, v7
	s_xor_b32 s13, exec_lo, s13
; %bb.2196:                             ;   in Loop: Header=BB12_1711 Depth=2
	v_bfe_u32 v7, v6, 16, 1
	s_delay_alu instid0(VALU_DEP_1)
	v_add3_u32 v100, v6, v7, 0x7fff
                                        ; implicit-def: $vgpr6
; %bb.2197:                             ;   in Loop: Header=BB12_1711 Depth=2
	s_and_not1_saveexec_b32 s13, s13
; %bb.2198:                             ;   in Loop: Header=BB12_1711 Depth=2
	v_and_b32_e32 v7, 0xffff, v6
	v_or_b32_e32 v8, 0x10000, v6
	s_delay_alu instid0(VALU_DEP_2) | instskip(NEXT) | instid1(VALU_DEP_2)
	v_cmp_eq_u32_e32 vcc_lo, 0, v7
	v_cndmask_b32_e32 v100, v8, v6, vcc_lo
; %bb.2199:                             ;   in Loop: Header=BB12_1711 Depth=2
	s_or_b32 exec_lo, exec_lo, s13
	v_and_b32_e32 v6, 0xffff0000, v32
	v_and_b32_e32 v7, 0xffff0000, v86
	s_mov_b32 s13, exec_lo
                                        ; implicit-def: $vgpr32
	s_delay_alu instid0(VALU_DEP_1) | instskip(NEXT) | instid1(VALU_DEP_1)
	v_add_f32_e32 v6, v6, v7
	v_and_b32_e32 v7, 0x7f800000, v6
	s_delay_alu instid0(VALU_DEP_1)
	v_cmpx_ne_u32_e32 0x7f800000, v7
	s_xor_b32 s13, exec_lo, s13
; %bb.2200:                             ;   in Loop: Header=BB12_1711 Depth=2
	v_bfe_u32 v7, v6, 16, 1
	s_delay_alu instid0(VALU_DEP_1)
	v_add3_u32 v32, v6, v7, 0x7fff
                                        ; implicit-def: $vgpr6
; %bb.2201:                             ;   in Loop: Header=BB12_1711 Depth=2
	s_and_not1_saveexec_b32 s13, s13
; %bb.2202:                             ;   in Loop: Header=BB12_1711 Depth=2
	v_and_b32_e32 v7, 0xffff, v6
	v_or_b32_e32 v8, 0x10000, v6
	s_delay_alu instid0(VALU_DEP_2) | instskip(NEXT) | instid1(VALU_DEP_2)
	v_cmp_eq_u32_e32 vcc_lo, 0, v7
	v_cndmask_b32_e32 v32, v8, v6, vcc_lo
; %bb.2203:                             ;   in Loop: Header=BB12_1711 Depth=2
	s_or_b32 exec_lo, exec_lo, s13
	v_and_b32_e32 v6, 0xffff0000, v87
	v_lshlrev_b32_e32 v7, 16, v33
	s_mov_b32 s13, exec_lo
                                        ; implicit-def: $vgpr86
	s_delay_alu instid0(VALU_DEP_1) | instskip(NEXT) | instid1(VALU_DEP_1)
	v_add_f32_e32 v6, v7, v6
	v_and_b32_e32 v7, 0x7f800000, v6
	s_delay_alu instid0(VALU_DEP_1)
	v_cmpx_ne_u32_e32 0x7f800000, v7
	s_xor_b32 s13, exec_lo, s13
; %bb.2204:                             ;   in Loop: Header=BB12_1711 Depth=2
	v_bfe_u32 v7, v6, 16, 1
	s_delay_alu instid0(VALU_DEP_1)
	v_add3_u32 v86, v6, v7, 0x7fff
                                        ; implicit-def: $vgpr6
; %bb.2205:                             ;   in Loop: Header=BB12_1711 Depth=2
	s_and_not1_saveexec_b32 s13, s13
; %bb.2206:                             ;   in Loop: Header=BB12_1711 Depth=2
	v_and_b32_e32 v7, 0xffff, v6
	v_or_b32_e32 v8, 0x10000, v6
	s_delay_alu instid0(VALU_DEP_2) | instskip(NEXT) | instid1(VALU_DEP_2)
	v_cmp_eq_u32_e32 vcc_lo, 0, v7
	v_cndmask_b32_e32 v86, v8, v6, vcc_lo
; %bb.2207:                             ;   in Loop: Header=BB12_1711 Depth=2
	s_or_b32 exec_lo, exec_lo, s13
	v_and_b32_e32 v6, 0xffff0000, v33
	v_and_b32_e32 v7, 0xffff0000, v84
	s_mov_b32 s13, exec_lo
                                        ; implicit-def: $vgpr33
	s_delay_alu instid0(VALU_DEP_1) | instskip(NEXT) | instid1(VALU_DEP_1)
	v_add_f32_e32 v6, v6, v7
	v_and_b32_e32 v7, 0x7f800000, v6
	s_delay_alu instid0(VALU_DEP_1)
	v_cmpx_ne_u32_e32 0x7f800000, v7
	s_xor_b32 s13, exec_lo, s13
; %bb.2208:                             ;   in Loop: Header=BB12_1711 Depth=2
	v_bfe_u32 v7, v6, 16, 1
	s_delay_alu instid0(VALU_DEP_1)
	v_add3_u32 v33, v6, v7, 0x7fff
                                        ; implicit-def: $vgpr6
; %bb.2209:                             ;   in Loop: Header=BB12_1711 Depth=2
	s_and_not1_saveexec_b32 s13, s13
; %bb.2210:                             ;   in Loop: Header=BB12_1711 Depth=2
	v_and_b32_e32 v7, 0xffff, v6
	v_or_b32_e32 v8, 0x10000, v6
	s_delay_alu instid0(VALU_DEP_2) | instskip(NEXT) | instid1(VALU_DEP_2)
	v_cmp_eq_u32_e32 vcc_lo, 0, v7
	v_cndmask_b32_e32 v33, v8, v6, vcc_lo
; %bb.2211:                             ;   in Loop: Header=BB12_1711 Depth=2
	s_or_b32 exec_lo, exec_lo, s13
	v_and_b32_e32 v6, 0xffff0000, v85
	v_lshlrev_b32_e32 v7, 16, v34
	s_mov_b32 s13, exec_lo
                                        ; implicit-def: $vgpr84
	s_delay_alu instid0(VALU_DEP_1) | instskip(NEXT) | instid1(VALU_DEP_1)
	v_add_f32_e32 v6, v7, v6
	v_and_b32_e32 v7, 0x7f800000, v6
	s_delay_alu instid0(VALU_DEP_1)
	v_cmpx_ne_u32_e32 0x7f800000, v7
	s_xor_b32 s13, exec_lo, s13
; %bb.2212:                             ;   in Loop: Header=BB12_1711 Depth=2
	v_bfe_u32 v7, v6, 16, 1
	s_delay_alu instid0(VALU_DEP_1)
	v_add3_u32 v84, v6, v7, 0x7fff
                                        ; implicit-def: $vgpr6
; %bb.2213:                             ;   in Loop: Header=BB12_1711 Depth=2
	s_and_not1_saveexec_b32 s13, s13
; %bb.2214:                             ;   in Loop: Header=BB12_1711 Depth=2
	v_and_b32_e32 v7, 0xffff, v6
	v_or_b32_e32 v8, 0x10000, v6
	s_delay_alu instid0(VALU_DEP_2) | instskip(NEXT) | instid1(VALU_DEP_2)
	v_cmp_eq_u32_e32 vcc_lo, 0, v7
	v_cndmask_b32_e32 v84, v8, v6, vcc_lo
; %bb.2215:                             ;   in Loop: Header=BB12_1711 Depth=2
	s_or_b32 exec_lo, exec_lo, s13
	v_and_b32_e32 v6, 0xffff0000, v34
	v_and_b32_e32 v7, 0xffff0000, v80
	s_delay_alu instid0(VALU_DEP_1) | instskip(NEXT) | instid1(VALU_DEP_1)
	v_add_f32_e32 v7, v6, v7
	v_and_b32_e32 v6, 0x7f800000, v7
	s_delay_alu instid0(VALU_DEP_1) | instskip(SKIP_1) | instid1(SALU_CYCLE_1)
	v_cmp_ne_u32_e32 vcc_lo, 0x7f800000, v6
                                        ; implicit-def: $vgpr6
	s_and_saveexec_b32 s13, vcc_lo
	s_xor_b32 s13, exec_lo, s13
; %bb.2216:                             ;   in Loop: Header=BB12_1711 Depth=2
	v_bfe_u32 v6, v7, 16, 1
	s_delay_alu instid0(VALU_DEP_1)
	v_add3_u32 v6, v7, v6, 0x7fff
                                        ; implicit-def: $vgpr7
; %bb.2217:                             ;   in Loop: Header=BB12_1711 Depth=2
	s_and_not1_saveexec_b32 s13, s13
; %bb.2218:                             ;   in Loop: Header=BB12_1711 Depth=2
	v_and_b32_e32 v6, 0xffff, v7
	v_or_b32_e32 v8, 0x10000, v7
	s_delay_alu instid0(VALU_DEP_2) | instskip(NEXT) | instid1(VALU_DEP_2)
	v_cmp_eq_u32_e32 vcc_lo, 0, v6
	v_cndmask_b32_e32 v6, v8, v7, vcc_lo
; %bb.2219:                             ;   in Loop: Header=BB12_1711 Depth=2
	s_or_b32 exec_lo, exec_lo, s13
	v_and_b32_e32 v7, 0xffff0000, v81
	v_lshlrev_b32_e32 v8, 16, v35
	s_delay_alu instid0(VALU_DEP_1) | instskip(NEXT) | instid1(VALU_DEP_1)
	v_add_f32_e32 v8, v8, v7
	v_and_b32_e32 v7, 0x7f800000, v8
	s_delay_alu instid0(VALU_DEP_1) | instskip(SKIP_1) | instid1(SALU_CYCLE_1)
	v_cmp_ne_u32_e32 vcc_lo, 0x7f800000, v7
                                        ; implicit-def: $vgpr7
	s_and_saveexec_b32 s13, vcc_lo
	s_xor_b32 s13, exec_lo, s13
; %bb.2220:                             ;   in Loop: Header=BB12_1711 Depth=2
	v_bfe_u32 v7, v8, 16, 1
	s_delay_alu instid0(VALU_DEP_1)
	v_add3_u32 v7, v8, v7, 0x7fff
                                        ; implicit-def: $vgpr8
; %bb.2221:                             ;   in Loop: Header=BB12_1711 Depth=2
	s_and_not1_saveexec_b32 s13, s13
; %bb.2222:                             ;   in Loop: Header=BB12_1711 Depth=2
	v_and_b32_e32 v7, 0xffff, v8
	v_or_b32_e32 v9, 0x10000, v8
	s_delay_alu instid0(VALU_DEP_2) | instskip(NEXT) | instid1(VALU_DEP_2)
	v_cmp_eq_u32_e32 vcc_lo, 0, v7
	v_cndmask_b32_e32 v7, v9, v8, vcc_lo
; %bb.2223:                             ;   in Loop: Header=BB12_1711 Depth=2
	s_or_b32 exec_lo, exec_lo, s13
	v_and_b32_e32 v8, 0xffff0000, v35
	v_and_b32_e32 v1, 0xffff0000, v1
	s_delay_alu instid0(VALU_DEP_1) | instskip(NEXT) | instid1(VALU_DEP_1)
	v_add_f32_e32 v8, v8, v1
	v_and_b32_e32 v1, 0x7f800000, v8
	s_delay_alu instid0(VALU_DEP_1) | instskip(SKIP_1) | instid1(SALU_CYCLE_1)
	v_cmp_ne_u32_e32 vcc_lo, 0x7f800000, v1
                                        ; implicit-def: $vgpr1
	s_and_saveexec_b32 s13, vcc_lo
	s_xor_b32 s13, exec_lo, s13
; %bb.2224:                             ;   in Loop: Header=BB12_1711 Depth=2
	v_bfe_u32 v1, v8, 16, 1
	s_delay_alu instid0(VALU_DEP_1)
	v_add3_u32 v1, v8, v1, 0x7fff
                                        ; implicit-def: $vgpr8
; %bb.2225:                             ;   in Loop: Header=BB12_1711 Depth=2
	s_and_not1_saveexec_b32 s13, s13
	s_cbranch_execz .LBB12_1710
; %bb.2226:                             ;   in Loop: Header=BB12_1711 Depth=2
	v_and_b32_e32 v1, 0xffff, v8
	v_or_b32_e32 v9, 0x10000, v8
	s_delay_alu instid0(VALU_DEP_2) | instskip(NEXT) | instid1(VALU_DEP_2)
	v_cmp_eq_u32_e32 vcc_lo, 0, v1
	v_cndmask_b32_e32 v1, v9, v8, vcc_lo
	s_branch .LBB12_1710
.LBB12_2227:                            ;   in Loop: Header=BB12_1634 Depth=1
	v_dual_mov_b32 v0, v100 :: v_dual_mov_b32 v19, v56
	s_and_saveexec_b32 s11, s26
	s_cbranch_execnz .LBB12_2699
	s_branch .LBB12_3130
.LBB12_2228:                            ;   in Loop: Header=BB12_1634 Depth=1
	s_or_b32 exec_lo, exec_lo, s10
	s_clause 0x7
	scratch_load_b32 v100, off, s33 offset:344
	scratch_load_b32 v56, off, s33 offset:364
	scratch_load_b32 v88, off, s33 offset:368
	scratch_load_b64 v[94:95], off, s33 offset:376
	scratch_load_b64 v[110:111], off, s33 offset:384
	scratch_load_b32 v101, off, s33 offset:336
	scratch_load_b32 v102, off, s33 offset:348
	;; [unrolled: 1-line block ×3, first 2 shown]
	v_add_nc_u64_e32 v[122:123], 64, v[76:77]
	v_dual_lshlrev_b32 v57, 9, v62 :: v_dual_lshlrev_b32 v59, 6, v62
	s_and_b32 s10, s11, exec_lo
.LBB12_2229:                            ;   in Loop: Header=BB12_1634 Depth=1
	s_wait_xcnt 0x0
	s_or_b32 exec_lo, exec_lo, s7
	s_and_saveexec_b32 s7, s10
	s_cbranch_execz .LBB12_2487
; %bb.2230:                             ;   in Loop: Header=BB12_1634 Depth=1
	s_trap 2
	ds_load_b32 v0, v0
	s_wait_dscnt 0x0
	v_lshlrev_b32_e32 v3, 16, v0
	s_delay_alu instid0(VALU_DEP_1) | instskip(NEXT) | instid1(VALU_DEP_1)
	v_dual_lshlrev_b32 v2, 16, v96 :: v_dual_mov_b32 v0, v3
	v_pk_mul_f32 v[32:33], v[0:1], v[2:3]
	s_delay_alu instid0(VALU_DEP_1) | instskip(NEXT) | instid1(VALU_DEP_1)
	v_and_b32_e32 v0, 0x7f800000, v32
	v_cmp_ne_u32_e32 vcc_lo, 0x7f800000, v0
                                        ; implicit-def: $vgpr0
	s_and_saveexec_b32 s10, vcc_lo
	s_delay_alu instid0(SALU_CYCLE_1)
	s_xor_b32 s10, exec_lo, s10
; %bb.2231:                             ;   in Loop: Header=BB12_1634 Depth=1
	v_bfe_u32 v0, v32, 16, 1
	s_delay_alu instid0(VALU_DEP_1)
	v_add3_u32 v0, v32, v0, 0x7fff
                                        ; implicit-def: $vgpr32_vgpr33
; %bb.2232:                             ;   in Loop: Header=BB12_1634 Depth=1
	s_and_not1_saveexec_b32 s10, s10
; %bb.2233:                             ;   in Loop: Header=BB12_1634 Depth=1
	v_and_b32_e32 v0, 0xffff, v32
	v_or_b32_e32 v1, 0x10000, v32
	s_delay_alu instid0(VALU_DEP_2) | instskip(NEXT) | instid1(VALU_DEP_2)
	v_cmp_eq_u32_e32 vcc_lo, 0, v0
	v_cndmask_b32_e32 v0, v1, v32, vcc_lo
; %bb.2234:                             ;   in Loop: Header=BB12_1634 Depth=1
	s_or_b32 exec_lo, exec_lo, s10
	v_and_b32_e32 v1, 0xffff0000, v96
	s_mov_b32 s10, exec_lo
                                        ; implicit-def: $vgpr86
	s_delay_alu instid0(VALU_DEP_1) | instskip(NEXT) | instid1(VALU_DEP_1)
	v_mul_f32_e32 v1, v3, v1
	v_and_b32_e32 v2, 0x7f800000, v1
	s_delay_alu instid0(VALU_DEP_1)
	v_cmpx_ne_u32_e32 0x7f800000, v2
	s_xor_b32 s10, exec_lo, s10
; %bb.2235:                             ;   in Loop: Header=BB12_1634 Depth=1
	v_bfe_u32 v2, v1, 16, 1
	s_delay_alu instid0(VALU_DEP_1)
	v_add3_u32 v86, v1, v2, 0x7fff
                                        ; implicit-def: $vgpr1
; %bb.2236:                             ;   in Loop: Header=BB12_1634 Depth=1
	s_and_not1_saveexec_b32 s10, s10
; %bb.2237:                             ;   in Loop: Header=BB12_1634 Depth=1
	v_and_b32_e32 v2, 0xffff, v1
	v_or_b32_e32 v4, 0x10000, v1
	s_delay_alu instid0(VALU_DEP_2) | instskip(NEXT) | instid1(VALU_DEP_2)
	v_cmp_eq_u32_e32 vcc_lo, 0, v2
	v_cndmask_b32_e32 v86, v4, v1, vcc_lo
; %bb.2238:                             ;   in Loop: Header=BB12_1634 Depth=1
	s_or_b32 exec_lo, exec_lo, s10
	v_lshlrev_b32_e32 v1, 16, v97
	s_mov_b32 s10, exec_lo
                                        ; implicit-def: $vgpr87
	s_delay_alu instid0(VALU_DEP_1) | instskip(NEXT) | instid1(VALU_DEP_1)
	v_mul_f32_e32 v1, v3, v1
	v_and_b32_e32 v2, 0x7f800000, v1
	s_delay_alu instid0(VALU_DEP_1)
	v_cmpx_ne_u32_e32 0x7f800000, v2
	s_xor_b32 s10, exec_lo, s10
; %bb.2239:                             ;   in Loop: Header=BB12_1634 Depth=1
	v_bfe_u32 v2, v1, 16, 1
	s_delay_alu instid0(VALU_DEP_1)
	v_add3_u32 v87, v1, v2, 0x7fff
                                        ; implicit-def: $vgpr1
; %bb.2240:                             ;   in Loop: Header=BB12_1634 Depth=1
	s_and_not1_saveexec_b32 s10, s10
; %bb.2241:                             ;   in Loop: Header=BB12_1634 Depth=1
	v_and_b32_e32 v2, 0xffff, v1
	v_or_b32_e32 v4, 0x10000, v1
	s_delay_alu instid0(VALU_DEP_2) | instskip(NEXT) | instid1(VALU_DEP_2)
	v_cmp_eq_u32_e32 vcc_lo, 0, v2
	v_cndmask_b32_e32 v87, v4, v1, vcc_lo
; %bb.2242:                             ;   in Loop: Header=BB12_1634 Depth=1
	s_or_b32 exec_lo, exec_lo, s10
	v_and_b32_e32 v1, 0xffff0000, v97
	s_mov_b32 s10, exec_lo
                                        ; implicit-def: $vgpr84
	s_delay_alu instid0(VALU_DEP_1) | instskip(NEXT) | instid1(VALU_DEP_1)
	v_mul_f32_e32 v1, v3, v1
	v_and_b32_e32 v2, 0x7f800000, v1
	s_delay_alu instid0(VALU_DEP_1)
	v_cmpx_ne_u32_e32 0x7f800000, v2
	s_xor_b32 s10, exec_lo, s10
; %bb.2243:                             ;   in Loop: Header=BB12_1634 Depth=1
	v_bfe_u32 v2, v1, 16, 1
	s_delay_alu instid0(VALU_DEP_1)
	v_add3_u32 v84, v1, v2, 0x7fff
                                        ; implicit-def: $vgpr1
; %bb.2244:                             ;   in Loop: Header=BB12_1634 Depth=1
	s_and_not1_saveexec_b32 s10, s10
; %bb.2245:                             ;   in Loop: Header=BB12_1634 Depth=1
	v_and_b32_e32 v2, 0xffff, v1
	v_or_b32_e32 v4, 0x10000, v1
	s_delay_alu instid0(VALU_DEP_2) | instskip(NEXT) | instid1(VALU_DEP_2)
	v_cmp_eq_u32_e32 vcc_lo, 0, v2
	v_cndmask_b32_e32 v84, v4, v1, vcc_lo
; %bb.2246:                             ;   in Loop: Header=BB12_1634 Depth=1
	s_or_b32 exec_lo, exec_lo, s10
	v_lshlrev_b32_e32 v1, 16, v98
	s_mov_b32 s10, exec_lo
                                        ; implicit-def: $vgpr85
	s_delay_alu instid0(VALU_DEP_1) | instskip(NEXT) | instid1(VALU_DEP_1)
	v_mul_f32_e32 v1, v3, v1
	v_and_b32_e32 v2, 0x7f800000, v1
	s_delay_alu instid0(VALU_DEP_1)
	v_cmpx_ne_u32_e32 0x7f800000, v2
	s_xor_b32 s10, exec_lo, s10
; %bb.2247:                             ;   in Loop: Header=BB12_1634 Depth=1
	v_bfe_u32 v2, v1, 16, 1
	s_delay_alu instid0(VALU_DEP_1)
	v_add3_u32 v85, v1, v2, 0x7fff
                                        ; implicit-def: $vgpr1
; %bb.2248:                             ;   in Loop: Header=BB12_1634 Depth=1
	s_and_not1_saveexec_b32 s10, s10
; %bb.2249:                             ;   in Loop: Header=BB12_1634 Depth=1
	v_and_b32_e32 v2, 0xffff, v1
	v_or_b32_e32 v4, 0x10000, v1
	s_delay_alu instid0(VALU_DEP_2) | instskip(NEXT) | instid1(VALU_DEP_2)
	v_cmp_eq_u32_e32 vcc_lo, 0, v2
	v_cndmask_b32_e32 v85, v4, v1, vcc_lo
; %bb.2250:                             ;   in Loop: Header=BB12_1634 Depth=1
	s_or_b32 exec_lo, exec_lo, s10
	v_and_b32_e32 v1, 0xffff0000, v98
	s_mov_b32 s10, exec_lo
                                        ; implicit-def: $vgpr82
	s_delay_alu instid0(VALU_DEP_1) | instskip(NEXT) | instid1(VALU_DEP_1)
	v_mul_f32_e32 v1, v3, v1
	v_and_b32_e32 v2, 0x7f800000, v1
	s_delay_alu instid0(VALU_DEP_1)
	v_cmpx_ne_u32_e32 0x7f800000, v2
	s_xor_b32 s10, exec_lo, s10
; %bb.2251:                             ;   in Loop: Header=BB12_1634 Depth=1
	v_bfe_u32 v2, v1, 16, 1
	s_delay_alu instid0(VALU_DEP_1)
	v_add3_u32 v82, v1, v2, 0x7fff
                                        ; implicit-def: $vgpr1
; %bb.2252:                             ;   in Loop: Header=BB12_1634 Depth=1
	s_and_not1_saveexec_b32 s10, s10
; %bb.2253:                             ;   in Loop: Header=BB12_1634 Depth=1
	v_and_b32_e32 v2, 0xffff, v1
	v_or_b32_e32 v4, 0x10000, v1
	s_delay_alu instid0(VALU_DEP_2) | instskip(NEXT) | instid1(VALU_DEP_2)
	v_cmp_eq_u32_e32 vcc_lo, 0, v2
	v_cndmask_b32_e32 v82, v4, v1, vcc_lo
; %bb.2254:                             ;   in Loop: Header=BB12_1634 Depth=1
	s_or_b32 exec_lo, exec_lo, s10
	v_lshlrev_b32_e32 v1, 16, v99
	s_mov_b32 s10, exec_lo
                                        ; implicit-def: $vgpr83
	s_delay_alu instid0(VALU_DEP_1) | instskip(NEXT) | instid1(VALU_DEP_1)
	v_mul_f32_e32 v1, v3, v1
	v_and_b32_e32 v2, 0x7f800000, v1
	s_delay_alu instid0(VALU_DEP_1)
	v_cmpx_ne_u32_e32 0x7f800000, v2
	s_xor_b32 s10, exec_lo, s10
; %bb.2255:                             ;   in Loop: Header=BB12_1634 Depth=1
	v_bfe_u32 v2, v1, 16, 1
	s_delay_alu instid0(VALU_DEP_1)
	v_add3_u32 v83, v1, v2, 0x7fff
                                        ; implicit-def: $vgpr1
; %bb.2256:                             ;   in Loop: Header=BB12_1634 Depth=1
	s_and_not1_saveexec_b32 s10, s10
; %bb.2257:                             ;   in Loop: Header=BB12_1634 Depth=1
	v_and_b32_e32 v2, 0xffff, v1
	v_or_b32_e32 v4, 0x10000, v1
	s_delay_alu instid0(VALU_DEP_2) | instskip(NEXT) | instid1(VALU_DEP_2)
	v_cmp_eq_u32_e32 vcc_lo, 0, v2
	v_cndmask_b32_e32 v83, v4, v1, vcc_lo
; %bb.2258:                             ;   in Loop: Header=BB12_1634 Depth=1
	s_or_b32 exec_lo, exec_lo, s10
	v_and_b32_e32 v1, 0xffff0000, v99
	s_mov_b32 s10, exec_lo
                                        ; implicit-def: $vgpr80
	s_delay_alu instid0(VALU_DEP_1) | instskip(NEXT) | instid1(VALU_DEP_1)
	v_mul_f32_e32 v1, v3, v1
	v_and_b32_e32 v2, 0x7f800000, v1
	s_delay_alu instid0(VALU_DEP_1)
	v_cmpx_ne_u32_e32 0x7f800000, v2
	s_xor_b32 s10, exec_lo, s10
; %bb.2259:                             ;   in Loop: Header=BB12_1634 Depth=1
	v_bfe_u32 v2, v1, 16, 1
	s_delay_alu instid0(VALU_DEP_1)
	v_add3_u32 v80, v1, v2, 0x7fff
                                        ; implicit-def: $vgpr1
; %bb.2260:                             ;   in Loop: Header=BB12_1634 Depth=1
	s_and_not1_saveexec_b32 s10, s10
; %bb.2261:                             ;   in Loop: Header=BB12_1634 Depth=1
	v_and_b32_e32 v2, 0xffff, v1
	v_or_b32_e32 v4, 0x10000, v1
	s_delay_alu instid0(VALU_DEP_2) | instskip(NEXT) | instid1(VALU_DEP_2)
	v_cmp_eq_u32_e32 vcc_lo, 0, v2
	v_cndmask_b32_e32 v80, v4, v1, vcc_lo
; %bb.2262:                             ;   in Loop: Header=BB12_1634 Depth=1
	s_or_b32 exec_lo, exec_lo, s10
	v_lshlrev_b32_e32 v1, 16, v68
	s_mov_b32 s10, exec_lo
                                        ; implicit-def: $vgpr81
	s_delay_alu instid0(VALU_DEP_1) | instskip(NEXT) | instid1(VALU_DEP_1)
	v_mul_f32_e32 v1, v3, v1
	v_and_b32_e32 v2, 0x7f800000, v1
	s_delay_alu instid0(VALU_DEP_1)
	v_cmpx_ne_u32_e32 0x7f800000, v2
	s_xor_b32 s10, exec_lo, s10
; %bb.2263:                             ;   in Loop: Header=BB12_1634 Depth=1
	v_bfe_u32 v2, v1, 16, 1
	s_delay_alu instid0(VALU_DEP_1)
	v_add3_u32 v81, v1, v2, 0x7fff
                                        ; implicit-def: $vgpr1
; %bb.2264:                             ;   in Loop: Header=BB12_1634 Depth=1
	s_and_not1_saveexec_b32 s10, s10
; %bb.2265:                             ;   in Loop: Header=BB12_1634 Depth=1
	v_and_b32_e32 v2, 0xffff, v1
	v_or_b32_e32 v4, 0x10000, v1
	s_delay_alu instid0(VALU_DEP_2) | instskip(NEXT) | instid1(VALU_DEP_2)
	v_cmp_eq_u32_e32 vcc_lo, 0, v2
	v_cndmask_b32_e32 v81, v4, v1, vcc_lo
; %bb.2266:                             ;   in Loop: Header=BB12_1634 Depth=1
	s_or_b32 exec_lo, exec_lo, s10
	v_and_b32_e32 v1, 0xffff0000, v68
	s_mov_b32 s10, exec_lo
                                        ; implicit-def: $vgpr67
	s_delay_alu instid0(VALU_DEP_1) | instskip(NEXT) | instid1(VALU_DEP_1)
	v_mul_f32_e32 v1, v3, v1
	v_and_b32_e32 v2, 0x7f800000, v1
	s_delay_alu instid0(VALU_DEP_1)
	v_cmpx_ne_u32_e32 0x7f800000, v2
	s_xor_b32 s10, exec_lo, s10
; %bb.2267:                             ;   in Loop: Header=BB12_1634 Depth=1
	v_bfe_u32 v2, v1, 16, 1
	s_delay_alu instid0(VALU_DEP_1)
	v_add3_u32 v67, v1, v2, 0x7fff
                                        ; implicit-def: $vgpr1
; %bb.2268:                             ;   in Loop: Header=BB12_1634 Depth=1
	s_and_not1_saveexec_b32 s10, s10
; %bb.2269:                             ;   in Loop: Header=BB12_1634 Depth=1
	v_and_b32_e32 v2, 0xffff, v1
	v_or_b32_e32 v4, 0x10000, v1
	s_delay_alu instid0(VALU_DEP_2) | instskip(NEXT) | instid1(VALU_DEP_2)
	v_cmp_eq_u32_e32 vcc_lo, 0, v2
	v_cndmask_b32_e32 v67, v4, v1, vcc_lo
; %bb.2270:                             ;   in Loop: Header=BB12_1634 Depth=1
	s_or_b32 exec_lo, exec_lo, s10
	v_lshlrev_b32_e32 v1, 16, v69
	s_mov_b32 s10, exec_lo
                                        ; implicit-def: $vgpr68
	s_delay_alu instid0(VALU_DEP_1) | instskip(NEXT) | instid1(VALU_DEP_1)
	v_mul_f32_e32 v1, v3, v1
	v_and_b32_e32 v2, 0x7f800000, v1
	s_delay_alu instid0(VALU_DEP_1)
	v_cmpx_ne_u32_e32 0x7f800000, v2
	s_xor_b32 s10, exec_lo, s10
; %bb.2271:                             ;   in Loop: Header=BB12_1634 Depth=1
	v_bfe_u32 v2, v1, 16, 1
	s_delay_alu instid0(VALU_DEP_1)
	v_add3_u32 v68, v1, v2, 0x7fff
                                        ; implicit-def: $vgpr1
; %bb.2272:                             ;   in Loop: Header=BB12_1634 Depth=1
	s_and_not1_saveexec_b32 s10, s10
; %bb.2273:                             ;   in Loop: Header=BB12_1634 Depth=1
	v_and_b32_e32 v2, 0xffff, v1
	v_or_b32_e32 v4, 0x10000, v1
	s_delay_alu instid0(VALU_DEP_2) | instskip(NEXT) | instid1(VALU_DEP_2)
	v_cmp_eq_u32_e32 vcc_lo, 0, v2
	v_cndmask_b32_e32 v68, v4, v1, vcc_lo
; %bb.2274:                             ;   in Loop: Header=BB12_1634 Depth=1
	s_or_b32 exec_lo, exec_lo, s10
	v_and_b32_e32 v1, 0xffff0000, v69
	s_mov_b32 s10, exec_lo
                                        ; implicit-def: $vgpr31
	s_delay_alu instid0(VALU_DEP_1) | instskip(NEXT) | instid1(VALU_DEP_1)
	v_mul_f32_e32 v1, v3, v1
	v_and_b32_e32 v2, 0x7f800000, v1
	s_delay_alu instid0(VALU_DEP_1)
	v_cmpx_ne_u32_e32 0x7f800000, v2
	s_xor_b32 s10, exec_lo, s10
; %bb.2275:                             ;   in Loop: Header=BB12_1634 Depth=1
	v_bfe_u32 v2, v1, 16, 1
	s_delay_alu instid0(VALU_DEP_1)
	v_add3_u32 v31, v1, v2, 0x7fff
                                        ; implicit-def: $vgpr1
; %bb.2276:                             ;   in Loop: Header=BB12_1634 Depth=1
	s_and_not1_saveexec_b32 s10, s10
; %bb.2277:                             ;   in Loop: Header=BB12_1634 Depth=1
	v_and_b32_e32 v2, 0xffff, v1
	v_or_b32_e32 v4, 0x10000, v1
	s_delay_alu instid0(VALU_DEP_2) | instskip(NEXT) | instid1(VALU_DEP_2)
	v_cmp_eq_u32_e32 vcc_lo, 0, v2
	v_cndmask_b32_e32 v31, v4, v1, vcc_lo
; %bb.2278:                             ;   in Loop: Header=BB12_1634 Depth=1
	s_or_b32 exec_lo, exec_lo, s10
	v_lshlrev_b32_e32 v1, 16, v70
	s_mov_b32 s10, exec_lo
                                        ; implicit-def: $vgpr66
	s_delay_alu instid0(VALU_DEP_1) | instskip(NEXT) | instid1(VALU_DEP_1)
	v_mul_f32_e32 v1, v3, v1
	v_and_b32_e32 v2, 0x7f800000, v1
	s_delay_alu instid0(VALU_DEP_1)
	v_cmpx_ne_u32_e32 0x7f800000, v2
	s_xor_b32 s10, exec_lo, s10
; %bb.2279:                             ;   in Loop: Header=BB12_1634 Depth=1
	v_bfe_u32 v2, v1, 16, 1
	s_delay_alu instid0(VALU_DEP_1)
	v_add3_u32 v66, v1, v2, 0x7fff
                                        ; implicit-def: $vgpr1
; %bb.2280:                             ;   in Loop: Header=BB12_1634 Depth=1
	s_and_not1_saveexec_b32 s10, s10
; %bb.2281:                             ;   in Loop: Header=BB12_1634 Depth=1
	v_and_b32_e32 v2, 0xffff, v1
	v_or_b32_e32 v4, 0x10000, v1
	s_delay_alu instid0(VALU_DEP_2) | instskip(NEXT) | instid1(VALU_DEP_2)
	v_cmp_eq_u32_e32 vcc_lo, 0, v2
	v_cndmask_b32_e32 v66, v4, v1, vcc_lo
; %bb.2282:                             ;   in Loop: Header=BB12_1634 Depth=1
	s_or_b32 exec_lo, exec_lo, s10
	v_and_b32_e32 v1, 0xffff0000, v70
	s_mov_b32 s10, exec_lo
                                        ; implicit-def: $vgpr64
	s_delay_alu instid0(VALU_DEP_1) | instskip(NEXT) | instid1(VALU_DEP_1)
	v_mul_f32_e32 v1, v3, v1
	v_and_b32_e32 v2, 0x7f800000, v1
	s_delay_alu instid0(VALU_DEP_1)
	v_cmpx_ne_u32_e32 0x7f800000, v2
	s_xor_b32 s10, exec_lo, s10
; %bb.2283:                             ;   in Loop: Header=BB12_1634 Depth=1
	v_bfe_u32 v2, v1, 16, 1
	s_delay_alu instid0(VALU_DEP_1)
	v_add3_u32 v64, v1, v2, 0x7fff
                                        ; implicit-def: $vgpr1
; %bb.2284:                             ;   in Loop: Header=BB12_1634 Depth=1
	s_and_not1_saveexec_b32 s10, s10
; %bb.2285:                             ;   in Loop: Header=BB12_1634 Depth=1
	v_and_b32_e32 v2, 0xffff, v1
	v_or_b32_e32 v4, 0x10000, v1
	s_delay_alu instid0(VALU_DEP_2) | instskip(NEXT) | instid1(VALU_DEP_2)
	v_cmp_eq_u32_e32 vcc_lo, 0, v2
	v_cndmask_b32_e32 v64, v4, v1, vcc_lo
; %bb.2286:                             ;   in Loop: Header=BB12_1634 Depth=1
	s_or_b32 exec_lo, exec_lo, s10
	v_lshlrev_b32_e32 v1, 16, v71
	s_mov_b32 s10, exec_lo
                                        ; implicit-def: $vgpr65
	s_delay_alu instid0(VALU_DEP_1) | instskip(NEXT) | instid1(VALU_DEP_1)
	v_mul_f32_e32 v1, v3, v1
	v_and_b32_e32 v2, 0x7f800000, v1
	s_delay_alu instid0(VALU_DEP_1)
	v_cmpx_ne_u32_e32 0x7f800000, v2
	s_xor_b32 s10, exec_lo, s10
; %bb.2287:                             ;   in Loop: Header=BB12_1634 Depth=1
	v_bfe_u32 v2, v1, 16, 1
	s_delay_alu instid0(VALU_DEP_1)
	v_add3_u32 v65, v1, v2, 0x7fff
                                        ; implicit-def: $vgpr1
; %bb.2288:                             ;   in Loop: Header=BB12_1634 Depth=1
	s_and_not1_saveexec_b32 s10, s10
; %bb.2289:                             ;   in Loop: Header=BB12_1634 Depth=1
	v_and_b32_e32 v2, 0xffff, v1
	v_or_b32_e32 v4, 0x10000, v1
	s_delay_alu instid0(VALU_DEP_2) | instskip(NEXT) | instid1(VALU_DEP_2)
	v_cmp_eq_u32_e32 vcc_lo, 0, v2
	v_cndmask_b32_e32 v65, v4, v1, vcc_lo
; %bb.2290:                             ;   in Loop: Header=BB12_1634 Depth=1
	s_or_b32 exec_lo, exec_lo, s10
	v_and_b32_e32 v1, 0xffff0000, v71
	s_mov_b32 s10, exec_lo
                                        ; implicit-def: $vgpr54
	s_delay_alu instid0(VALU_DEP_1) | instskip(NEXT) | instid1(VALU_DEP_1)
	v_mul_f32_e32 v1, v3, v1
	v_and_b32_e32 v2, 0x7f800000, v1
	s_delay_alu instid0(VALU_DEP_1)
	v_cmpx_ne_u32_e32 0x7f800000, v2
	s_xor_b32 s10, exec_lo, s10
; %bb.2291:                             ;   in Loop: Header=BB12_1634 Depth=1
	v_bfe_u32 v2, v1, 16, 1
	s_delay_alu instid0(VALU_DEP_1)
	v_add3_u32 v54, v1, v2, 0x7fff
                                        ; implicit-def: $vgpr1
; %bb.2292:                             ;   in Loop: Header=BB12_1634 Depth=1
	s_and_not1_saveexec_b32 s10, s10
; %bb.2293:                             ;   in Loop: Header=BB12_1634 Depth=1
	v_and_b32_e32 v2, 0xffff, v1
	v_or_b32_e32 v4, 0x10000, v1
	s_delay_alu instid0(VALU_DEP_2) | instskip(NEXT) | instid1(VALU_DEP_2)
	v_cmp_eq_u32_e32 vcc_lo, 0, v2
	v_cndmask_b32_e32 v54, v4, v1, vcc_lo
; %bb.2294:                             ;   in Loop: Header=BB12_1634 Depth=1
	s_or_b32 exec_lo, exec_lo, s10
	v_lshlrev_b32_e32 v1, 16, v48
	s_mov_b32 s10, exec_lo
                                        ; implicit-def: $vgpr55
	s_delay_alu instid0(VALU_DEP_1) | instskip(NEXT) | instid1(VALU_DEP_1)
	v_mul_f32_e32 v1, v3, v1
	v_and_b32_e32 v2, 0x7f800000, v1
	s_delay_alu instid0(VALU_DEP_1)
	v_cmpx_ne_u32_e32 0x7f800000, v2
	s_xor_b32 s10, exec_lo, s10
; %bb.2295:                             ;   in Loop: Header=BB12_1634 Depth=1
	v_bfe_u32 v2, v1, 16, 1
	s_delay_alu instid0(VALU_DEP_1)
	v_add3_u32 v55, v1, v2, 0x7fff
                                        ; implicit-def: $vgpr1
; %bb.2296:                             ;   in Loop: Header=BB12_1634 Depth=1
	s_and_not1_saveexec_b32 s10, s10
; %bb.2297:                             ;   in Loop: Header=BB12_1634 Depth=1
	v_and_b32_e32 v2, 0xffff, v1
	v_or_b32_e32 v4, 0x10000, v1
	s_delay_alu instid0(VALU_DEP_2) | instskip(NEXT) | instid1(VALU_DEP_2)
	v_cmp_eq_u32_e32 vcc_lo, 0, v2
	v_cndmask_b32_e32 v55, v4, v1, vcc_lo
; %bb.2298:                             ;   in Loop: Header=BB12_1634 Depth=1
	s_or_b32 exec_lo, exec_lo, s10
	v_and_b32_e32 v1, 0xffff0000, v48
	s_mov_b32 s10, exec_lo
                                        ; implicit-def: $vgpr52
	s_delay_alu instid0(VALU_DEP_1) | instskip(NEXT) | instid1(VALU_DEP_1)
	v_mul_f32_e32 v1, v3, v1
	v_and_b32_e32 v2, 0x7f800000, v1
	s_delay_alu instid0(VALU_DEP_1)
	v_cmpx_ne_u32_e32 0x7f800000, v2
	s_xor_b32 s10, exec_lo, s10
; %bb.2299:                             ;   in Loop: Header=BB12_1634 Depth=1
	v_bfe_u32 v2, v1, 16, 1
	s_delay_alu instid0(VALU_DEP_1)
	v_add3_u32 v52, v1, v2, 0x7fff
                                        ; implicit-def: $vgpr1
; %bb.2300:                             ;   in Loop: Header=BB12_1634 Depth=1
	s_and_not1_saveexec_b32 s10, s10
; %bb.2301:                             ;   in Loop: Header=BB12_1634 Depth=1
	v_and_b32_e32 v2, 0xffff, v1
	v_or_b32_e32 v4, 0x10000, v1
	s_delay_alu instid0(VALU_DEP_2) | instskip(NEXT) | instid1(VALU_DEP_2)
	v_cmp_eq_u32_e32 vcc_lo, 0, v2
	v_cndmask_b32_e32 v52, v4, v1, vcc_lo
; %bb.2302:                             ;   in Loop: Header=BB12_1634 Depth=1
	s_or_b32 exec_lo, exec_lo, s10
	v_lshlrev_b32_e32 v1, 16, v49
	s_mov_b32 s10, exec_lo
                                        ; implicit-def: $vgpr53
	s_delay_alu instid0(VALU_DEP_1) | instskip(NEXT) | instid1(VALU_DEP_1)
	v_mul_f32_e32 v1, v3, v1
	v_and_b32_e32 v2, 0x7f800000, v1
	s_delay_alu instid0(VALU_DEP_1)
	v_cmpx_ne_u32_e32 0x7f800000, v2
	s_xor_b32 s10, exec_lo, s10
; %bb.2303:                             ;   in Loop: Header=BB12_1634 Depth=1
	v_bfe_u32 v2, v1, 16, 1
	s_delay_alu instid0(VALU_DEP_1)
	v_add3_u32 v53, v1, v2, 0x7fff
                                        ; implicit-def: $vgpr1
; %bb.2304:                             ;   in Loop: Header=BB12_1634 Depth=1
	s_and_not1_saveexec_b32 s10, s10
; %bb.2305:                             ;   in Loop: Header=BB12_1634 Depth=1
	v_and_b32_e32 v2, 0xffff, v1
	v_or_b32_e32 v4, 0x10000, v1
	s_delay_alu instid0(VALU_DEP_2) | instskip(NEXT) | instid1(VALU_DEP_2)
	v_cmp_eq_u32_e32 vcc_lo, 0, v2
	v_cndmask_b32_e32 v53, v4, v1, vcc_lo
; %bb.2306:                             ;   in Loop: Header=BB12_1634 Depth=1
	s_or_b32 exec_lo, exec_lo, s10
	v_and_b32_e32 v1, 0xffff0000, v49
	s_mov_b32 s10, exec_lo
                                        ; implicit-def: $vgpr39
	s_delay_alu instid0(VALU_DEP_1) | instskip(NEXT) | instid1(VALU_DEP_1)
	v_mul_f32_e32 v1, v3, v1
	v_and_b32_e32 v2, 0x7f800000, v1
	s_delay_alu instid0(VALU_DEP_1)
	v_cmpx_ne_u32_e32 0x7f800000, v2
	s_xor_b32 s10, exec_lo, s10
; %bb.2307:                             ;   in Loop: Header=BB12_1634 Depth=1
	v_bfe_u32 v2, v1, 16, 1
	s_delay_alu instid0(VALU_DEP_1)
	v_add3_u32 v39, v1, v2, 0x7fff
                                        ; implicit-def: $vgpr1
; %bb.2308:                             ;   in Loop: Header=BB12_1634 Depth=1
	s_and_not1_saveexec_b32 s10, s10
; %bb.2309:                             ;   in Loop: Header=BB12_1634 Depth=1
	v_and_b32_e32 v2, 0xffff, v1
	v_or_b32_e32 v4, 0x10000, v1
	s_delay_alu instid0(VALU_DEP_2) | instskip(NEXT) | instid1(VALU_DEP_2)
	v_cmp_eq_u32_e32 vcc_lo, 0, v2
	v_cndmask_b32_e32 v39, v4, v1, vcc_lo
; %bb.2310:                             ;   in Loop: Header=BB12_1634 Depth=1
	s_or_b32 exec_lo, exec_lo, s10
	v_lshlrev_b32_e32 v1, 16, v50
	s_mov_b32 s10, exec_lo
                                        ; implicit-def: $vgpr48
	s_delay_alu instid0(VALU_DEP_1) | instskip(NEXT) | instid1(VALU_DEP_1)
	v_mul_f32_e32 v1, v3, v1
	v_and_b32_e32 v2, 0x7f800000, v1
	s_delay_alu instid0(VALU_DEP_1)
	v_cmpx_ne_u32_e32 0x7f800000, v2
	s_xor_b32 s10, exec_lo, s10
; %bb.2311:                             ;   in Loop: Header=BB12_1634 Depth=1
	v_bfe_u32 v2, v1, 16, 1
	s_delay_alu instid0(VALU_DEP_1)
	v_add3_u32 v48, v1, v2, 0x7fff
                                        ; implicit-def: $vgpr1
; %bb.2312:                             ;   in Loop: Header=BB12_1634 Depth=1
	s_and_not1_saveexec_b32 s10, s10
; %bb.2313:                             ;   in Loop: Header=BB12_1634 Depth=1
	v_and_b32_e32 v2, 0xffff, v1
	v_or_b32_e32 v4, 0x10000, v1
	s_delay_alu instid0(VALU_DEP_2) | instskip(NEXT) | instid1(VALU_DEP_2)
	v_cmp_eq_u32_e32 vcc_lo, 0, v2
	v_cndmask_b32_e32 v48, v4, v1, vcc_lo
; %bb.2314:                             ;   in Loop: Header=BB12_1634 Depth=1
	s_or_b32 exec_lo, exec_lo, s10
	v_and_b32_e32 v1, 0xffff0000, v50
	s_mov_b32 s10, exec_lo
                                        ; implicit-def: $vgpr37
	s_delay_alu instid0(VALU_DEP_1) | instskip(NEXT) | instid1(VALU_DEP_1)
	v_mul_f32_e32 v1, v3, v1
	v_and_b32_e32 v2, 0x7f800000, v1
	s_delay_alu instid0(VALU_DEP_1)
	v_cmpx_ne_u32_e32 0x7f800000, v2
	s_xor_b32 s10, exec_lo, s10
; %bb.2315:                             ;   in Loop: Header=BB12_1634 Depth=1
	v_bfe_u32 v2, v1, 16, 1
	s_delay_alu instid0(VALU_DEP_1)
	v_add3_u32 v37, v1, v2, 0x7fff
                                        ; implicit-def: $vgpr1
; %bb.2316:                             ;   in Loop: Header=BB12_1634 Depth=1
	s_and_not1_saveexec_b32 s10, s10
; %bb.2317:                             ;   in Loop: Header=BB12_1634 Depth=1
	v_and_b32_e32 v2, 0xffff, v1
	v_or_b32_e32 v4, 0x10000, v1
	s_delay_alu instid0(VALU_DEP_2) | instskip(NEXT) | instid1(VALU_DEP_2)
	v_cmp_eq_u32_e32 vcc_lo, 0, v2
	v_cndmask_b32_e32 v37, v4, v1, vcc_lo
; %bb.2318:                             ;   in Loop: Header=BB12_1634 Depth=1
	s_or_b32 exec_lo, exec_lo, s10
	v_lshlrev_b32_e32 v1, 16, v51
	s_mov_b32 s10, exec_lo
                                        ; implicit-def: $vgpr38
	s_delay_alu instid0(VALU_DEP_1) | instskip(NEXT) | instid1(VALU_DEP_1)
	v_mul_f32_e32 v1, v3, v1
	v_and_b32_e32 v2, 0x7f800000, v1
	s_delay_alu instid0(VALU_DEP_1)
	v_cmpx_ne_u32_e32 0x7f800000, v2
	s_xor_b32 s10, exec_lo, s10
; %bb.2319:                             ;   in Loop: Header=BB12_1634 Depth=1
	v_bfe_u32 v2, v1, 16, 1
	s_delay_alu instid0(VALU_DEP_1)
	v_add3_u32 v38, v1, v2, 0x7fff
                                        ; implicit-def: $vgpr1
; %bb.2320:                             ;   in Loop: Header=BB12_1634 Depth=1
	s_and_not1_saveexec_b32 s10, s10
; %bb.2321:                             ;   in Loop: Header=BB12_1634 Depth=1
	v_and_b32_e32 v2, 0xffff, v1
	v_or_b32_e32 v4, 0x10000, v1
	s_delay_alu instid0(VALU_DEP_2) | instskip(NEXT) | instid1(VALU_DEP_2)
	v_cmp_eq_u32_e32 vcc_lo, 0, v2
	v_cndmask_b32_e32 v38, v4, v1, vcc_lo
; %bb.2322:                             ;   in Loop: Header=BB12_1634 Depth=1
	s_or_b32 exec_lo, exec_lo, s10
	v_and_b32_e32 v1, 0xffff0000, v51
	s_mov_b32 s10, exec_lo
                                        ; implicit-def: $vgpr35
	s_delay_alu instid0(VALU_DEP_1) | instskip(NEXT) | instid1(VALU_DEP_1)
	v_mul_f32_e32 v1, v3, v1
	v_and_b32_e32 v2, 0x7f800000, v1
	s_delay_alu instid0(VALU_DEP_1)
	v_cmpx_ne_u32_e32 0x7f800000, v2
	s_xor_b32 s10, exec_lo, s10
; %bb.2323:                             ;   in Loop: Header=BB12_1634 Depth=1
	v_bfe_u32 v2, v1, 16, 1
	s_delay_alu instid0(VALU_DEP_1)
	v_add3_u32 v35, v1, v2, 0x7fff
                                        ; implicit-def: $vgpr1
; %bb.2324:                             ;   in Loop: Header=BB12_1634 Depth=1
	s_and_not1_saveexec_b32 s10, s10
; %bb.2325:                             ;   in Loop: Header=BB12_1634 Depth=1
	v_and_b32_e32 v2, 0xffff, v1
	v_or_b32_e32 v4, 0x10000, v1
	s_delay_alu instid0(VALU_DEP_2) | instskip(NEXT) | instid1(VALU_DEP_2)
	v_cmp_eq_u32_e32 vcc_lo, 0, v2
	v_cndmask_b32_e32 v35, v4, v1, vcc_lo
; %bb.2326:                             ;   in Loop: Header=BB12_1634 Depth=1
	s_or_b32 exec_lo, exec_lo, s10
	v_lshlrev_b32_e32 v1, 16, v26
	s_mov_b32 s10, exec_lo
                                        ; implicit-def: $vgpr36
	s_delay_alu instid0(VALU_DEP_1) | instskip(NEXT) | instid1(VALU_DEP_1)
	v_mul_f32_e32 v1, v3, v1
	v_and_b32_e32 v2, 0x7f800000, v1
	s_delay_alu instid0(VALU_DEP_1)
	v_cmpx_ne_u32_e32 0x7f800000, v2
	s_xor_b32 s10, exec_lo, s10
; %bb.2327:                             ;   in Loop: Header=BB12_1634 Depth=1
	v_bfe_u32 v2, v1, 16, 1
	s_delay_alu instid0(VALU_DEP_1)
	v_add3_u32 v36, v1, v2, 0x7fff
                                        ; implicit-def: $vgpr1
; %bb.2328:                             ;   in Loop: Header=BB12_1634 Depth=1
	s_and_not1_saveexec_b32 s10, s10
; %bb.2329:                             ;   in Loop: Header=BB12_1634 Depth=1
	v_and_b32_e32 v2, 0xffff, v1
	v_or_b32_e32 v4, 0x10000, v1
	s_delay_alu instid0(VALU_DEP_2) | instskip(NEXT) | instid1(VALU_DEP_2)
	v_cmp_eq_u32_e32 vcc_lo, 0, v2
	v_cndmask_b32_e32 v36, v4, v1, vcc_lo
; %bb.2330:                             ;   in Loop: Header=BB12_1634 Depth=1
	s_or_b32 exec_lo, exec_lo, s10
	v_and_b32_e32 v1, 0xffff0000, v26
	s_mov_b32 s10, exec_lo
                                        ; implicit-def: $vgpr33
	s_delay_alu instid0(VALU_DEP_1) | instskip(NEXT) | instid1(VALU_DEP_1)
	v_mul_f32_e32 v1, v3, v1
	v_and_b32_e32 v2, 0x7f800000, v1
	s_delay_alu instid0(VALU_DEP_1)
	v_cmpx_ne_u32_e32 0x7f800000, v2
	s_xor_b32 s10, exec_lo, s10
; %bb.2331:                             ;   in Loop: Header=BB12_1634 Depth=1
	v_bfe_u32 v2, v1, 16, 1
	s_delay_alu instid0(VALU_DEP_1)
	v_add3_u32 v33, v1, v2, 0x7fff
                                        ; implicit-def: $vgpr1
; %bb.2332:                             ;   in Loop: Header=BB12_1634 Depth=1
	s_and_not1_saveexec_b32 s10, s10
; %bb.2333:                             ;   in Loop: Header=BB12_1634 Depth=1
	v_and_b32_e32 v2, 0xffff, v1
	v_or_b32_e32 v4, 0x10000, v1
	s_delay_alu instid0(VALU_DEP_2) | instskip(NEXT) | instid1(VALU_DEP_2)
	v_cmp_eq_u32_e32 vcc_lo, 0, v2
	v_cndmask_b32_e32 v33, v4, v1, vcc_lo
; %bb.2334:                             ;   in Loop: Header=BB12_1634 Depth=1
	s_or_b32 exec_lo, exec_lo, s10
	v_lshlrev_b32_e32 v1, 16, v27
	s_mov_b32 s10, exec_lo
                                        ; implicit-def: $vgpr34
	s_delay_alu instid0(VALU_DEP_1) | instskip(NEXT) | instid1(VALU_DEP_1)
	v_mul_f32_e32 v1, v3, v1
	v_and_b32_e32 v2, 0x7f800000, v1
	s_delay_alu instid0(VALU_DEP_1)
	v_cmpx_ne_u32_e32 0x7f800000, v2
	s_xor_b32 s10, exec_lo, s10
; %bb.2335:                             ;   in Loop: Header=BB12_1634 Depth=1
	v_bfe_u32 v2, v1, 16, 1
	s_delay_alu instid0(VALU_DEP_1)
	v_add3_u32 v34, v1, v2, 0x7fff
                                        ; implicit-def: $vgpr1
; %bb.2336:                             ;   in Loop: Header=BB12_1634 Depth=1
	s_and_not1_saveexec_b32 s10, s10
; %bb.2337:                             ;   in Loop: Header=BB12_1634 Depth=1
	v_and_b32_e32 v2, 0xffff, v1
	v_or_b32_e32 v4, 0x10000, v1
	s_delay_alu instid0(VALU_DEP_2) | instskip(NEXT) | instid1(VALU_DEP_2)
	v_cmp_eq_u32_e32 vcc_lo, 0, v2
	v_cndmask_b32_e32 v34, v4, v1, vcc_lo
; %bb.2338:                             ;   in Loop: Header=BB12_1634 Depth=1
	s_or_b32 exec_lo, exec_lo, s10
	v_and_b32_e32 v1, 0xffff0000, v27
	s_mov_b32 s10, exec_lo
                                        ; implicit-def: $vgpr27
	s_delay_alu instid0(VALU_DEP_1) | instskip(NEXT) | instid1(VALU_DEP_1)
	v_mul_f32_e32 v1, v3, v1
	v_and_b32_e32 v2, 0x7f800000, v1
	s_delay_alu instid0(VALU_DEP_1)
	v_cmpx_ne_u32_e32 0x7f800000, v2
	s_xor_b32 s10, exec_lo, s10
; %bb.2339:                             ;   in Loop: Header=BB12_1634 Depth=1
	v_bfe_u32 v2, v1, 16, 1
	s_delay_alu instid0(VALU_DEP_1)
	v_add3_u32 v27, v1, v2, 0x7fff
                                        ; implicit-def: $vgpr1
; %bb.2340:                             ;   in Loop: Header=BB12_1634 Depth=1
	s_and_not1_saveexec_b32 s10, s10
; %bb.2341:                             ;   in Loop: Header=BB12_1634 Depth=1
	v_and_b32_e32 v2, 0xffff, v1
	v_or_b32_e32 v4, 0x10000, v1
	s_delay_alu instid0(VALU_DEP_2) | instskip(NEXT) | instid1(VALU_DEP_2)
	v_cmp_eq_u32_e32 vcc_lo, 0, v2
	v_cndmask_b32_e32 v27, v4, v1, vcc_lo
; %bb.2342:                             ;   in Loop: Header=BB12_1634 Depth=1
	s_or_b32 exec_lo, exec_lo, s10
	v_lshlrev_b32_e32 v1, 16, v28
	s_mov_b32 s10, exec_lo
                                        ; implicit-def: $vgpr32
	s_delay_alu instid0(VALU_DEP_1) | instskip(NEXT) | instid1(VALU_DEP_1)
	v_mul_f32_e32 v1, v3, v1
	v_and_b32_e32 v2, 0x7f800000, v1
	s_delay_alu instid0(VALU_DEP_1)
	v_cmpx_ne_u32_e32 0x7f800000, v2
	s_xor_b32 s10, exec_lo, s10
; %bb.2343:                             ;   in Loop: Header=BB12_1634 Depth=1
	v_bfe_u32 v2, v1, 16, 1
	s_delay_alu instid0(VALU_DEP_1)
	v_add3_u32 v32, v1, v2, 0x7fff
                                        ; implicit-def: $vgpr1
; %bb.2344:                             ;   in Loop: Header=BB12_1634 Depth=1
	s_and_not1_saveexec_b32 s10, s10
; %bb.2345:                             ;   in Loop: Header=BB12_1634 Depth=1
	v_and_b32_e32 v2, 0xffff, v1
	v_or_b32_e32 v4, 0x10000, v1
	s_delay_alu instid0(VALU_DEP_2) | instskip(NEXT) | instid1(VALU_DEP_2)
	v_cmp_eq_u32_e32 vcc_lo, 0, v2
	v_cndmask_b32_e32 v32, v4, v1, vcc_lo
; %bb.2346:                             ;   in Loop: Header=BB12_1634 Depth=1
	s_or_b32 exec_lo, exec_lo, s10
	v_and_b32_e32 v1, 0xffff0000, v28
	s_delay_alu instid0(VALU_DEP_1) | instskip(NEXT) | instid1(VALU_DEP_1)
	v_mul_f32_e32 v1, v3, v1
	v_and_b32_e32 v2, 0x7f800000, v1
	s_delay_alu instid0(VALU_DEP_1) | instskip(SKIP_1) | instid1(SALU_CYCLE_1)
	v_cmp_ne_u32_e32 vcc_lo, 0x7f800000, v2
                                        ; implicit-def: $vgpr2
	s_and_saveexec_b32 s10, vcc_lo
	s_xor_b32 s10, exec_lo, s10
; %bb.2347:                             ;   in Loop: Header=BB12_1634 Depth=1
	v_bfe_u32 v2, v1, 16, 1
	s_delay_alu instid0(VALU_DEP_1)
	v_add3_u32 v2, v1, v2, 0x7fff
                                        ; implicit-def: $vgpr1
; %bb.2348:                             ;   in Loop: Header=BB12_1634 Depth=1
	s_and_not1_saveexec_b32 s10, s10
; %bb.2349:                             ;   in Loop: Header=BB12_1634 Depth=1
	v_and_b32_e32 v2, 0xffff, v1
	v_or_b32_e32 v4, 0x10000, v1
	s_delay_alu instid0(VALU_DEP_2) | instskip(NEXT) | instid1(VALU_DEP_2)
	v_cmp_eq_u32_e32 vcc_lo, 0, v2
	v_cndmask_b32_e32 v2, v4, v1, vcc_lo
; %bb.2350:                             ;   in Loop: Header=BB12_1634 Depth=1
	s_or_b32 exec_lo, exec_lo, s10
	v_lshlrev_b32_e32 v1, 16, v29
	s_mov_b32 s10, exec_lo
                                        ; implicit-def: $vgpr26
	s_delay_alu instid0(VALU_DEP_1) | instskip(NEXT) | instid1(VALU_DEP_1)
	v_mul_f32_e32 v1, v3, v1
	v_and_b32_e32 v4, 0x7f800000, v1
	s_delay_alu instid0(VALU_DEP_1)
	v_cmpx_ne_u32_e32 0x7f800000, v4
	s_xor_b32 s10, exec_lo, s10
; %bb.2351:                             ;   in Loop: Header=BB12_1634 Depth=1
	v_bfe_u32 v4, v1, 16, 1
	s_delay_alu instid0(VALU_DEP_1)
	v_add3_u32 v26, v1, v4, 0x7fff
                                        ; implicit-def: $vgpr1
; %bb.2352:                             ;   in Loop: Header=BB12_1634 Depth=1
	s_and_not1_saveexec_b32 s10, s10
; %bb.2353:                             ;   in Loop: Header=BB12_1634 Depth=1
	v_and_b32_e32 v4, 0xffff, v1
	v_or_b32_e32 v5, 0x10000, v1
	s_delay_alu instid0(VALU_DEP_2) | instskip(NEXT) | instid1(VALU_DEP_2)
	v_cmp_eq_u32_e32 vcc_lo, 0, v4
	v_cndmask_b32_e32 v26, v5, v1, vcc_lo
; %bb.2354:                             ;   in Loop: Header=BB12_1634 Depth=1
	s_or_b32 exec_lo, exec_lo, s10
	v_and_b32_e32 v1, 0xffff0000, v29
	s_delay_alu instid0(VALU_DEP_1) | instskip(NEXT) | instid1(VALU_DEP_1)
	v_mul_f32_e32 v3, v3, v1
	v_and_b32_e32 v1, 0x7f800000, v3
	s_delay_alu instid0(VALU_DEP_1) | instskip(SKIP_1) | instid1(SALU_CYCLE_1)
	v_cmp_ne_u32_e32 vcc_lo, 0x7f800000, v1
                                        ; implicit-def: $vgpr1
	s_and_saveexec_b32 s10, vcc_lo
	s_xor_b32 s10, exec_lo, s10
; %bb.2355:                             ;   in Loop: Header=BB12_1634 Depth=1
	v_bfe_u32 v1, v3, 16, 1
	s_delay_alu instid0(VALU_DEP_1)
	v_add3_u32 v1, v3, v1, 0x7fff
                                        ; implicit-def: $vgpr3
; %bb.2356:                             ;   in Loop: Header=BB12_1634 Depth=1
	s_and_not1_saveexec_b32 s10, s10
; %bb.2357:                             ;   in Loop: Header=BB12_1634 Depth=1
	v_and_b32_e32 v1, 0xffff, v3
	v_or_b32_e32 v4, 0x10000, v3
	s_delay_alu instid0(VALU_DEP_2) | instskip(NEXT) | instid1(VALU_DEP_2)
	v_cmp_eq_u32_e32 vcc_lo, 0, v1
	v_cndmask_b32_e32 v1, v4, v3, vcc_lo
; %bb.2358:                             ;   in Loop: Header=BB12_1634 Depth=1
	s_or_b32 exec_lo, exec_lo, s10
	v_and_b32_e32 v0, 0xffff0000, v0
	v_lshlrev_b32_e32 v3, 16, v22
	s_delay_alu instid0(VALU_DEP_1) | instskip(NEXT) | instid1(VALU_DEP_1)
	v_add_f32_e32 v3, v3, v0
	v_and_b32_e32 v0, 0x7f800000, v3
	s_delay_alu instid0(VALU_DEP_1) | instskip(SKIP_1) | instid1(SALU_CYCLE_1)
	v_cmp_ne_u32_e32 vcc_lo, 0x7f800000, v0
                                        ; implicit-def: $vgpr0
	s_and_saveexec_b32 s10, vcc_lo
	s_xor_b32 s10, exec_lo, s10
; %bb.2359:                             ;   in Loop: Header=BB12_1634 Depth=1
	v_bfe_u32 v0, v3, 16, 1
	s_delay_alu instid0(VALU_DEP_1)
	v_add3_u32 v0, v3, v0, 0x7fff
                                        ; implicit-def: $vgpr3
; %bb.2360:                             ;   in Loop: Header=BB12_1634 Depth=1
	s_and_not1_saveexec_b32 s10, s10
; %bb.2361:                             ;   in Loop: Header=BB12_1634 Depth=1
	v_and_b32_e32 v0, 0xffff, v3
	v_or_b32_e32 v4, 0x10000, v3
	s_delay_alu instid0(VALU_DEP_2) | instskip(NEXT) | instid1(VALU_DEP_2)
	v_cmp_eq_u32_e32 vcc_lo, 0, v0
	v_cndmask_b32_e32 v0, v4, v3, vcc_lo
; %bb.2362:                             ;   in Loop: Header=BB12_1634 Depth=1
	s_or_b32 exec_lo, exec_lo, s10
	v_and_b32_e32 v3, 0xffff0000, v22
	v_and_b32_e32 v4, 0xffff0000, v86
	s_delay_alu instid0(VALU_DEP_1) | instskip(NEXT) | instid1(VALU_DEP_1)
	v_add_f32_e32 v4, v3, v4
	v_and_b32_e32 v3, 0x7f800000, v4
	s_delay_alu instid0(VALU_DEP_1) | instskip(SKIP_1) | instid1(SALU_CYCLE_1)
	v_cmp_ne_u32_e32 vcc_lo, 0x7f800000, v3
                                        ; implicit-def: $vgpr3
	s_and_saveexec_b32 s10, vcc_lo
	s_xor_b32 s10, exec_lo, s10
; %bb.2363:                             ;   in Loop: Header=BB12_1634 Depth=1
	v_bfe_u32 v3, v4, 16, 1
	s_delay_alu instid0(VALU_DEP_1)
	v_add3_u32 v3, v4, v3, 0x7fff
                                        ; implicit-def: $vgpr4
; %bb.2364:                             ;   in Loop: Header=BB12_1634 Depth=1
	s_and_not1_saveexec_b32 s10, s10
; %bb.2365:                             ;   in Loop: Header=BB12_1634 Depth=1
	v_and_b32_e32 v3, 0xffff, v4
	v_or_b32_e32 v5, 0x10000, v4
	s_delay_alu instid0(VALU_DEP_2) | instskip(NEXT) | instid1(VALU_DEP_2)
	v_cmp_eq_u32_e32 vcc_lo, 0, v3
	v_cndmask_b32_e32 v3, v5, v4, vcc_lo
; %bb.2366:                             ;   in Loop: Header=BB12_1634 Depth=1
	s_or_b32 exec_lo, exec_lo, s10
	v_and_b32_e32 v4, 0xffff0000, v87
	v_lshlrev_b32_e32 v5, 16, v23
	s_mov_b32 s10, exec_lo
                                        ; implicit-def: $vgpr22
	s_delay_alu instid0(VALU_DEP_1) | instskip(NEXT) | instid1(VALU_DEP_1)
	v_add_f32_e32 v4, v5, v4
	v_and_b32_e32 v5, 0x7f800000, v4
	s_delay_alu instid0(VALU_DEP_1)
	v_cmpx_ne_u32_e32 0x7f800000, v5
	s_xor_b32 s10, exec_lo, s10
; %bb.2367:                             ;   in Loop: Header=BB12_1634 Depth=1
	v_bfe_u32 v5, v4, 16, 1
	s_delay_alu instid0(VALU_DEP_1)
	v_add3_u32 v22, v4, v5, 0x7fff
                                        ; implicit-def: $vgpr4
; %bb.2368:                             ;   in Loop: Header=BB12_1634 Depth=1
	s_and_not1_saveexec_b32 s10, s10
; %bb.2369:                             ;   in Loop: Header=BB12_1634 Depth=1
	v_and_b32_e32 v5, 0xffff, v4
	v_or_b32_e32 v6, 0x10000, v4
	s_delay_alu instid0(VALU_DEP_2) | instskip(NEXT) | instid1(VALU_DEP_2)
	v_cmp_eq_u32_e32 vcc_lo, 0, v5
	v_cndmask_b32_e32 v22, v6, v4, vcc_lo
; %bb.2370:                             ;   in Loop: Header=BB12_1634 Depth=1
	s_or_b32 exec_lo, exec_lo, s10
	v_and_b32_e32 v4, 0xffff0000, v23
	v_and_b32_e32 v5, 0xffff0000, v84
	s_mov_b32 s10, exec_lo
                                        ; implicit-def: $vgpr23
	s_delay_alu instid0(VALU_DEP_1) | instskip(NEXT) | instid1(VALU_DEP_1)
	v_add_f32_e32 v4, v4, v5
	v_and_b32_e32 v5, 0x7f800000, v4
	s_delay_alu instid0(VALU_DEP_1)
	v_cmpx_ne_u32_e32 0x7f800000, v5
	s_xor_b32 s10, exec_lo, s10
; %bb.2371:                             ;   in Loop: Header=BB12_1634 Depth=1
	v_bfe_u32 v5, v4, 16, 1
	s_delay_alu instid0(VALU_DEP_1)
	v_add3_u32 v23, v4, v5, 0x7fff
                                        ; implicit-def: $vgpr4
; %bb.2372:                             ;   in Loop: Header=BB12_1634 Depth=1
	s_and_not1_saveexec_b32 s10, s10
; %bb.2373:                             ;   in Loop: Header=BB12_1634 Depth=1
	v_and_b32_e32 v5, 0xffff, v4
	v_or_b32_e32 v6, 0x10000, v4
	s_delay_alu instid0(VALU_DEP_2) | instskip(NEXT) | instid1(VALU_DEP_2)
	v_cmp_eq_u32_e32 vcc_lo, 0, v5
	v_cndmask_b32_e32 v23, v6, v4, vcc_lo
; %bb.2374:                             ;   in Loop: Header=BB12_1634 Depth=1
	s_or_b32 exec_lo, exec_lo, s10
	v_and_b32_e32 v4, 0xffff0000, v85
	v_lshlrev_b32_e32 v5, 16, v24
	s_mov_b32 s10, exec_lo
                                        ; implicit-def: $vgpr28
	s_delay_alu instid0(VALU_DEP_1) | instskip(NEXT) | instid1(VALU_DEP_1)
	v_add_f32_e32 v4, v5, v4
	v_and_b32_e32 v5, 0x7f800000, v4
	s_delay_alu instid0(VALU_DEP_1)
	v_cmpx_ne_u32_e32 0x7f800000, v5
	s_xor_b32 s10, exec_lo, s10
; %bb.2375:                             ;   in Loop: Header=BB12_1634 Depth=1
	v_bfe_u32 v5, v4, 16, 1
	s_delay_alu instid0(VALU_DEP_1)
	v_add3_u32 v28, v4, v5, 0x7fff
                                        ; implicit-def: $vgpr4
; %bb.2376:                             ;   in Loop: Header=BB12_1634 Depth=1
	s_and_not1_saveexec_b32 s10, s10
; %bb.2377:                             ;   in Loop: Header=BB12_1634 Depth=1
	v_and_b32_e32 v5, 0xffff, v4
	v_or_b32_e32 v6, 0x10000, v4
	s_delay_alu instid0(VALU_DEP_2) | instskip(NEXT) | instid1(VALU_DEP_2)
	v_cmp_eq_u32_e32 vcc_lo, 0, v5
	v_cndmask_b32_e32 v28, v6, v4, vcc_lo
; %bb.2378:                             ;   in Loop: Header=BB12_1634 Depth=1
	s_or_b32 exec_lo, exec_lo, s10
	v_and_b32_e32 v4, 0xffff0000, v24
	v_and_b32_e32 v5, 0xffff0000, v82
	s_mov_b32 s10, exec_lo
                                        ; implicit-def: $vgpr24
	s_delay_alu instid0(VALU_DEP_1) | instskip(NEXT) | instid1(VALU_DEP_1)
	v_add_f32_e32 v4, v4, v5
	v_and_b32_e32 v5, 0x7f800000, v4
	s_delay_alu instid0(VALU_DEP_1)
	v_cmpx_ne_u32_e32 0x7f800000, v5
	s_xor_b32 s10, exec_lo, s10
; %bb.2379:                             ;   in Loop: Header=BB12_1634 Depth=1
	v_bfe_u32 v5, v4, 16, 1
	s_delay_alu instid0(VALU_DEP_1)
	v_add3_u32 v24, v4, v5, 0x7fff
                                        ; implicit-def: $vgpr4
; %bb.2380:                             ;   in Loop: Header=BB12_1634 Depth=1
	s_and_not1_saveexec_b32 s10, s10
; %bb.2381:                             ;   in Loop: Header=BB12_1634 Depth=1
	v_and_b32_e32 v5, 0xffff, v4
	v_or_b32_e32 v6, 0x10000, v4
	s_delay_alu instid0(VALU_DEP_2) | instskip(NEXT) | instid1(VALU_DEP_2)
	v_cmp_eq_u32_e32 vcc_lo, 0, v5
	v_cndmask_b32_e32 v24, v6, v4, vcc_lo
; %bb.2382:                             ;   in Loop: Header=BB12_1634 Depth=1
	s_or_b32 exec_lo, exec_lo, s10
	v_and_b32_e32 v4, 0xffff0000, v83
	v_lshlrev_b32_e32 v5, 16, v25
	s_mov_b32 s10, exec_lo
                                        ; implicit-def: $vgpr29
	s_delay_alu instid0(VALU_DEP_1) | instskip(NEXT) | instid1(VALU_DEP_1)
	v_add_f32_e32 v4, v5, v4
	v_and_b32_e32 v5, 0x7f800000, v4
	s_delay_alu instid0(VALU_DEP_1)
	v_cmpx_ne_u32_e32 0x7f800000, v5
	s_xor_b32 s10, exec_lo, s10
; %bb.2383:                             ;   in Loop: Header=BB12_1634 Depth=1
	v_bfe_u32 v5, v4, 16, 1
	s_delay_alu instid0(VALU_DEP_1)
	v_add3_u32 v29, v4, v5, 0x7fff
                                        ; implicit-def: $vgpr4
; %bb.2384:                             ;   in Loop: Header=BB12_1634 Depth=1
	s_and_not1_saveexec_b32 s10, s10
; %bb.2385:                             ;   in Loop: Header=BB12_1634 Depth=1
	v_and_b32_e32 v5, 0xffff, v4
	v_or_b32_e32 v6, 0x10000, v4
	s_delay_alu instid0(VALU_DEP_2) | instskip(NEXT) | instid1(VALU_DEP_2)
	v_cmp_eq_u32_e32 vcc_lo, 0, v5
	v_cndmask_b32_e32 v29, v6, v4, vcc_lo
; %bb.2386:                             ;   in Loop: Header=BB12_1634 Depth=1
	s_or_b32 exec_lo, exec_lo, s10
	v_and_b32_e32 v4, 0xffff0000, v25
	v_and_b32_e32 v5, 0xffff0000, v80
	s_mov_b32 s10, exec_lo
                                        ; implicit-def: $vgpr25
	s_delay_alu instid0(VALU_DEP_1) | instskip(NEXT) | instid1(VALU_DEP_1)
	v_add_f32_e32 v4, v4, v5
	v_and_b32_e32 v5, 0x7f800000, v4
	s_delay_alu instid0(VALU_DEP_1)
	v_cmpx_ne_u32_e32 0x7f800000, v5
	s_xor_b32 s10, exec_lo, s10
; %bb.2387:                             ;   in Loop: Header=BB12_1634 Depth=1
	v_bfe_u32 v5, v4, 16, 1
	s_delay_alu instid0(VALU_DEP_1)
	v_add3_u32 v25, v4, v5, 0x7fff
                                        ; implicit-def: $vgpr4
; %bb.2388:                             ;   in Loop: Header=BB12_1634 Depth=1
	s_and_not1_saveexec_b32 s10, s10
; %bb.2389:                             ;   in Loop: Header=BB12_1634 Depth=1
	v_and_b32_e32 v5, 0xffff, v4
	v_or_b32_e32 v6, 0x10000, v4
	s_delay_alu instid0(VALU_DEP_2) | instskip(NEXT) | instid1(VALU_DEP_2)
	v_cmp_eq_u32_e32 vcc_lo, 0, v5
	v_cndmask_b32_e32 v25, v6, v4, vcc_lo
; %bb.2390:                             ;   in Loop: Header=BB12_1634 Depth=1
	s_or_b32 exec_lo, exec_lo, s10
	v_and_b32_e32 v4, 0xffff0000, v81
	v_lshlrev_b32_e32 v5, 16, v18
	s_mov_b32 s10, exec_lo
                                        ; implicit-def: $vgpr49
	s_delay_alu instid0(VALU_DEP_1) | instskip(NEXT) | instid1(VALU_DEP_1)
	v_add_f32_e32 v4, v5, v4
	v_and_b32_e32 v5, 0x7f800000, v4
	s_delay_alu instid0(VALU_DEP_1)
	v_cmpx_ne_u32_e32 0x7f800000, v5
	s_xor_b32 s10, exec_lo, s10
; %bb.2391:                             ;   in Loop: Header=BB12_1634 Depth=1
	v_bfe_u32 v5, v4, 16, 1
	s_delay_alu instid0(VALU_DEP_1)
	v_add3_u32 v49, v4, v5, 0x7fff
                                        ; implicit-def: $vgpr4
; %bb.2392:                             ;   in Loop: Header=BB12_1634 Depth=1
	s_and_not1_saveexec_b32 s10, s10
; %bb.2393:                             ;   in Loop: Header=BB12_1634 Depth=1
	v_and_b32_e32 v5, 0xffff, v4
	v_or_b32_e32 v6, 0x10000, v4
	s_delay_alu instid0(VALU_DEP_2) | instskip(NEXT) | instid1(VALU_DEP_2)
	v_cmp_eq_u32_e32 vcc_lo, 0, v5
	v_cndmask_b32_e32 v49, v6, v4, vcc_lo
; %bb.2394:                             ;   in Loop: Header=BB12_1634 Depth=1
	s_or_b32 exec_lo, exec_lo, s10
	v_and_b32_e32 v4, 0xffff0000, v18
	v_and_b32_e32 v5, 0xffff0000, v67
	s_mov_b32 s10, exec_lo
                                        ; implicit-def: $vgpr18
	s_delay_alu instid0(VALU_DEP_1) | instskip(NEXT) | instid1(VALU_DEP_1)
	v_add_f32_e32 v4, v4, v5
	v_and_b32_e32 v5, 0x7f800000, v4
	s_delay_alu instid0(VALU_DEP_1)
	v_cmpx_ne_u32_e32 0x7f800000, v5
	s_xor_b32 s10, exec_lo, s10
; %bb.2395:                             ;   in Loop: Header=BB12_1634 Depth=1
	v_bfe_u32 v5, v4, 16, 1
	s_delay_alu instid0(VALU_DEP_1)
	v_add3_u32 v18, v4, v5, 0x7fff
                                        ; implicit-def: $vgpr4
; %bb.2396:                             ;   in Loop: Header=BB12_1634 Depth=1
	s_and_not1_saveexec_b32 s10, s10
; %bb.2397:                             ;   in Loop: Header=BB12_1634 Depth=1
	v_and_b32_e32 v5, 0xffff, v4
	v_or_b32_e32 v6, 0x10000, v4
	s_delay_alu instid0(VALU_DEP_2) | instskip(NEXT) | instid1(VALU_DEP_2)
	v_cmp_eq_u32_e32 vcc_lo, 0, v5
	v_cndmask_b32_e32 v18, v6, v4, vcc_lo
; %bb.2398:                             ;   in Loop: Header=BB12_1634 Depth=1
	s_or_b32 exec_lo, exec_lo, s10
	v_and_b32_e32 v4, 0xffff0000, v68
	v_lshlrev_b32_e32 v5, 16, v19
	s_mov_b32 s10, exec_lo
                                        ; implicit-def: $vgpr50
	s_delay_alu instid0(VALU_DEP_1) | instskip(NEXT) | instid1(VALU_DEP_1)
	v_add_f32_e32 v4, v5, v4
	v_and_b32_e32 v5, 0x7f800000, v4
	s_delay_alu instid0(VALU_DEP_1)
	v_cmpx_ne_u32_e32 0x7f800000, v5
	s_xor_b32 s10, exec_lo, s10
; %bb.2399:                             ;   in Loop: Header=BB12_1634 Depth=1
	v_bfe_u32 v5, v4, 16, 1
	s_delay_alu instid0(VALU_DEP_1)
	v_add3_u32 v50, v4, v5, 0x7fff
                                        ; implicit-def: $vgpr4
; %bb.2400:                             ;   in Loop: Header=BB12_1634 Depth=1
	s_and_not1_saveexec_b32 s10, s10
; %bb.2401:                             ;   in Loop: Header=BB12_1634 Depth=1
	v_and_b32_e32 v5, 0xffff, v4
	v_or_b32_e32 v6, 0x10000, v4
	s_delay_alu instid0(VALU_DEP_2) | instskip(NEXT) | instid1(VALU_DEP_2)
	v_cmp_eq_u32_e32 vcc_lo, 0, v5
	v_cndmask_b32_e32 v50, v6, v4, vcc_lo
; %bb.2402:                             ;   in Loop: Header=BB12_1634 Depth=1
	s_or_b32 exec_lo, exec_lo, s10
	v_and_b32_e32 v4, 0xffff0000, v19
	v_and_b32_e32 v5, 0xffff0000, v31
	s_mov_b32 s10, exec_lo
                                        ; implicit-def: $vgpr19
	s_delay_alu instid0(VALU_DEP_1) | instskip(NEXT) | instid1(VALU_DEP_1)
	v_add_f32_e32 v4, v4, v5
	v_and_b32_e32 v5, 0x7f800000, v4
	s_delay_alu instid0(VALU_DEP_1)
	v_cmpx_ne_u32_e32 0x7f800000, v5
	s_xor_b32 s10, exec_lo, s10
; %bb.2403:                             ;   in Loop: Header=BB12_1634 Depth=1
	v_bfe_u32 v5, v4, 16, 1
	s_delay_alu instid0(VALU_DEP_1)
	v_add3_u32 v19, v4, v5, 0x7fff
                                        ; implicit-def: $vgpr4
; %bb.2404:                             ;   in Loop: Header=BB12_1634 Depth=1
	s_and_not1_saveexec_b32 s10, s10
; %bb.2405:                             ;   in Loop: Header=BB12_1634 Depth=1
	v_and_b32_e32 v5, 0xffff, v4
	v_or_b32_e32 v6, 0x10000, v4
	s_delay_alu instid0(VALU_DEP_2) | instskip(NEXT) | instid1(VALU_DEP_2)
	v_cmp_eq_u32_e32 vcc_lo, 0, v5
	v_cndmask_b32_e32 v19, v6, v4, vcc_lo
; %bb.2406:                             ;   in Loop: Header=BB12_1634 Depth=1
	s_or_b32 exec_lo, exec_lo, s10
	v_and_b32_e32 v4, 0xffff0000, v66
	v_lshlrev_b32_e32 v5, 16, v20
	s_mov_b32 s10, exec_lo
                                        ; implicit-def: $vgpr31
	s_delay_alu instid0(VALU_DEP_1) | instskip(NEXT) | instid1(VALU_DEP_1)
	v_add_f32_e32 v4, v5, v4
	v_and_b32_e32 v5, 0x7f800000, v4
	s_delay_alu instid0(VALU_DEP_1)
	v_cmpx_ne_u32_e32 0x7f800000, v5
	s_xor_b32 s10, exec_lo, s10
; %bb.2407:                             ;   in Loop: Header=BB12_1634 Depth=1
	v_bfe_u32 v5, v4, 16, 1
	s_delay_alu instid0(VALU_DEP_1)
	v_add3_u32 v31, v4, v5, 0x7fff
                                        ; implicit-def: $vgpr4
; %bb.2408:                             ;   in Loop: Header=BB12_1634 Depth=1
	s_and_not1_saveexec_b32 s10, s10
; %bb.2409:                             ;   in Loop: Header=BB12_1634 Depth=1
	v_and_b32_e32 v5, 0xffff, v4
	v_or_b32_e32 v6, 0x10000, v4
	s_delay_alu instid0(VALU_DEP_2) | instskip(NEXT) | instid1(VALU_DEP_2)
	v_cmp_eq_u32_e32 vcc_lo, 0, v5
	v_cndmask_b32_e32 v31, v6, v4, vcc_lo
; %bb.2410:                             ;   in Loop: Header=BB12_1634 Depth=1
	s_or_b32 exec_lo, exec_lo, s10
	v_and_b32_e32 v4, 0xffff0000, v20
	v_and_b32_e32 v5, 0xffff0000, v64
	s_mov_b32 s10, exec_lo
                                        ; implicit-def: $vgpr20
	s_delay_alu instid0(VALU_DEP_1) | instskip(NEXT) | instid1(VALU_DEP_1)
	v_add_f32_e32 v4, v4, v5
	v_and_b32_e32 v5, 0x7f800000, v4
	s_delay_alu instid0(VALU_DEP_1)
	v_cmpx_ne_u32_e32 0x7f800000, v5
	s_xor_b32 s10, exec_lo, s10
; %bb.2411:                             ;   in Loop: Header=BB12_1634 Depth=1
	v_bfe_u32 v5, v4, 16, 1
	s_delay_alu instid0(VALU_DEP_1)
	v_add3_u32 v20, v4, v5, 0x7fff
                                        ; implicit-def: $vgpr4
; %bb.2412:                             ;   in Loop: Header=BB12_1634 Depth=1
	s_and_not1_saveexec_b32 s10, s10
; %bb.2413:                             ;   in Loop: Header=BB12_1634 Depth=1
	v_and_b32_e32 v5, 0xffff, v4
	v_or_b32_e32 v6, 0x10000, v4
	s_delay_alu instid0(VALU_DEP_2) | instskip(NEXT) | instid1(VALU_DEP_2)
	v_cmp_eq_u32_e32 vcc_lo, 0, v5
	v_cndmask_b32_e32 v20, v6, v4, vcc_lo
; %bb.2414:                             ;   in Loop: Header=BB12_1634 Depth=1
	s_or_b32 exec_lo, exec_lo, s10
	v_and_b32_e32 v4, 0xffff0000, v65
	v_lshlrev_b32_e32 v5, 16, v21
	s_mov_b32 s10, exec_lo
                                        ; implicit-def: $vgpr51
	s_delay_alu instid0(VALU_DEP_1) | instskip(NEXT) | instid1(VALU_DEP_1)
	v_add_f32_e32 v4, v5, v4
	v_and_b32_e32 v5, 0x7f800000, v4
	s_delay_alu instid0(VALU_DEP_1)
	v_cmpx_ne_u32_e32 0x7f800000, v5
	s_xor_b32 s10, exec_lo, s10
; %bb.2415:                             ;   in Loop: Header=BB12_1634 Depth=1
	v_bfe_u32 v5, v4, 16, 1
	s_delay_alu instid0(VALU_DEP_1)
	v_add3_u32 v51, v4, v5, 0x7fff
                                        ; implicit-def: $vgpr4
; %bb.2416:                             ;   in Loop: Header=BB12_1634 Depth=1
	s_and_not1_saveexec_b32 s10, s10
; %bb.2417:                             ;   in Loop: Header=BB12_1634 Depth=1
	v_and_b32_e32 v5, 0xffff, v4
	v_or_b32_e32 v6, 0x10000, v4
	s_delay_alu instid0(VALU_DEP_2) | instskip(NEXT) | instid1(VALU_DEP_2)
	v_cmp_eq_u32_e32 vcc_lo, 0, v5
	v_cndmask_b32_e32 v51, v6, v4, vcc_lo
; %bb.2418:                             ;   in Loop: Header=BB12_1634 Depth=1
	s_or_b32 exec_lo, exec_lo, s10
	v_and_b32_e32 v4, 0xffff0000, v21
	v_and_b32_e32 v5, 0xffff0000, v54
	s_delay_alu instid0(VALU_DEP_1) | instskip(NEXT) | instid1(VALU_DEP_1)
	v_add_f32_e32 v5, v4, v5
	v_and_b32_e32 v4, 0x7f800000, v5
	s_delay_alu instid0(VALU_DEP_1) | instskip(SKIP_1) | instid1(SALU_CYCLE_1)
	v_cmp_ne_u32_e32 vcc_lo, 0x7f800000, v4
                                        ; implicit-def: $vgpr4
	s_and_saveexec_b32 s10, vcc_lo
	s_xor_b32 s10, exec_lo, s10
; %bb.2419:                             ;   in Loop: Header=BB12_1634 Depth=1
	v_bfe_u32 v4, v5, 16, 1
	s_delay_alu instid0(VALU_DEP_1)
	v_add3_u32 v4, v5, v4, 0x7fff
                                        ; implicit-def: $vgpr5
; %bb.2420:                             ;   in Loop: Header=BB12_1634 Depth=1
	s_and_not1_saveexec_b32 s10, s10
; %bb.2421:                             ;   in Loop: Header=BB12_1634 Depth=1
	v_and_b32_e32 v4, 0xffff, v5
	v_or_b32_e32 v6, 0x10000, v5
	s_delay_alu instid0(VALU_DEP_2) | instskip(NEXT) | instid1(VALU_DEP_2)
	v_cmp_eq_u32_e32 vcc_lo, 0, v4
	v_cndmask_b32_e32 v4, v6, v5, vcc_lo
; %bb.2422:                             ;   in Loop: Header=BB12_1634 Depth=1
	s_or_b32 exec_lo, exec_lo, s10
	v_and_b32_e32 v5, 0xffff0000, v55
	v_lshlrev_b32_e32 v6, 16, v14
	s_delay_alu instid0(VALU_DEP_1) | instskip(NEXT) | instid1(VALU_DEP_1)
	v_add_f32_e32 v6, v6, v5
	v_and_b32_e32 v5, 0x7f800000, v6
	s_delay_alu instid0(VALU_DEP_1) | instskip(SKIP_1) | instid1(SALU_CYCLE_1)
	v_cmp_ne_u32_e32 vcc_lo, 0x7f800000, v5
                                        ; implicit-def: $vgpr5
	s_and_saveexec_b32 s10, vcc_lo
	s_xor_b32 s10, exec_lo, s10
; %bb.2423:                             ;   in Loop: Header=BB12_1634 Depth=1
	v_bfe_u32 v5, v6, 16, 1
	s_delay_alu instid0(VALU_DEP_1)
	v_add3_u32 v5, v6, v5, 0x7fff
                                        ; implicit-def: $vgpr6
; %bb.2424:                             ;   in Loop: Header=BB12_1634 Depth=1
	s_and_not1_saveexec_b32 s10, s10
; %bb.2425:                             ;   in Loop: Header=BB12_1634 Depth=1
	v_and_b32_e32 v5, 0xffff, v6
	v_or_b32_e32 v7, 0x10000, v6
	s_delay_alu instid0(VALU_DEP_2) | instskip(NEXT) | instid1(VALU_DEP_2)
	v_cmp_eq_u32_e32 vcc_lo, 0, v5
	v_cndmask_b32_e32 v5, v7, v6, vcc_lo
; %bb.2426:                             ;   in Loop: Header=BB12_1634 Depth=1
	s_or_b32 exec_lo, exec_lo, s10
	v_and_b32_e32 v6, 0xffff0000, v14
	v_and_b32_e32 v7, 0xffff0000, v52
	s_mov_b32 s10, exec_lo
                                        ; implicit-def: $vgpr14
	s_delay_alu instid0(VALU_DEP_1) | instskip(NEXT) | instid1(VALU_DEP_1)
	v_add_f32_e32 v6, v6, v7
	v_and_b32_e32 v7, 0x7f800000, v6
	s_delay_alu instid0(VALU_DEP_1)
	v_cmpx_ne_u32_e32 0x7f800000, v7
	s_xor_b32 s10, exec_lo, s10
; %bb.2427:                             ;   in Loop: Header=BB12_1634 Depth=1
	v_bfe_u32 v7, v6, 16, 1
	s_delay_alu instid0(VALU_DEP_1)
	v_add3_u32 v14, v6, v7, 0x7fff
                                        ; implicit-def: $vgpr6
; %bb.2428:                             ;   in Loop: Header=BB12_1634 Depth=1
	s_and_not1_saveexec_b32 s10, s10
; %bb.2429:                             ;   in Loop: Header=BB12_1634 Depth=1
	v_and_b32_e32 v7, 0xffff, v6
	v_or_b32_e32 v8, 0x10000, v6
	s_delay_alu instid0(VALU_DEP_2) | instskip(NEXT) | instid1(VALU_DEP_2)
	v_cmp_eq_u32_e32 vcc_lo, 0, v7
	v_cndmask_b32_e32 v14, v8, v6, vcc_lo
; %bb.2430:                             ;   in Loop: Header=BB12_1634 Depth=1
	s_or_b32 exec_lo, exec_lo, s10
	v_and_b32_e32 v6, 0xffff0000, v53
	v_lshlrev_b32_e32 v7, 16, v15
	s_mov_b32 s10, exec_lo
                                        ; implicit-def: $vgpr21
	s_delay_alu instid0(VALU_DEP_1) | instskip(NEXT) | instid1(VALU_DEP_1)
	v_add_f32_e32 v6, v7, v6
	v_and_b32_e32 v7, 0x7f800000, v6
	s_delay_alu instid0(VALU_DEP_1)
	v_cmpx_ne_u32_e32 0x7f800000, v7
	s_xor_b32 s10, exec_lo, s10
; %bb.2431:                             ;   in Loop: Header=BB12_1634 Depth=1
	v_bfe_u32 v7, v6, 16, 1
	s_delay_alu instid0(VALU_DEP_1)
	v_add3_u32 v21, v6, v7, 0x7fff
                                        ; implicit-def: $vgpr6
; %bb.2432:                             ;   in Loop: Header=BB12_1634 Depth=1
	s_and_not1_saveexec_b32 s10, s10
; %bb.2433:                             ;   in Loop: Header=BB12_1634 Depth=1
	v_and_b32_e32 v7, 0xffff, v6
	v_or_b32_e32 v8, 0x10000, v6
	s_delay_alu instid0(VALU_DEP_2) | instskip(NEXT) | instid1(VALU_DEP_2)
	v_cmp_eq_u32_e32 vcc_lo, 0, v7
	v_cndmask_b32_e32 v21, v8, v6, vcc_lo
; %bb.2434:                             ;   in Loop: Header=BB12_1634 Depth=1
	s_or_b32 exec_lo, exec_lo, s10
	v_and_b32_e32 v6, 0xffff0000, v15
	v_and_b32_e32 v7, 0xffff0000, v39
	s_mov_b32 s10, exec_lo
                                        ; implicit-def: $vgpr15
	s_delay_alu instid0(VALU_DEP_1) | instskip(NEXT) | instid1(VALU_DEP_1)
	v_add_f32_e32 v6, v6, v7
	v_and_b32_e32 v7, 0x7f800000, v6
	s_delay_alu instid0(VALU_DEP_1)
	v_cmpx_ne_u32_e32 0x7f800000, v7
	s_xor_b32 s10, exec_lo, s10
; %bb.2435:                             ;   in Loop: Header=BB12_1634 Depth=1
	v_bfe_u32 v7, v6, 16, 1
	s_delay_alu instid0(VALU_DEP_1)
	v_add3_u32 v15, v6, v7, 0x7fff
                                        ; implicit-def: $vgpr6
; %bb.2436:                             ;   in Loop: Header=BB12_1634 Depth=1
	s_and_not1_saveexec_b32 s10, s10
; %bb.2437:                             ;   in Loop: Header=BB12_1634 Depth=1
	v_and_b32_e32 v7, 0xffff, v6
	v_or_b32_e32 v8, 0x10000, v6
	s_delay_alu instid0(VALU_DEP_2) | instskip(NEXT) | instid1(VALU_DEP_2)
	v_cmp_eq_u32_e32 vcc_lo, 0, v7
	v_cndmask_b32_e32 v15, v8, v6, vcc_lo
; %bb.2438:                             ;   in Loop: Header=BB12_1634 Depth=1
	s_or_b32 exec_lo, exec_lo, s10
	v_and_b32_e32 v6, 0xffff0000, v48
	v_lshlrev_b32_e32 v7, 16, v16
	s_mov_b32 s10, exec_lo
                                        ; implicit-def: $vgpr39
	s_delay_alu instid0(VALU_DEP_1) | instskip(NEXT) | instid1(VALU_DEP_1)
	v_add_f32_e32 v6, v7, v6
	v_and_b32_e32 v7, 0x7f800000, v6
	s_delay_alu instid0(VALU_DEP_1)
	v_cmpx_ne_u32_e32 0x7f800000, v7
	s_xor_b32 s10, exec_lo, s10
; %bb.2439:                             ;   in Loop: Header=BB12_1634 Depth=1
	v_bfe_u32 v7, v6, 16, 1
	s_delay_alu instid0(VALU_DEP_1)
	v_add3_u32 v39, v6, v7, 0x7fff
                                        ; implicit-def: $vgpr6
; %bb.2440:                             ;   in Loop: Header=BB12_1634 Depth=1
	s_and_not1_saveexec_b32 s10, s10
; %bb.2441:                             ;   in Loop: Header=BB12_1634 Depth=1
	v_and_b32_e32 v7, 0xffff, v6
	v_or_b32_e32 v8, 0x10000, v6
	s_delay_alu instid0(VALU_DEP_2) | instskip(NEXT) | instid1(VALU_DEP_2)
	v_cmp_eq_u32_e32 vcc_lo, 0, v7
	v_cndmask_b32_e32 v39, v8, v6, vcc_lo
; %bb.2442:                             ;   in Loop: Header=BB12_1634 Depth=1
	s_or_b32 exec_lo, exec_lo, s10
	v_and_b32_e32 v6, 0xffff0000, v16
	v_and_b32_e32 v7, 0xffff0000, v37
	s_mov_b32 s10, exec_lo
                                        ; implicit-def: $vgpr16
	s_delay_alu instid0(VALU_DEP_1) | instskip(NEXT) | instid1(VALU_DEP_1)
	v_add_f32_e32 v6, v6, v7
	v_and_b32_e32 v7, 0x7f800000, v6
	s_delay_alu instid0(VALU_DEP_1)
	v_cmpx_ne_u32_e32 0x7f800000, v7
	s_xor_b32 s10, exec_lo, s10
; %bb.2443:                             ;   in Loop: Header=BB12_1634 Depth=1
	v_bfe_u32 v7, v6, 16, 1
	s_delay_alu instid0(VALU_DEP_1)
	v_add3_u32 v16, v6, v7, 0x7fff
                                        ; implicit-def: $vgpr6
; %bb.2444:                             ;   in Loop: Header=BB12_1634 Depth=1
	s_and_not1_saveexec_b32 s10, s10
; %bb.2445:                             ;   in Loop: Header=BB12_1634 Depth=1
	v_and_b32_e32 v7, 0xffff, v6
	v_or_b32_e32 v8, 0x10000, v6
	s_delay_alu instid0(VALU_DEP_2) | instskip(NEXT) | instid1(VALU_DEP_2)
	v_cmp_eq_u32_e32 vcc_lo, 0, v7
	v_cndmask_b32_e32 v16, v8, v6, vcc_lo
; %bb.2446:                             ;   in Loop: Header=BB12_1634 Depth=1
	s_or_b32 exec_lo, exec_lo, s10
	v_and_b32_e32 v6, 0xffff0000, v38
	v_lshlrev_b32_e32 v7, 16, v17
	s_mov_b32 s10, exec_lo
                                        ; implicit-def: $vgpr37
	s_delay_alu instid0(VALU_DEP_1) | instskip(NEXT) | instid1(VALU_DEP_1)
	v_add_f32_e32 v6, v7, v6
	v_and_b32_e32 v7, 0x7f800000, v6
	s_delay_alu instid0(VALU_DEP_1)
	v_cmpx_ne_u32_e32 0x7f800000, v7
	s_xor_b32 s10, exec_lo, s10
; %bb.2447:                             ;   in Loop: Header=BB12_1634 Depth=1
	v_bfe_u32 v7, v6, 16, 1
	s_delay_alu instid0(VALU_DEP_1)
	v_add3_u32 v37, v6, v7, 0x7fff
                                        ; implicit-def: $vgpr6
; %bb.2448:                             ;   in Loop: Header=BB12_1634 Depth=1
	s_and_not1_saveexec_b32 s10, s10
; %bb.2449:                             ;   in Loop: Header=BB12_1634 Depth=1
	v_and_b32_e32 v7, 0xffff, v6
	v_or_b32_e32 v8, 0x10000, v6
	s_delay_alu instid0(VALU_DEP_2) | instskip(NEXT) | instid1(VALU_DEP_2)
	v_cmp_eq_u32_e32 vcc_lo, 0, v7
	v_cndmask_b32_e32 v37, v8, v6, vcc_lo
; %bb.2450:                             ;   in Loop: Header=BB12_1634 Depth=1
	s_or_b32 exec_lo, exec_lo, s10
	v_and_b32_e32 v6, 0xffff0000, v17
	v_and_b32_e32 v7, 0xffff0000, v35
	s_mov_b32 s10, exec_lo
                                        ; implicit-def: $vgpr17
	s_delay_alu instid0(VALU_DEP_1) | instskip(NEXT) | instid1(VALU_DEP_1)
	v_add_f32_e32 v6, v6, v7
	v_and_b32_e32 v7, 0x7f800000, v6
	s_delay_alu instid0(VALU_DEP_1)
	v_cmpx_ne_u32_e32 0x7f800000, v7
	s_xor_b32 s10, exec_lo, s10
; %bb.2451:                             ;   in Loop: Header=BB12_1634 Depth=1
	v_bfe_u32 v7, v6, 16, 1
	s_delay_alu instid0(VALU_DEP_1)
	v_add3_u32 v17, v6, v7, 0x7fff
                                        ; implicit-def: $vgpr6
; %bb.2452:                             ;   in Loop: Header=BB12_1634 Depth=1
	s_and_not1_saveexec_b32 s10, s10
; %bb.2453:                             ;   in Loop: Header=BB12_1634 Depth=1
	v_and_b32_e32 v7, 0xffff, v6
	v_or_b32_e32 v8, 0x10000, v6
	s_delay_alu instid0(VALU_DEP_2) | instskip(NEXT) | instid1(VALU_DEP_2)
	v_cmp_eq_u32_e32 vcc_lo, 0, v7
	v_cndmask_b32_e32 v17, v8, v6, vcc_lo
; %bb.2454:                             ;   in Loop: Header=BB12_1634 Depth=1
	s_or_b32 exec_lo, exec_lo, s10
	v_and_b32_e32 v6, 0xffff0000, v36
	v_lshlrev_b32_e32 v7, 16, v10
	s_mov_b32 s10, exec_lo
                                        ; implicit-def: $vgpr35
	s_delay_alu instid0(VALU_DEP_1) | instskip(NEXT) | instid1(VALU_DEP_1)
	v_add_f32_e32 v6, v7, v6
	v_and_b32_e32 v7, 0x7f800000, v6
	s_delay_alu instid0(VALU_DEP_1)
	v_cmpx_ne_u32_e32 0x7f800000, v7
	s_xor_b32 s10, exec_lo, s10
; %bb.2455:                             ;   in Loop: Header=BB12_1634 Depth=1
	v_bfe_u32 v7, v6, 16, 1
	s_delay_alu instid0(VALU_DEP_1)
	v_add3_u32 v35, v6, v7, 0x7fff
                                        ; implicit-def: $vgpr6
; %bb.2456:                             ;   in Loop: Header=BB12_1634 Depth=1
	s_and_not1_saveexec_b32 s10, s10
; %bb.2457:                             ;   in Loop: Header=BB12_1634 Depth=1
	v_and_b32_e32 v7, 0xffff, v6
	v_or_b32_e32 v8, 0x10000, v6
	s_delay_alu instid0(VALU_DEP_2) | instskip(NEXT) | instid1(VALU_DEP_2)
	v_cmp_eq_u32_e32 vcc_lo, 0, v7
	v_cndmask_b32_e32 v35, v8, v6, vcc_lo
; %bb.2458:                             ;   in Loop: Header=BB12_1634 Depth=1
	s_or_b32 exec_lo, exec_lo, s10
	v_and_b32_e32 v6, 0xffff0000, v10
	v_and_b32_e32 v7, 0xffff0000, v33
	s_mov_b32 s10, exec_lo
                                        ; implicit-def: $vgpr10
	s_delay_alu instid0(VALU_DEP_1) | instskip(NEXT) | instid1(VALU_DEP_1)
	v_add_f32_e32 v6, v6, v7
	v_and_b32_e32 v7, 0x7f800000, v6
	s_delay_alu instid0(VALU_DEP_1)
	v_cmpx_ne_u32_e32 0x7f800000, v7
	s_xor_b32 s10, exec_lo, s10
; %bb.2459:                             ;   in Loop: Header=BB12_1634 Depth=1
	v_bfe_u32 v7, v6, 16, 1
	s_delay_alu instid0(VALU_DEP_1)
	v_add3_u32 v10, v6, v7, 0x7fff
                                        ; implicit-def: $vgpr6
; %bb.2460:                             ;   in Loop: Header=BB12_1634 Depth=1
	s_and_not1_saveexec_b32 s10, s10
; %bb.2461:                             ;   in Loop: Header=BB12_1634 Depth=1
	v_and_b32_e32 v7, 0xffff, v6
	v_or_b32_e32 v8, 0x10000, v6
	s_delay_alu instid0(VALU_DEP_2) | instskip(NEXT) | instid1(VALU_DEP_2)
	v_cmp_eq_u32_e32 vcc_lo, 0, v7
	v_cndmask_b32_e32 v10, v8, v6, vcc_lo
; %bb.2462:                             ;   in Loop: Header=BB12_1634 Depth=1
	s_or_b32 exec_lo, exec_lo, s10
	v_and_b32_e32 v6, 0xffff0000, v34
	v_lshlrev_b32_e32 v7, 16, v11
	s_mov_b32 s10, exec_lo
                                        ; implicit-def: $vgpr33
	s_delay_alu instid0(VALU_DEP_1) | instskip(NEXT) | instid1(VALU_DEP_1)
	v_add_f32_e32 v6, v7, v6
	v_and_b32_e32 v7, 0x7f800000, v6
	s_delay_alu instid0(VALU_DEP_1)
	v_cmpx_ne_u32_e32 0x7f800000, v7
	s_xor_b32 s10, exec_lo, s10
; %bb.2463:                             ;   in Loop: Header=BB12_1634 Depth=1
	v_bfe_u32 v7, v6, 16, 1
	s_delay_alu instid0(VALU_DEP_1)
	v_add3_u32 v33, v6, v7, 0x7fff
                                        ; implicit-def: $vgpr6
; %bb.2464:                             ;   in Loop: Header=BB12_1634 Depth=1
	s_and_not1_saveexec_b32 s10, s10
; %bb.2465:                             ;   in Loop: Header=BB12_1634 Depth=1
	v_and_b32_e32 v7, 0xffff, v6
	v_or_b32_e32 v8, 0x10000, v6
	s_delay_alu instid0(VALU_DEP_2) | instskip(NEXT) | instid1(VALU_DEP_2)
	v_cmp_eq_u32_e32 vcc_lo, 0, v7
	v_cndmask_b32_e32 v33, v8, v6, vcc_lo
; %bb.2466:                             ;   in Loop: Header=BB12_1634 Depth=1
	s_or_b32 exec_lo, exec_lo, s10
	v_and_b32_e32 v6, 0xffff0000, v11
	v_and_b32_e32 v7, 0xffff0000, v27
	s_mov_b32 s10, exec_lo
                                        ; implicit-def: $vgpr11
	s_delay_alu instid0(VALU_DEP_1) | instskip(NEXT) | instid1(VALU_DEP_1)
	v_add_f32_e32 v6, v6, v7
	v_and_b32_e32 v7, 0x7f800000, v6
	s_delay_alu instid0(VALU_DEP_1)
	v_cmpx_ne_u32_e32 0x7f800000, v7
	s_xor_b32 s10, exec_lo, s10
; %bb.2467:                             ;   in Loop: Header=BB12_1634 Depth=1
	v_bfe_u32 v7, v6, 16, 1
	s_delay_alu instid0(VALU_DEP_1)
	v_add3_u32 v11, v6, v7, 0x7fff
                                        ; implicit-def: $vgpr6
; %bb.2468:                             ;   in Loop: Header=BB12_1634 Depth=1
	s_and_not1_saveexec_b32 s10, s10
; %bb.2469:                             ;   in Loop: Header=BB12_1634 Depth=1
	v_and_b32_e32 v7, 0xffff, v6
	v_or_b32_e32 v8, 0x10000, v6
	s_delay_alu instid0(VALU_DEP_2) | instskip(NEXT) | instid1(VALU_DEP_2)
	v_cmp_eq_u32_e32 vcc_lo, 0, v7
	v_cndmask_b32_e32 v11, v8, v6, vcc_lo
; %bb.2470:                             ;   in Loop: Header=BB12_1634 Depth=1
	s_or_b32 exec_lo, exec_lo, s10
	v_and_b32_e32 v6, 0xffff0000, v32
	v_lshlrev_b32_e32 v7, 16, v12
	s_mov_b32 s10, exec_lo
                                        ; implicit-def: $vgpr27
	s_delay_alu instid0(VALU_DEP_1) | instskip(NEXT) | instid1(VALU_DEP_1)
	v_add_f32_e32 v6, v7, v6
	v_and_b32_e32 v7, 0x7f800000, v6
	s_delay_alu instid0(VALU_DEP_1)
	v_cmpx_ne_u32_e32 0x7f800000, v7
	s_xor_b32 s10, exec_lo, s10
; %bb.2471:                             ;   in Loop: Header=BB12_1634 Depth=1
	v_bfe_u32 v7, v6, 16, 1
	s_delay_alu instid0(VALU_DEP_1)
	v_add3_u32 v27, v6, v7, 0x7fff
                                        ; implicit-def: $vgpr6
; %bb.2472:                             ;   in Loop: Header=BB12_1634 Depth=1
	s_and_not1_saveexec_b32 s10, s10
; %bb.2473:                             ;   in Loop: Header=BB12_1634 Depth=1
	v_and_b32_e32 v7, 0xffff, v6
	v_or_b32_e32 v8, 0x10000, v6
	s_delay_alu instid0(VALU_DEP_2) | instskip(NEXT) | instid1(VALU_DEP_2)
	v_cmp_eq_u32_e32 vcc_lo, 0, v7
	v_cndmask_b32_e32 v27, v8, v6, vcc_lo
; %bb.2474:                             ;   in Loop: Header=BB12_1634 Depth=1
	s_or_b32 exec_lo, exec_lo, s10
	v_and_b32_e32 v6, 0xffff0000, v12
	v_and_b32_e32 v2, 0xffff0000, v2
	s_delay_alu instid0(VALU_DEP_1) | instskip(NEXT) | instid1(VALU_DEP_1)
	v_add_f32_e32 v6, v6, v2
	v_and_b32_e32 v2, 0x7f800000, v6
	s_delay_alu instid0(VALU_DEP_1) | instskip(SKIP_1) | instid1(SALU_CYCLE_1)
	v_cmp_ne_u32_e32 vcc_lo, 0x7f800000, v2
                                        ; implicit-def: $vgpr2
	s_and_saveexec_b32 s10, vcc_lo
	s_xor_b32 s10, exec_lo, s10
; %bb.2475:                             ;   in Loop: Header=BB12_1634 Depth=1
	v_bfe_u32 v2, v6, 16, 1
	s_delay_alu instid0(VALU_DEP_1)
	v_add3_u32 v2, v6, v2, 0x7fff
                                        ; implicit-def: $vgpr6
; %bb.2476:                             ;   in Loop: Header=BB12_1634 Depth=1
	s_and_not1_saveexec_b32 s10, s10
; %bb.2477:                             ;   in Loop: Header=BB12_1634 Depth=1
	v_and_b32_e32 v2, 0xffff, v6
	v_or_b32_e32 v7, 0x10000, v6
	s_delay_alu instid0(VALU_DEP_2) | instskip(NEXT) | instid1(VALU_DEP_2)
	v_cmp_eq_u32_e32 vcc_lo, 0, v2
	v_cndmask_b32_e32 v2, v7, v6, vcc_lo
; %bb.2478:                             ;   in Loop: Header=BB12_1634 Depth=1
	s_or_b32 exec_lo, exec_lo, s10
	v_and_b32_e32 v6, 0xffff0000, v26
	v_lshlrev_b32_e32 v7, 16, v13
	s_delay_alu instid0(VALU_DEP_1) | instskip(NEXT) | instid1(VALU_DEP_1)
	v_add_f32_e32 v7, v7, v6
	v_and_b32_e32 v6, 0x7f800000, v7
	s_delay_alu instid0(VALU_DEP_1) | instskip(SKIP_1) | instid1(SALU_CYCLE_1)
	v_cmp_ne_u32_e32 vcc_lo, 0x7f800000, v6
                                        ; implicit-def: $vgpr6
	s_and_saveexec_b32 s10, vcc_lo
	s_xor_b32 s10, exec_lo, s10
; %bb.2479:                             ;   in Loop: Header=BB12_1634 Depth=1
	v_bfe_u32 v6, v7, 16, 1
	s_delay_alu instid0(VALU_DEP_1)
	v_add3_u32 v6, v7, v6, 0x7fff
                                        ; implicit-def: $vgpr7
; %bb.2480:                             ;   in Loop: Header=BB12_1634 Depth=1
	s_and_not1_saveexec_b32 s10, s10
; %bb.2481:                             ;   in Loop: Header=BB12_1634 Depth=1
	v_and_b32_e32 v6, 0xffff, v7
	v_or_b32_e32 v8, 0x10000, v7
	s_delay_alu instid0(VALU_DEP_2) | instskip(NEXT) | instid1(VALU_DEP_2)
	v_cmp_eq_u32_e32 vcc_lo, 0, v6
	v_cndmask_b32_e32 v6, v8, v7, vcc_lo
; %bb.2482:                             ;   in Loop: Header=BB12_1634 Depth=1
	s_or_b32 exec_lo, exec_lo, s10
	v_and_b32_e32 v7, 0xffff0000, v13
	v_and_b32_e32 v1, 0xffff0000, v1
	s_delay_alu instid0(VALU_DEP_1) | instskip(NEXT) | instid1(VALU_DEP_1)
	v_add_f32_e32 v7, v7, v1
	v_and_b32_e32 v1, 0x7f800000, v7
	s_delay_alu instid0(VALU_DEP_1) | instskip(SKIP_1) | instid1(SALU_CYCLE_1)
	v_cmp_ne_u32_e32 vcc_lo, 0x7f800000, v1
                                        ; implicit-def: $vgpr1
	s_and_saveexec_b32 s10, vcc_lo
	s_xor_b32 s10, exec_lo, s10
; %bb.2483:                             ;   in Loop: Header=BB12_1634 Depth=1
	v_bfe_u32 v1, v7, 16, 1
	s_delay_alu instid0(VALU_DEP_1)
	v_add3_u32 v1, v7, v1, 0x7fff
                                        ; implicit-def: $vgpr7
; %bb.2484:                             ;   in Loop: Header=BB12_1634 Depth=1
	s_and_not1_saveexec_b32 s10, s10
; %bb.2485:                             ;   in Loop: Header=BB12_1634 Depth=1
	v_and_b32_e32 v1, 0xffff, v7
	v_or_b32_e32 v8, 0x10000, v7
	s_delay_alu instid0(VALU_DEP_2) | instskip(NEXT) | instid1(VALU_DEP_2)
	v_cmp_eq_u32_e32 vcc_lo, 0, v1
	v_cndmask_b32_e32 v1, v8, v7, vcc_lo
; %bb.2486:                             ;   in Loop: Header=BB12_1634 Depth=1
	s_or_b32 exec_lo, exec_lo, s10
	v_dual_lshrrev_b32 v7, 16, v21 :: v_dual_lshrrev_b32 v8, 16, v39
	v_dual_lshrrev_b32 v5, 16, v5 :: v_dual_lshrrev_b32 v21, 16, v50
	v_lshrrev_b32_e32 v9, 16, v37
	s_delay_alu instid0(VALU_DEP_3) | instskip(SKIP_1) | instid1(VALU_DEP_4)
	v_and_or_b32 v13, 0xffff0000, v15, v7
	v_lshrrev_b32_e32 v7, 16, v49
	v_and_or_b32 v12, 0xffff0000, v14, v5
	v_and_or_b32 v14, 0xffff0000, v16, v8
	v_dual_lshrrev_b32 v5, 16, v31 :: v_dual_lshrrev_b32 v8, 16, v22
	s_delay_alu instid0(VALU_DEP_4)
	v_and_or_b32 v16, 0xffff0000, v18, v7
	v_dual_lshrrev_b32 v7, 16, v51 :: v_dual_lshrrev_b32 v0, 16, v0
	v_and_or_b32 v15, 0xffff0000, v17, v9
	v_lshrrev_b32_e32 v9, 16, v28
	v_and_or_b32 v18, 0xffff0000, v20, v5
	v_and_or_b32 v17, 0xffff0000, v19, v21
	;; [unrolled: 1-line block ×3, first 2 shown]
	v_lshrrev_b32_e32 v0, 16, v29
	v_and_or_b32 v19, 0xffff0000, v4, v7
	v_and_or_b32 v21, 0xffff0000, v23, v8
	v_dual_lshrrev_b32 v3, 16, v33 :: v_dual_lshrrev_b32 v4, 16, v35
	v_dual_lshrrev_b32 v7, 16, v27 :: v_dual_lshrrev_b32 v8, 16, v6
	v_and_or_b32 v22, 0xffff0000, v24, v9
	v_and_or_b32 v23, 0xffff0000, v25, v0
	s_delay_alu instid0(VALU_DEP_4)
	v_and_or_b32 v5, 0xffff0000, v11, v3
	v_and_or_b32 v4, 0xffff0000, v10, v4
	;; [unrolled: 1-line block ×4, first 2 shown]
	s_clause 0x3
	global_store_b128 v[120:121], v[20:23], off th:TH_STORE_NT
	global_store_b128 v[120:121], v[16:19], off offset:512 th:TH_STORE_NT
	global_store_b128 v[120:121], v[12:15], off offset:1024 th:TH_STORE_NT
	global_store_b128 v[120:121], v[4:7], off offset:1536 th:TH_STORE_NT
.LBB12_2487:                            ;   in Loop: Header=BB12_1634 Depth=1
	s_wait_xcnt 0x0
	s_or_b32 exec_lo, exec_lo, s7
	s_wait_loadcnt 0x0
	v_lshlrev_b32_e32 v20, 11, v103
	s_mov_b32 s27, exec_lo
                                        ; implicit-def: $vgpr18
                                        ; implicit-def: $vgpr0
                                        ; implicit-def: $vgpr19
	s_delay_alu instid0(VALU_DEP_1)
	v_cmpx_ne_u32_e64 v102, v20
	s_cbranch_execz .LBB12_2698
; %bb.2488:                             ;   in Loop: Header=BB12_1634 Depth=1
	v_dual_lshlrev_b32 v0, 5, v42 :: v_dual_sub_nc_u32 v2, v102, v20
	s_mov_b32 s11, 0
	s_mov_b32 s28, exec_lo
	s_delay_alu instid0(VALU_DEP_1) | instskip(NEXT) | instid1(VALU_DEP_1)
	v_dual_sub_nc_u32 v0, v56, v0 :: v_dual_ashrrev_i32 v4, 31, v2
	v_ashrrev_i32_e32 v1, 31, v0
	s_delay_alu instid0(VALU_DEP_1) | instskip(NEXT) | instid1(VALU_DEP_1)
	v_lshrrev_b32_e32 v1, 27, v1
	v_add_nc_u32_e32 v1, v0, v1
	s_delay_alu instid0(VALU_DEP_1) | instskip(NEXT) | instid1(VALU_DEP_1)
	v_and_b32_e32 v3, 0xffffffe0, v1
	v_dual_sub_nc_u32 v21, v0, v3 :: v_dual_lshrrev_b32 v0, 23, v4
	v_ashrrev_i32_e32 v1, 5, v1
	s_delay_alu instid0(VALU_DEP_2) | instskip(NEXT) | instid1(VALU_DEP_1)
	v_dual_lshlrev_b32 v3, 4, v21 :: v_dual_add_nc_u32 v0, v2, v0
	v_lshl_add_u32 v3, v1, 9, v3
	s_delay_alu instid0(VALU_DEP_2) | instskip(NEXT) | instid1(VALU_DEP_1)
	v_and_b32_e32 v22, 0xfffffe00, v0
	v_dual_add_nc_u32 v10, v3, v20 :: v_dual_sub_nc_u32 v23, v2, v22
	s_delay_alu instid0(VALU_DEP_1) | instskip(NEXT) | instid1(VALU_DEP_2)
	v_dual_ashrrev_i32 v0, 9, v0 :: v_dual_ashrrev_i32 v11, 31, v10
	v_cmp_lt_i32_e64 s7, 15, v23
	s_delay_alu instid0(VALU_DEP_1)
	v_add_co_ci_u32_e64 v4, null, 0, v0, s7
	v_sub_nc_u32_e32 v0, v2, v3
	scratch_load_b64 v[2:3], off, s33 offset:328 ; 8-byte Folded Reload
	v_sub_nc_u32_e32 v24, v4, v1
	s_wait_loadcnt 0x0
	v_add_nc_u64_e32 v[2:3], v[10:11], v[2:3]
	s_wait_xcnt 0x0
	v_cmpx_lt_i32_e32 15, v0
	s_cbranch_execz .LBB12_2629
; %bb.2489:                             ;   in Loop: Header=BB12_1634 Depth=1
	s_trap 2
	ds_load_b64 v[4:5], v0
	ds_load_b32 v1, v0
	scratch_load_b64 v[6:7], off, s33 offset:264 ; 8-byte Folded Reload
	s_mov_b32 s41, 0
	s_mov_b32 s29, 0
                                        ; implicit-def: $sgpr40
	s_wait_dscnt 0x1
	v_add_nc_u64_e32 v[16:17], v[4:5], v[10:11]
	s_wait_dscnt 0x0
	v_lshlrev_b32_e32 v1, 16, v1
	s_wait_loadcnt 0x0
	v_add_nc_u64_e32 v[14:15], v[10:11], v[6:7]
	s_branch .LBB12_2491
.LBB12_2490:                            ;   in Loop: Header=BB12_2491 Depth=2
	s_or_b32 exec_lo, exec_lo, s10
	s_delay_alu instid0(VALU_DEP_2) | instskip(SKIP_3) | instid1(SALU_CYCLE_1)
	v_cmp_gt_i32_e32 vcc_lo, 16, v0
	s_or_b32 s29, vcc_lo, s29
	s_and_not1_b32 s10, s40, exec_lo
	s_and_b32 s11, s41, exec_lo
	s_or_b32 s40, s10, s11
	s_and_not1_b32 exec_lo, exec_lo, s29
	s_cbranch_execz .LBB12_2628
.LBB12_2491:                            ;   Parent Loop BB12_1634 Depth=1
                                        ; =>  This Loop Header: Depth=2
                                        ;       Child Loop BB12_2492 Depth 3
                                        ;       Child Loop BB12_2561 Depth 3
	s_add_co_i32 s10, s33, 0xc0
	s_mov_b64 s[12:13], 0
	s_mov_b32 s42, s10
	s_mov_b32 s43, -1
.LBB12_2492:                            ;   Parent Loop BB12_1634 Depth=1
                                        ;     Parent Loop BB12_2491 Depth=2
                                        ; =>    This Inner Loop Header: Depth=3
	s_cmp_eq_u32 s12, 1
	s_cselect_b32 vcc_lo, -1, 0
	s_cmp_eq_u32 s12, 0
	v_dual_cndmask_b32 v9, v15, v17 :: v_dual_cndmask_b32 v8, v14, v16
	s_cselect_b32 s10, -1, 0
	s_and_b32 s11, exec_lo, s43
	s_mov_b64 s[12:13], 1
	s_mov_b32 s43, 0
	global_load_b128 v[4:7], v[8:9], off th:TH_LOAD_NT
	s_wait_xcnt 0x0
	v_add_nc_u64_e32 v[8:9], 0x200, v[8:9]
	s_delay_alu instid0(VALU_DEP_1)
	v_dual_cndmask_b32 v15, v15, v9, s10 :: v_dual_cndmask_b32 v14, v14, v8, s10
	v_dual_cndmask_b32 v17, v17, v9 :: v_dual_cndmask_b32 v16, v16, v8
	s_mov_b32 vcc_lo, s11
	s_wait_loadcnt 0x0
	scratch_store_b128 off, v[4:7], s42
	s_wait_xcnt 0x0
	s_mov_b32 s42, s22
	s_cbranch_vccnz .LBB12_2492
; %bb.2493:                             ;   in Loop: Header=BB12_2491 Depth=2
	s_and_saveexec_b32 s10, s41
	s_cbranch_execz .LBB12_2559
; %bb.2494:                             ;   in Loop: Header=BB12_2491 Depth=2
	scratch_load_b128 v[10:13], off, s33 offset:224
	s_wait_loadcnt 0x0
	v_lshlrev_b32_e32 v4, 16, v10
	s_delay_alu instid0(VALU_DEP_1) | instskip(NEXT) | instid1(VALU_DEP_1)
	v_mul_f32_e32 v4, v1, v4
	v_and_b32_e32 v5, 0x7f800000, v4
	s_delay_alu instid0(VALU_DEP_1) | instskip(SKIP_2) | instid1(SALU_CYCLE_1)
	v_cmp_ne_u32_e32 vcc_lo, 0x7f800000, v5
                                        ; implicit-def: $vgpr5
	s_wait_xcnt 0x0
	s_and_saveexec_b32 s11, vcc_lo
	s_xor_b32 s11, exec_lo, s11
; %bb.2495:                             ;   in Loop: Header=BB12_2491 Depth=2
	v_bfe_u32 v5, v4, 16, 1
	s_delay_alu instid0(VALU_DEP_1)
	v_add3_u32 v5, v4, v5, 0x7fff
                                        ; implicit-def: $vgpr4
; %bb.2496:                             ;   in Loop: Header=BB12_2491 Depth=2
	s_and_not1_saveexec_b32 s11, s11
; %bb.2497:                             ;   in Loop: Header=BB12_2491 Depth=2
	v_and_b32_e32 v5, 0xffff, v4
	v_or_b32_e32 v6, 0x10000, v4
	s_delay_alu instid0(VALU_DEP_2) | instskip(NEXT) | instid1(VALU_DEP_2)
	v_cmp_eq_u32_e32 vcc_lo, 0, v5
	v_cndmask_b32_e32 v5, v6, v4, vcc_lo
; %bb.2498:                             ;   in Loop: Header=BB12_2491 Depth=2
	s_or_b32 exec_lo, exec_lo, s11
	v_and_b32_e32 v4, 0xffff0000, v10
	s_mov_b32 s11, exec_lo
                                        ; implicit-def: $vgpr18
	s_delay_alu instid0(VALU_DEP_1) | instskip(NEXT) | instid1(VALU_DEP_1)
	v_mul_f32_e32 v4, v1, v4
	v_and_b32_e32 v6, 0x7f800000, v4
	s_delay_alu instid0(VALU_DEP_1)
	v_cmpx_ne_u32_e32 0x7f800000, v6
	s_xor_b32 s11, exec_lo, s11
; %bb.2499:                             ;   in Loop: Header=BB12_2491 Depth=2
	v_bfe_u32 v6, v4, 16, 1
	s_delay_alu instid0(VALU_DEP_1)
	v_add3_u32 v18, v4, v6, 0x7fff
                                        ; implicit-def: $vgpr4
; %bb.2500:                             ;   in Loop: Header=BB12_2491 Depth=2
	s_and_not1_saveexec_b32 s11, s11
; %bb.2501:                             ;   in Loop: Header=BB12_2491 Depth=2
	v_and_b32_e32 v6, 0xffff, v4
	v_or_b32_e32 v7, 0x10000, v4
	s_delay_alu instid0(VALU_DEP_2) | instskip(NEXT) | instid1(VALU_DEP_2)
	v_cmp_eq_u32_e32 vcc_lo, 0, v6
	v_cndmask_b32_e32 v18, v7, v4, vcc_lo
; %bb.2502:                             ;   in Loop: Header=BB12_2491 Depth=2
	s_or_b32 exec_lo, exec_lo, s11
	v_lshlrev_b32_e32 v4, 16, v11
	s_mov_b32 s11, exec_lo
                                        ; implicit-def: $vgpr29
	s_delay_alu instid0(VALU_DEP_1) | instskip(NEXT) | instid1(VALU_DEP_1)
	v_mul_f32_e32 v4, v1, v4
	v_and_b32_e32 v6, 0x7f800000, v4
	s_delay_alu instid0(VALU_DEP_1)
	v_cmpx_ne_u32_e32 0x7f800000, v6
	s_xor_b32 s11, exec_lo, s11
; %bb.2503:                             ;   in Loop: Header=BB12_2491 Depth=2
	v_bfe_u32 v6, v4, 16, 1
	s_delay_alu instid0(VALU_DEP_1)
	v_add3_u32 v29, v4, v6, 0x7fff
                                        ; implicit-def: $vgpr4
; %bb.2504:                             ;   in Loop: Header=BB12_2491 Depth=2
	s_and_not1_saveexec_b32 s11, s11
; %bb.2505:                             ;   in Loop: Header=BB12_2491 Depth=2
	v_and_b32_e32 v6, 0xffff, v4
	v_or_b32_e32 v7, 0x10000, v4
	s_delay_alu instid0(VALU_DEP_2) | instskip(NEXT) | instid1(VALU_DEP_2)
	v_cmp_eq_u32_e32 vcc_lo, 0, v6
	v_cndmask_b32_e32 v29, v7, v4, vcc_lo
; %bb.2506:                             ;   in Loop: Header=BB12_2491 Depth=2
	s_or_b32 exec_lo, exec_lo, s11
	v_and_b32_e32 v4, 0xffff0000, v11
	s_mov_b32 s11, exec_lo
                                        ; implicit-def: $vgpr27
	s_delay_alu instid0(VALU_DEP_1) | instskip(NEXT) | instid1(VALU_DEP_1)
	v_mul_f32_e32 v4, v1, v4
	v_and_b32_e32 v6, 0x7f800000, v4
	s_delay_alu instid0(VALU_DEP_1)
	v_cmpx_ne_u32_e32 0x7f800000, v6
	s_xor_b32 s11, exec_lo, s11
; %bb.2507:                             ;   in Loop: Header=BB12_2491 Depth=2
	v_bfe_u32 v6, v4, 16, 1
	s_delay_alu instid0(VALU_DEP_1)
	v_add3_u32 v27, v4, v6, 0x7fff
                                        ; implicit-def: $vgpr4
; %bb.2508:                             ;   in Loop: Header=BB12_2491 Depth=2
	s_and_not1_saveexec_b32 s11, s11
; %bb.2509:                             ;   in Loop: Header=BB12_2491 Depth=2
	v_and_b32_e32 v6, 0xffff, v4
	v_or_b32_e32 v7, 0x10000, v4
	s_delay_alu instid0(VALU_DEP_2) | instskip(NEXT) | instid1(VALU_DEP_2)
	v_cmp_eq_u32_e32 vcc_lo, 0, v6
	v_cndmask_b32_e32 v27, v7, v4, vcc_lo
; %bb.2510:                             ;   in Loop: Header=BB12_2491 Depth=2
	s_or_b32 exec_lo, exec_lo, s11
	v_lshlrev_b32_e32 v4, 16, v12
	s_mov_b32 s11, exec_lo
                                        ; implicit-def: $vgpr28
	s_delay_alu instid0(VALU_DEP_1) | instskip(NEXT) | instid1(VALU_DEP_1)
	v_mul_f32_e32 v4, v1, v4
	v_and_b32_e32 v6, 0x7f800000, v4
	s_delay_alu instid0(VALU_DEP_1)
	v_cmpx_ne_u32_e32 0x7f800000, v6
	s_xor_b32 s11, exec_lo, s11
; %bb.2511:                             ;   in Loop: Header=BB12_2491 Depth=2
	v_bfe_u32 v6, v4, 16, 1
	s_delay_alu instid0(VALU_DEP_1)
	v_add3_u32 v28, v4, v6, 0x7fff
                                        ; implicit-def: $vgpr4
; %bb.2512:                             ;   in Loop: Header=BB12_2491 Depth=2
	s_and_not1_saveexec_b32 s11, s11
; %bb.2513:                             ;   in Loop: Header=BB12_2491 Depth=2
	v_and_b32_e32 v6, 0xffff, v4
	v_or_b32_e32 v7, 0x10000, v4
	s_delay_alu instid0(VALU_DEP_2) | instskip(NEXT) | instid1(VALU_DEP_2)
	v_cmp_eq_u32_e32 vcc_lo, 0, v6
	v_cndmask_b32_e32 v28, v7, v4, vcc_lo
; %bb.2514:                             ;   in Loop: Header=BB12_2491 Depth=2
	s_or_b32 exec_lo, exec_lo, s11
	v_and_b32_e32 v4, 0xffff0000, v12
	s_mov_b32 s11, exec_lo
                                        ; implicit-def: $vgpr25
	s_delay_alu instid0(VALU_DEP_1) | instskip(NEXT) | instid1(VALU_DEP_1)
	v_mul_f32_e32 v4, v1, v4
	v_and_b32_e32 v6, 0x7f800000, v4
	s_delay_alu instid0(VALU_DEP_1)
	v_cmpx_ne_u32_e32 0x7f800000, v6
	s_xor_b32 s11, exec_lo, s11
; %bb.2515:                             ;   in Loop: Header=BB12_2491 Depth=2
	v_bfe_u32 v6, v4, 16, 1
	s_delay_alu instid0(VALU_DEP_1)
	v_add3_u32 v25, v4, v6, 0x7fff
                                        ; implicit-def: $vgpr4
; %bb.2516:                             ;   in Loop: Header=BB12_2491 Depth=2
	s_and_not1_saveexec_b32 s11, s11
; %bb.2517:                             ;   in Loop: Header=BB12_2491 Depth=2
	v_and_b32_e32 v6, 0xffff, v4
	v_or_b32_e32 v7, 0x10000, v4
	s_delay_alu instid0(VALU_DEP_2) | instskip(NEXT) | instid1(VALU_DEP_2)
	v_cmp_eq_u32_e32 vcc_lo, 0, v6
	v_cndmask_b32_e32 v25, v7, v4, vcc_lo
; %bb.2518:                             ;   in Loop: Header=BB12_2491 Depth=2
	s_or_b32 exec_lo, exec_lo, s11
	v_lshlrev_b32_e32 v4, 16, v13
	s_mov_b32 s11, exec_lo
                                        ; implicit-def: $vgpr26
	s_delay_alu instid0(VALU_DEP_1) | instskip(NEXT) | instid1(VALU_DEP_1)
	v_mul_f32_e32 v4, v1, v4
	v_and_b32_e32 v6, 0x7f800000, v4
	s_delay_alu instid0(VALU_DEP_1)
	v_cmpx_ne_u32_e32 0x7f800000, v6
	s_xor_b32 s11, exec_lo, s11
; %bb.2519:                             ;   in Loop: Header=BB12_2491 Depth=2
	v_bfe_u32 v6, v4, 16, 1
	s_delay_alu instid0(VALU_DEP_1)
	v_add3_u32 v26, v4, v6, 0x7fff
                                        ; implicit-def: $vgpr4
; %bb.2520:                             ;   in Loop: Header=BB12_2491 Depth=2
	s_and_not1_saveexec_b32 s11, s11
; %bb.2521:                             ;   in Loop: Header=BB12_2491 Depth=2
	v_and_b32_e32 v6, 0xffff, v4
	v_or_b32_e32 v7, 0x10000, v4
	s_delay_alu instid0(VALU_DEP_2) | instskip(NEXT) | instid1(VALU_DEP_2)
	v_cmp_eq_u32_e32 vcc_lo, 0, v6
	v_cndmask_b32_e32 v26, v7, v4, vcc_lo
; %bb.2522:                             ;   in Loop: Header=BB12_2491 Depth=2
	s_or_b32 exec_lo, exec_lo, s11
	v_and_b32_e32 v4, 0xffff0000, v13
	s_delay_alu instid0(VALU_DEP_1) | instskip(NEXT) | instid1(VALU_DEP_1)
	v_mul_f32_e32 v6, v1, v4
	v_and_b32_e32 v4, 0x7f800000, v6
	s_delay_alu instid0(VALU_DEP_1) | instskip(SKIP_1) | instid1(SALU_CYCLE_1)
	v_cmp_ne_u32_e32 vcc_lo, 0x7f800000, v4
                                        ; implicit-def: $vgpr4
	s_and_saveexec_b32 s11, vcc_lo
	s_xor_b32 s11, exec_lo, s11
; %bb.2523:                             ;   in Loop: Header=BB12_2491 Depth=2
	v_bfe_u32 v4, v6, 16, 1
	s_delay_alu instid0(VALU_DEP_1)
	v_add3_u32 v4, v6, v4, 0x7fff
                                        ; implicit-def: $vgpr6
; %bb.2524:                             ;   in Loop: Header=BB12_2491 Depth=2
	s_and_not1_saveexec_b32 s11, s11
; %bb.2525:                             ;   in Loop: Header=BB12_2491 Depth=2
	v_and_b32_e32 v4, 0xffff, v6
	v_or_b32_e32 v7, 0x10000, v6
	s_delay_alu instid0(VALU_DEP_2) | instskip(NEXT) | instid1(VALU_DEP_2)
	v_cmp_eq_u32_e32 vcc_lo, 0, v4
	v_cndmask_b32_e32 v4, v7, v6, vcc_lo
; %bb.2526:                             ;   in Loop: Header=BB12_2491 Depth=2
	s_or_b32 exec_lo, exec_lo, s11
	scratch_load_b128 v[10:13], off, s33 offset:240
	v_and_b32_e32 v5, 0xffff0000, v5
	s_wait_loadcnt 0x0
	v_lshlrev_b32_e32 v6, 16, v10
	s_delay_alu instid0(VALU_DEP_1) | instskip(NEXT) | instid1(VALU_DEP_1)
	v_add_f32_e32 v6, v5, v6
	v_and_b32_e32 v5, 0x7f800000, v6
	s_delay_alu instid0(VALU_DEP_1) | instskip(SKIP_2) | instid1(SALU_CYCLE_1)
	v_cmp_ne_u32_e32 vcc_lo, 0x7f800000, v5
                                        ; implicit-def: $vgpr5
	s_wait_xcnt 0x0
	s_and_saveexec_b32 s11, vcc_lo
	s_xor_b32 s11, exec_lo, s11
; %bb.2527:                             ;   in Loop: Header=BB12_2491 Depth=2
	v_bfe_u32 v5, v6, 16, 1
	s_delay_alu instid0(VALU_DEP_1)
	v_add3_u32 v5, v6, v5, 0x7fff
                                        ; implicit-def: $vgpr6
; %bb.2528:                             ;   in Loop: Header=BB12_2491 Depth=2
	s_and_not1_saveexec_b32 s11, s11
; %bb.2529:                             ;   in Loop: Header=BB12_2491 Depth=2
	v_and_b32_e32 v5, 0xffff, v6
	v_or_b32_e32 v7, 0x10000, v6
	s_delay_alu instid0(VALU_DEP_2) | instskip(NEXT) | instid1(VALU_DEP_2)
	v_cmp_eq_u32_e32 vcc_lo, 0, v5
	v_cndmask_b32_e32 v5, v7, v6, vcc_lo
; %bb.2530:                             ;   in Loop: Header=BB12_2491 Depth=2
	s_or_b32 exec_lo, exec_lo, s11
	v_and_b32_e32 v7, 0xffff0000, v10
	v_and_b32_e32 v6, 0xffff0000, v18
	s_mov_b32 s11, exec_lo
                                        ; implicit-def: $vgpr10
	s_delay_alu instid0(VALU_DEP_2) | instskip(NEXT) | instid1(VALU_DEP_1)
	v_mov_b32_e32 v8, v7
	v_pk_add_f32 v[18:19], v[8:9], v[6:7]
	s_delay_alu instid0(VALU_DEP_1) | instskip(NEXT) | instid1(VALU_DEP_1)
	v_and_b32_e32 v6, 0x7f800000, v18
	v_cmpx_ne_u32_e32 0x7f800000, v6
	s_xor_b32 s11, exec_lo, s11
; %bb.2531:                             ;   in Loop: Header=BB12_2491 Depth=2
	v_bfe_u32 v6, v18, 16, 1
	s_delay_alu instid0(VALU_DEP_1)
	v_add3_u32 v10, v18, v6, 0x7fff
                                        ; implicit-def: $vgpr18_vgpr19
; %bb.2532:                             ;   in Loop: Header=BB12_2491 Depth=2
	s_and_not1_saveexec_b32 s11, s11
; %bb.2533:                             ;   in Loop: Header=BB12_2491 Depth=2
	v_and_b32_e32 v6, 0xffff, v18
	v_or_b32_e32 v7, 0x10000, v18
	s_delay_alu instid0(VALU_DEP_2) | instskip(NEXT) | instid1(VALU_DEP_2)
	v_cmp_eq_u32_e32 vcc_lo, 0, v6
	v_cndmask_b32_e32 v10, v7, v18, vcc_lo
; %bb.2534:                             ;   in Loop: Header=BB12_2491 Depth=2
	s_or_b32 exec_lo, exec_lo, s11
	v_and_b32_e32 v6, 0xffff0000, v29
	v_lshlrev_b32_e32 v7, 16, v11
	s_mov_b32 s11, exec_lo
                                        ; implicit-def: $vgpr18
	s_delay_alu instid0(VALU_DEP_1) | instskip(NEXT) | instid1(VALU_DEP_1)
	v_add_f32_e32 v6, v6, v7
	v_and_b32_e32 v7, 0x7f800000, v6
	s_delay_alu instid0(VALU_DEP_1)
	v_cmpx_ne_u32_e32 0x7f800000, v7
	s_xor_b32 s11, exec_lo, s11
; %bb.2535:                             ;   in Loop: Header=BB12_2491 Depth=2
	v_bfe_u32 v7, v6, 16, 1
	s_delay_alu instid0(VALU_DEP_1)
	v_add3_u32 v18, v6, v7, 0x7fff
                                        ; implicit-def: $vgpr6
; %bb.2536:                             ;   in Loop: Header=BB12_2491 Depth=2
	s_and_not1_saveexec_b32 s11, s11
; %bb.2537:                             ;   in Loop: Header=BB12_2491 Depth=2
	v_and_b32_e32 v7, 0xffff, v6
	v_or_b32_e32 v8, 0x10000, v6
	s_delay_alu instid0(VALU_DEP_2) | instskip(NEXT) | instid1(VALU_DEP_2)
	v_cmp_eq_u32_e32 vcc_lo, 0, v7
	v_cndmask_b32_e32 v18, v8, v6, vcc_lo
; %bb.2538:                             ;   in Loop: Header=BB12_2491 Depth=2
	s_or_b32 exec_lo, exec_lo, s11
	v_and_b32_e32 v6, 0xffff0000, v11
	v_and_b32_e32 v7, 0xffff0000, v27
	s_mov_b32 s11, exec_lo
                                        ; implicit-def: $vgpr11
	s_delay_alu instid0(VALU_DEP_1) | instskip(NEXT) | instid1(VALU_DEP_1)
	v_add_f32_e32 v6, v7, v6
	v_and_b32_e32 v7, 0x7f800000, v6
	s_delay_alu instid0(VALU_DEP_1)
	v_cmpx_ne_u32_e32 0x7f800000, v7
	s_xor_b32 s11, exec_lo, s11
; %bb.2539:                             ;   in Loop: Header=BB12_2491 Depth=2
	v_bfe_u32 v7, v6, 16, 1
	s_delay_alu instid0(VALU_DEP_1)
	v_add3_u32 v11, v6, v7, 0x7fff
                                        ; implicit-def: $vgpr6
; %bb.2540:                             ;   in Loop: Header=BB12_2491 Depth=2
	s_and_not1_saveexec_b32 s11, s11
; %bb.2541:                             ;   in Loop: Header=BB12_2491 Depth=2
	v_and_b32_e32 v7, 0xffff, v6
	v_or_b32_e32 v8, 0x10000, v6
	s_delay_alu instid0(VALU_DEP_2) | instskip(NEXT) | instid1(VALU_DEP_2)
	v_cmp_eq_u32_e32 vcc_lo, 0, v7
	v_cndmask_b32_e32 v11, v8, v6, vcc_lo
; %bb.2542:                             ;   in Loop: Header=BB12_2491 Depth=2
	s_or_b32 exec_lo, exec_lo, s11
	v_and_b32_e32 v6, 0xffff0000, v28
	v_lshlrev_b32_e32 v7, 16, v12
	s_delay_alu instid0(VALU_DEP_1) | instskip(NEXT) | instid1(VALU_DEP_1)
	v_add_f32_e32 v7, v6, v7
	v_and_b32_e32 v6, 0x7f800000, v7
	s_delay_alu instid0(VALU_DEP_1) | instskip(SKIP_1) | instid1(SALU_CYCLE_1)
	v_cmp_ne_u32_e32 vcc_lo, 0x7f800000, v6
                                        ; implicit-def: $vgpr6
	s_and_saveexec_b32 s11, vcc_lo
	s_xor_b32 s11, exec_lo, s11
; %bb.2543:                             ;   in Loop: Header=BB12_2491 Depth=2
	v_bfe_u32 v6, v7, 16, 1
	s_delay_alu instid0(VALU_DEP_1)
	v_add3_u32 v6, v7, v6, 0x7fff
                                        ; implicit-def: $vgpr7
; %bb.2544:                             ;   in Loop: Header=BB12_2491 Depth=2
	s_and_not1_saveexec_b32 s11, s11
; %bb.2545:                             ;   in Loop: Header=BB12_2491 Depth=2
	v_and_b32_e32 v6, 0xffff, v7
	v_or_b32_e32 v8, 0x10000, v7
	s_delay_alu instid0(VALU_DEP_2) | instskip(NEXT) | instid1(VALU_DEP_2)
	v_cmp_eq_u32_e32 vcc_lo, 0, v6
	v_cndmask_b32_e32 v6, v8, v7, vcc_lo
; %bb.2546:                             ;   in Loop: Header=BB12_2491 Depth=2
	s_or_b32 exec_lo, exec_lo, s11
	v_and_b32_e32 v7, 0xffff0000, v12
	v_and_b32_e32 v8, 0xffff0000, v25
	s_delay_alu instid0(VALU_DEP_1) | instskip(NEXT) | instid1(VALU_DEP_1)
	v_add_f32_e32 v8, v8, v7
	v_and_b32_e32 v7, 0x7f800000, v8
	s_delay_alu instid0(VALU_DEP_1) | instskip(SKIP_1) | instid1(SALU_CYCLE_1)
	v_cmp_ne_u32_e32 vcc_lo, 0x7f800000, v7
                                        ; implicit-def: $vgpr7
	s_and_saveexec_b32 s11, vcc_lo
	s_xor_b32 s11, exec_lo, s11
; %bb.2547:                             ;   in Loop: Header=BB12_2491 Depth=2
	v_bfe_u32 v7, v8, 16, 1
	s_delay_alu instid0(VALU_DEP_1)
	v_add3_u32 v7, v8, v7, 0x7fff
                                        ; implicit-def: $vgpr8
; %bb.2548:                             ;   in Loop: Header=BB12_2491 Depth=2
	s_and_not1_saveexec_b32 s11, s11
; %bb.2549:                             ;   in Loop: Header=BB12_2491 Depth=2
	v_and_b32_e32 v7, 0xffff, v8
	v_or_b32_e32 v9, 0x10000, v8
	s_delay_alu instid0(VALU_DEP_2) | instskip(NEXT) | instid1(VALU_DEP_2)
	v_cmp_eq_u32_e32 vcc_lo, 0, v7
	v_cndmask_b32_e32 v7, v9, v8, vcc_lo
; %bb.2550:                             ;   in Loop: Header=BB12_2491 Depth=2
	s_or_b32 exec_lo, exec_lo, s11
	v_and_b32_e32 v8, 0xffff0000, v26
	v_lshlrev_b32_e32 v9, 16, v13
	s_delay_alu instid0(VALU_DEP_1) | instskip(NEXT) | instid1(VALU_DEP_1)
	v_add_f32_e32 v9, v8, v9
	v_and_b32_e32 v8, 0x7f800000, v9
	s_delay_alu instid0(VALU_DEP_1) | instskip(SKIP_1) | instid1(SALU_CYCLE_1)
	v_cmp_ne_u32_e32 vcc_lo, 0x7f800000, v8
                                        ; implicit-def: $vgpr8
	s_and_saveexec_b32 s11, vcc_lo
	s_xor_b32 s11, exec_lo, s11
; %bb.2551:                             ;   in Loop: Header=BB12_2491 Depth=2
	v_bfe_u32 v8, v9, 16, 1
	s_delay_alu instid0(VALU_DEP_1)
	v_add3_u32 v8, v9, v8, 0x7fff
                                        ; implicit-def: $vgpr9
; %bb.2552:                             ;   in Loop: Header=BB12_2491 Depth=2
	s_and_not1_saveexec_b32 s11, s11
; %bb.2553:                             ;   in Loop: Header=BB12_2491 Depth=2
	v_and_b32_e32 v8, 0xffff, v9
	v_or_b32_e32 v12, 0x10000, v9
	s_delay_alu instid0(VALU_DEP_2) | instskip(NEXT) | instid1(VALU_DEP_2)
	v_cmp_eq_u32_e32 vcc_lo, 0, v8
	v_cndmask_b32_e32 v8, v12, v9, vcc_lo
; %bb.2554:                             ;   in Loop: Header=BB12_2491 Depth=2
	s_or_b32 exec_lo, exec_lo, s11
	v_and_b32_e32 v9, 0xffff0000, v13
	v_and_b32_e32 v4, 0xffff0000, v4
	s_delay_alu instid0(VALU_DEP_1) | instskip(NEXT) | instid1(VALU_DEP_1)
	v_add_f32_e32 v9, v4, v9
	v_and_b32_e32 v4, 0x7f800000, v9
	s_delay_alu instid0(VALU_DEP_1) | instskip(SKIP_1) | instid1(SALU_CYCLE_1)
	v_cmp_ne_u32_e32 vcc_lo, 0x7f800000, v4
                                        ; implicit-def: $vgpr4
	s_and_saveexec_b32 s11, vcc_lo
	s_xor_b32 s11, exec_lo, s11
; %bb.2555:                             ;   in Loop: Header=BB12_2491 Depth=2
	v_bfe_u32 v4, v9, 16, 1
	s_delay_alu instid0(VALU_DEP_1)
	v_add3_u32 v4, v9, v4, 0x7fff
                                        ; implicit-def: $vgpr9
; %bb.2556:                             ;   in Loop: Header=BB12_2491 Depth=2
	s_and_not1_saveexec_b32 s11, s11
; %bb.2557:                             ;   in Loop: Header=BB12_2491 Depth=2
	v_and_b32_e32 v4, 0xffff, v9
	v_or_b32_e32 v12, 0x10000, v9
	s_delay_alu instid0(VALU_DEP_2) | instskip(NEXT) | instid1(VALU_DEP_2)
	v_cmp_eq_u32_e32 vcc_lo, 0, v4
	v_cndmask_b32_e32 v4, v12, v9, vcc_lo
; %bb.2558:                             ;   in Loop: Header=BB12_2491 Depth=2
	s_or_b32 exec_lo, exec_lo, s11
	v_dual_lshrrev_b32 v9, 16, v18 :: v_dual_lshrrev_b32 v5, 16, v5
	v_dual_lshrrev_b32 v6, 16, v6 :: v_dual_lshrrev_b32 v12, 16, v8
	s_delay_alu instid0(VALU_DEP_2) | instskip(NEXT) | instid1(VALU_DEP_3)
	v_and_or_b32 v9, 0xffff0000, v11, v9
	v_and_or_b32 v8, 0xffff0000, v10, v5
	s_delay_alu instid0(VALU_DEP_3)
	v_and_or_b32 v10, 0xffff0000, v7, v6
	v_add_nc_u64_e32 v[6:7], 0x200, v[94:95]
	v_and_or_b32 v11, 0xffff0000, v4, v12
	global_store_b128 v[2:3], v[8:11], off th:TH_STORE_NT
	s_wait_xcnt 0x0
	v_add_nc_u64_e32 v[2:3], v[6:7], v[2:3]
	scratch_store_b128 off, v[8:11], s33 offset:224
.LBB12_2559:                            ;   in Loop: Header=BB12_2491 Depth=2
	s_wait_xcnt 0x0
	s_or_b32 exec_lo, exec_lo, s10
	v_sub_nc_u32_e32 v0, v0, v57
	v_add_nc_u64_e32 v[14:15], v[14:15], v[94:95]
	v_add_nc_u64_e32 v[16:17], v[16:17], v[94:95]
	s_delay_alu instid0(VALU_DEP_3)
	v_cmp_lt_i32_e64 s41, 15, v0
	s_and_saveexec_b32 s42, s41
	s_cbranch_execz .LBB12_2562
; %bb.2560:                             ;   in Loop: Header=BB12_2491 Depth=2
	s_add_co_i32 s10, s33, 0xe0
	s_mov_b64 s[12:13], 0
	s_mov_b32 s43, s10
	s_mov_b32 s44, -1
.LBB12_2561:                            ;   Parent Loop BB12_1634 Depth=1
                                        ;     Parent Loop BB12_2491 Depth=2
                                        ; =>    This Inner Loop Header: Depth=3
	s_cmp_eq_u32 s12, 1
	s_cselect_b32 vcc_lo, -1, 0
	s_cmp_eq_u32 s12, 0
	v_dual_cndmask_b32 v9, v15, v17 :: v_dual_cndmask_b32 v8, v14, v16
	s_cselect_b32 s10, -1, 0
	s_and_b32 s11, exec_lo, s44
	s_mov_b64 s[12:13], 1
	s_mov_b32 s44, 0
	global_load_b128 v[4:7], v[8:9], off th:TH_LOAD_NT
	s_wait_xcnt 0x0
	v_add_nc_u64_e32 v[8:9], 0x200, v[8:9]
	s_delay_alu instid0(VALU_DEP_1)
	v_dual_cndmask_b32 v15, v15, v9, s10 :: v_dual_cndmask_b32 v14, v14, v8, s10
	v_dual_cndmask_b32 v17, v17, v9 :: v_dual_cndmask_b32 v16, v16, v8
	s_mov_b32 vcc_lo, s11
	s_wait_loadcnt 0x0
	scratch_store_b128 off, v[4:7], s43
	s_wait_xcnt 0x0
	s_mov_b32 s43, s21
	s_cbranch_vccnz .LBB12_2561
.LBB12_2562:                            ;   in Loop: Header=BB12_2491 Depth=2
	s_or_b32 exec_lo, exec_lo, s42
	scratch_load_b128 v[10:13], off, s33 offset:192
	s_wait_loadcnt 0x0
	v_lshlrev_b32_e32 v4, 16, v10
	s_delay_alu instid0(VALU_DEP_1) | instskip(NEXT) | instid1(VALU_DEP_1)
	v_mul_f32_e32 v5, v1, v4
	v_and_b32_e32 v4, 0x7f800000, v5
	s_delay_alu instid0(VALU_DEP_1) | instskip(SKIP_2) | instid1(SALU_CYCLE_1)
	v_cmp_ne_u32_e32 vcc_lo, 0x7f800000, v4
                                        ; implicit-def: $vgpr4
	s_wait_xcnt 0x0
	s_and_saveexec_b32 s10, vcc_lo
	s_xor_b32 s10, exec_lo, s10
; %bb.2563:                             ;   in Loop: Header=BB12_2491 Depth=2
	v_bfe_u32 v4, v5, 16, 1
	s_delay_alu instid0(VALU_DEP_1)
	v_add3_u32 v4, v5, v4, 0x7fff
                                        ; implicit-def: $vgpr5
; %bb.2564:                             ;   in Loop: Header=BB12_2491 Depth=2
	s_and_not1_saveexec_b32 s10, s10
; %bb.2565:                             ;   in Loop: Header=BB12_2491 Depth=2
	v_and_b32_e32 v4, 0xffff, v5
	v_or_b32_e32 v6, 0x10000, v5
	s_delay_alu instid0(VALU_DEP_2) | instskip(NEXT) | instid1(VALU_DEP_2)
	v_cmp_eq_u32_e32 vcc_lo, 0, v4
	v_cndmask_b32_e32 v4, v6, v5, vcc_lo
; %bb.2566:                             ;   in Loop: Header=BB12_2491 Depth=2
	s_or_b32 exec_lo, exec_lo, s10
	v_and_b32_e32 v5, 0xffff0000, v10
	s_mov_b32 s10, exec_lo
                                        ; implicit-def: $vgpr18
	s_delay_alu instid0(VALU_DEP_1) | instskip(NEXT) | instid1(VALU_DEP_1)
	v_mul_f32_e32 v5, v1, v5
	v_and_b32_e32 v6, 0x7f800000, v5
	s_delay_alu instid0(VALU_DEP_1)
	v_cmpx_ne_u32_e32 0x7f800000, v6
	s_xor_b32 s10, exec_lo, s10
; %bb.2567:                             ;   in Loop: Header=BB12_2491 Depth=2
	v_bfe_u32 v6, v5, 16, 1
	s_delay_alu instid0(VALU_DEP_1)
	v_add3_u32 v18, v5, v6, 0x7fff
                                        ; implicit-def: $vgpr5
; %bb.2568:                             ;   in Loop: Header=BB12_2491 Depth=2
	s_and_not1_saveexec_b32 s10, s10
; %bb.2569:                             ;   in Loop: Header=BB12_2491 Depth=2
	v_and_b32_e32 v6, 0xffff, v5
	v_or_b32_e32 v7, 0x10000, v5
	s_delay_alu instid0(VALU_DEP_2) | instskip(NEXT) | instid1(VALU_DEP_2)
	v_cmp_eq_u32_e32 vcc_lo, 0, v6
	v_cndmask_b32_e32 v18, v7, v5, vcc_lo
; %bb.2570:                             ;   in Loop: Header=BB12_2491 Depth=2
	s_or_b32 exec_lo, exec_lo, s10
	v_lshlrev_b32_e32 v5, 16, v11
	s_mov_b32 s10, exec_lo
                                        ; implicit-def: $vgpr29
	s_delay_alu instid0(VALU_DEP_1) | instskip(NEXT) | instid1(VALU_DEP_1)
	v_mul_f32_e32 v5, v1, v5
	v_and_b32_e32 v6, 0x7f800000, v5
	s_delay_alu instid0(VALU_DEP_1)
	v_cmpx_ne_u32_e32 0x7f800000, v6
	s_xor_b32 s10, exec_lo, s10
; %bb.2571:                             ;   in Loop: Header=BB12_2491 Depth=2
	v_bfe_u32 v6, v5, 16, 1
	s_delay_alu instid0(VALU_DEP_1)
	v_add3_u32 v29, v5, v6, 0x7fff
                                        ; implicit-def: $vgpr5
; %bb.2572:                             ;   in Loop: Header=BB12_2491 Depth=2
	s_and_not1_saveexec_b32 s10, s10
; %bb.2573:                             ;   in Loop: Header=BB12_2491 Depth=2
	v_and_b32_e32 v6, 0xffff, v5
	v_or_b32_e32 v7, 0x10000, v5
	s_delay_alu instid0(VALU_DEP_2) | instskip(NEXT) | instid1(VALU_DEP_2)
	v_cmp_eq_u32_e32 vcc_lo, 0, v6
	v_cndmask_b32_e32 v29, v7, v5, vcc_lo
; %bb.2574:                             ;   in Loop: Header=BB12_2491 Depth=2
	s_or_b32 exec_lo, exec_lo, s10
	v_and_b32_e32 v5, 0xffff0000, v11
	s_mov_b32 s10, exec_lo
                                        ; implicit-def: $vgpr27
	s_delay_alu instid0(VALU_DEP_1) | instskip(NEXT) | instid1(VALU_DEP_1)
	v_mul_f32_e32 v5, v1, v5
	v_and_b32_e32 v6, 0x7f800000, v5
	s_delay_alu instid0(VALU_DEP_1)
	v_cmpx_ne_u32_e32 0x7f800000, v6
	s_xor_b32 s10, exec_lo, s10
; %bb.2575:                             ;   in Loop: Header=BB12_2491 Depth=2
	v_bfe_u32 v6, v5, 16, 1
	s_delay_alu instid0(VALU_DEP_1)
	v_add3_u32 v27, v5, v6, 0x7fff
                                        ; implicit-def: $vgpr5
; %bb.2576:                             ;   in Loop: Header=BB12_2491 Depth=2
	s_and_not1_saveexec_b32 s10, s10
; %bb.2577:                             ;   in Loop: Header=BB12_2491 Depth=2
	v_and_b32_e32 v6, 0xffff, v5
	v_or_b32_e32 v7, 0x10000, v5
	s_delay_alu instid0(VALU_DEP_2) | instskip(NEXT) | instid1(VALU_DEP_2)
	v_cmp_eq_u32_e32 vcc_lo, 0, v6
	v_cndmask_b32_e32 v27, v7, v5, vcc_lo
; %bb.2578:                             ;   in Loop: Header=BB12_2491 Depth=2
	s_or_b32 exec_lo, exec_lo, s10
	v_lshlrev_b32_e32 v5, 16, v12
	s_mov_b32 s10, exec_lo
                                        ; implicit-def: $vgpr28
	s_delay_alu instid0(VALU_DEP_1) | instskip(NEXT) | instid1(VALU_DEP_1)
	v_mul_f32_e32 v5, v1, v5
	v_and_b32_e32 v6, 0x7f800000, v5
	s_delay_alu instid0(VALU_DEP_1)
	v_cmpx_ne_u32_e32 0x7f800000, v6
	s_xor_b32 s10, exec_lo, s10
; %bb.2579:                             ;   in Loop: Header=BB12_2491 Depth=2
	v_bfe_u32 v6, v5, 16, 1
	s_delay_alu instid0(VALU_DEP_1)
	v_add3_u32 v28, v5, v6, 0x7fff
                                        ; implicit-def: $vgpr5
; %bb.2580:                             ;   in Loop: Header=BB12_2491 Depth=2
	s_and_not1_saveexec_b32 s10, s10
; %bb.2581:                             ;   in Loop: Header=BB12_2491 Depth=2
	v_and_b32_e32 v6, 0xffff, v5
	v_or_b32_e32 v7, 0x10000, v5
	s_delay_alu instid0(VALU_DEP_2) | instskip(NEXT) | instid1(VALU_DEP_2)
	v_cmp_eq_u32_e32 vcc_lo, 0, v6
	v_cndmask_b32_e32 v28, v7, v5, vcc_lo
; %bb.2582:                             ;   in Loop: Header=BB12_2491 Depth=2
	s_or_b32 exec_lo, exec_lo, s10
	v_and_b32_e32 v5, 0xffff0000, v12
	s_mov_b32 s10, exec_lo
                                        ; implicit-def: $vgpr25
	s_delay_alu instid0(VALU_DEP_1) | instskip(NEXT) | instid1(VALU_DEP_1)
	v_mul_f32_e32 v5, v1, v5
	v_and_b32_e32 v6, 0x7f800000, v5
	s_delay_alu instid0(VALU_DEP_1)
	v_cmpx_ne_u32_e32 0x7f800000, v6
	s_xor_b32 s10, exec_lo, s10
; %bb.2583:                             ;   in Loop: Header=BB12_2491 Depth=2
	v_bfe_u32 v6, v5, 16, 1
	s_delay_alu instid0(VALU_DEP_1)
	v_add3_u32 v25, v5, v6, 0x7fff
                                        ; implicit-def: $vgpr5
; %bb.2584:                             ;   in Loop: Header=BB12_2491 Depth=2
	s_and_not1_saveexec_b32 s10, s10
; %bb.2585:                             ;   in Loop: Header=BB12_2491 Depth=2
	v_and_b32_e32 v6, 0xffff, v5
	v_or_b32_e32 v7, 0x10000, v5
	s_delay_alu instid0(VALU_DEP_2) | instskip(NEXT) | instid1(VALU_DEP_2)
	v_cmp_eq_u32_e32 vcc_lo, 0, v6
	v_cndmask_b32_e32 v25, v7, v5, vcc_lo
; %bb.2586:                             ;   in Loop: Header=BB12_2491 Depth=2
	s_or_b32 exec_lo, exec_lo, s10
	v_lshlrev_b32_e32 v5, 16, v13
	s_mov_b32 s10, exec_lo
                                        ; implicit-def: $vgpr26
	s_delay_alu instid0(VALU_DEP_1) | instskip(NEXT) | instid1(VALU_DEP_1)
	v_mul_f32_e32 v5, v1, v5
	v_and_b32_e32 v6, 0x7f800000, v5
	s_delay_alu instid0(VALU_DEP_1)
	v_cmpx_ne_u32_e32 0x7f800000, v6
	s_xor_b32 s10, exec_lo, s10
; %bb.2587:                             ;   in Loop: Header=BB12_2491 Depth=2
	v_bfe_u32 v6, v5, 16, 1
	s_delay_alu instid0(VALU_DEP_1)
	v_add3_u32 v26, v5, v6, 0x7fff
                                        ; implicit-def: $vgpr5
; %bb.2588:                             ;   in Loop: Header=BB12_2491 Depth=2
	s_and_not1_saveexec_b32 s10, s10
; %bb.2589:                             ;   in Loop: Header=BB12_2491 Depth=2
	v_and_b32_e32 v6, 0xffff, v5
	v_or_b32_e32 v7, 0x10000, v5
	s_delay_alu instid0(VALU_DEP_2) | instskip(NEXT) | instid1(VALU_DEP_2)
	v_cmp_eq_u32_e32 vcc_lo, 0, v6
	v_cndmask_b32_e32 v26, v7, v5, vcc_lo
; %bb.2590:                             ;   in Loop: Header=BB12_2491 Depth=2
	s_or_b32 exec_lo, exec_lo, s10
	v_and_b32_e32 v5, 0xffff0000, v13
	s_delay_alu instid0(VALU_DEP_1) | instskip(NEXT) | instid1(VALU_DEP_1)
	v_mul_f32_e32 v6, v1, v5
	v_and_b32_e32 v5, 0x7f800000, v6
	s_delay_alu instid0(VALU_DEP_1) | instskip(SKIP_1) | instid1(SALU_CYCLE_1)
	v_cmp_ne_u32_e32 vcc_lo, 0x7f800000, v5
                                        ; implicit-def: $vgpr5
	s_and_saveexec_b32 s10, vcc_lo
	s_xor_b32 s10, exec_lo, s10
; %bb.2591:                             ;   in Loop: Header=BB12_2491 Depth=2
	v_bfe_u32 v5, v6, 16, 1
	s_delay_alu instid0(VALU_DEP_1)
	v_add3_u32 v5, v6, v5, 0x7fff
                                        ; implicit-def: $vgpr6
; %bb.2592:                             ;   in Loop: Header=BB12_2491 Depth=2
	s_and_not1_saveexec_b32 s10, s10
; %bb.2593:                             ;   in Loop: Header=BB12_2491 Depth=2
	v_and_b32_e32 v5, 0xffff, v6
	v_or_b32_e32 v7, 0x10000, v6
	s_delay_alu instid0(VALU_DEP_2) | instskip(NEXT) | instid1(VALU_DEP_2)
	v_cmp_eq_u32_e32 vcc_lo, 0, v5
	v_cndmask_b32_e32 v5, v7, v6, vcc_lo
; %bb.2594:                             ;   in Loop: Header=BB12_2491 Depth=2
	s_or_b32 exec_lo, exec_lo, s10
	scratch_load_b128 v[10:13], off, s33 offset:208
	v_and_b32_e32 v4, 0xffff0000, v4
	s_wait_loadcnt 0x0
	v_lshlrev_b32_e32 v6, 16, v10
	s_delay_alu instid0(VALU_DEP_1) | instskip(NEXT) | instid1(VALU_DEP_1)
	v_add_f32_e32 v6, v4, v6
	v_and_b32_e32 v4, 0x7f800000, v6
	s_delay_alu instid0(VALU_DEP_1) | instskip(SKIP_2) | instid1(SALU_CYCLE_1)
	v_cmp_ne_u32_e32 vcc_lo, 0x7f800000, v4
                                        ; implicit-def: $vgpr4
	s_wait_xcnt 0x0
	s_and_saveexec_b32 s10, vcc_lo
	s_xor_b32 s10, exec_lo, s10
; %bb.2595:                             ;   in Loop: Header=BB12_2491 Depth=2
	v_bfe_u32 v4, v6, 16, 1
	s_delay_alu instid0(VALU_DEP_1)
	v_add3_u32 v4, v6, v4, 0x7fff
                                        ; implicit-def: $vgpr6
; %bb.2596:                             ;   in Loop: Header=BB12_2491 Depth=2
	s_and_not1_saveexec_b32 s10, s10
; %bb.2597:                             ;   in Loop: Header=BB12_2491 Depth=2
	v_and_b32_e32 v4, 0xffff, v6
	v_or_b32_e32 v7, 0x10000, v6
	s_delay_alu instid0(VALU_DEP_2) | instskip(NEXT) | instid1(VALU_DEP_2)
	v_cmp_eq_u32_e32 vcc_lo, 0, v4
	v_cndmask_b32_e32 v4, v7, v6, vcc_lo
; %bb.2598:                             ;   in Loop: Header=BB12_2491 Depth=2
	s_or_b32 exec_lo, exec_lo, s10
	v_and_b32_e32 v7, 0xffff0000, v10
	v_and_b32_e32 v6, 0xffff0000, v18
	s_mov_b32 s10, exec_lo
                                        ; implicit-def: $vgpr10
	s_delay_alu instid0(VALU_DEP_2) | instskip(NEXT) | instid1(VALU_DEP_1)
	v_mov_b32_e32 v8, v7
	v_pk_add_f32 v[18:19], v[8:9], v[6:7]
	s_delay_alu instid0(VALU_DEP_1) | instskip(NEXT) | instid1(VALU_DEP_1)
	v_and_b32_e32 v6, 0x7f800000, v18
	v_cmpx_ne_u32_e32 0x7f800000, v6
	s_xor_b32 s10, exec_lo, s10
; %bb.2599:                             ;   in Loop: Header=BB12_2491 Depth=2
	v_bfe_u32 v6, v18, 16, 1
	s_delay_alu instid0(VALU_DEP_1)
	v_add3_u32 v10, v18, v6, 0x7fff
                                        ; implicit-def: $vgpr18_vgpr19
; %bb.2600:                             ;   in Loop: Header=BB12_2491 Depth=2
	s_and_not1_saveexec_b32 s10, s10
; %bb.2601:                             ;   in Loop: Header=BB12_2491 Depth=2
	v_and_b32_e32 v6, 0xffff, v18
	v_or_b32_e32 v7, 0x10000, v18
	s_delay_alu instid0(VALU_DEP_2) | instskip(NEXT) | instid1(VALU_DEP_2)
	v_cmp_eq_u32_e32 vcc_lo, 0, v6
	v_cndmask_b32_e32 v10, v7, v18, vcc_lo
; %bb.2602:                             ;   in Loop: Header=BB12_2491 Depth=2
	s_or_b32 exec_lo, exec_lo, s10
	v_and_b32_e32 v6, 0xffff0000, v29
	v_lshlrev_b32_e32 v7, 16, v11
	s_mov_b32 s10, exec_lo
                                        ; implicit-def: $vgpr18
	s_delay_alu instid0(VALU_DEP_1) | instskip(NEXT) | instid1(VALU_DEP_1)
	v_add_f32_e32 v6, v6, v7
	v_and_b32_e32 v7, 0x7f800000, v6
	s_delay_alu instid0(VALU_DEP_1)
	v_cmpx_ne_u32_e32 0x7f800000, v7
	s_xor_b32 s10, exec_lo, s10
; %bb.2603:                             ;   in Loop: Header=BB12_2491 Depth=2
	v_bfe_u32 v7, v6, 16, 1
	s_delay_alu instid0(VALU_DEP_1)
	v_add3_u32 v18, v6, v7, 0x7fff
                                        ; implicit-def: $vgpr6
; %bb.2604:                             ;   in Loop: Header=BB12_2491 Depth=2
	s_and_not1_saveexec_b32 s10, s10
; %bb.2605:                             ;   in Loop: Header=BB12_2491 Depth=2
	v_and_b32_e32 v7, 0xffff, v6
	v_or_b32_e32 v8, 0x10000, v6
	s_delay_alu instid0(VALU_DEP_2) | instskip(NEXT) | instid1(VALU_DEP_2)
	v_cmp_eq_u32_e32 vcc_lo, 0, v7
	v_cndmask_b32_e32 v18, v8, v6, vcc_lo
; %bb.2606:                             ;   in Loop: Header=BB12_2491 Depth=2
	s_or_b32 exec_lo, exec_lo, s10
	v_and_b32_e32 v6, 0xffff0000, v11
	v_and_b32_e32 v7, 0xffff0000, v27
	s_mov_b32 s10, exec_lo
                                        ; implicit-def: $vgpr11
	s_delay_alu instid0(VALU_DEP_1) | instskip(NEXT) | instid1(VALU_DEP_1)
	v_add_f32_e32 v6, v7, v6
	v_and_b32_e32 v7, 0x7f800000, v6
	s_delay_alu instid0(VALU_DEP_1)
	v_cmpx_ne_u32_e32 0x7f800000, v7
	s_xor_b32 s10, exec_lo, s10
; %bb.2607:                             ;   in Loop: Header=BB12_2491 Depth=2
	v_bfe_u32 v7, v6, 16, 1
	s_delay_alu instid0(VALU_DEP_1)
	v_add3_u32 v11, v6, v7, 0x7fff
                                        ; implicit-def: $vgpr6
; %bb.2608:                             ;   in Loop: Header=BB12_2491 Depth=2
	s_and_not1_saveexec_b32 s10, s10
; %bb.2609:                             ;   in Loop: Header=BB12_2491 Depth=2
	v_and_b32_e32 v7, 0xffff, v6
	v_or_b32_e32 v8, 0x10000, v6
	s_delay_alu instid0(VALU_DEP_2) | instskip(NEXT) | instid1(VALU_DEP_2)
	v_cmp_eq_u32_e32 vcc_lo, 0, v7
	v_cndmask_b32_e32 v11, v8, v6, vcc_lo
; %bb.2610:                             ;   in Loop: Header=BB12_2491 Depth=2
	s_or_b32 exec_lo, exec_lo, s10
	v_and_b32_e32 v6, 0xffff0000, v28
	v_lshlrev_b32_e32 v7, 16, v12
	s_delay_alu instid0(VALU_DEP_1) | instskip(NEXT) | instid1(VALU_DEP_1)
	v_add_f32_e32 v7, v6, v7
	v_and_b32_e32 v6, 0x7f800000, v7
	s_delay_alu instid0(VALU_DEP_1) | instskip(SKIP_1) | instid1(SALU_CYCLE_1)
	v_cmp_ne_u32_e32 vcc_lo, 0x7f800000, v6
                                        ; implicit-def: $vgpr6
	s_and_saveexec_b32 s10, vcc_lo
	s_xor_b32 s10, exec_lo, s10
; %bb.2611:                             ;   in Loop: Header=BB12_2491 Depth=2
	v_bfe_u32 v6, v7, 16, 1
	s_delay_alu instid0(VALU_DEP_1)
	v_add3_u32 v6, v7, v6, 0x7fff
                                        ; implicit-def: $vgpr7
; %bb.2612:                             ;   in Loop: Header=BB12_2491 Depth=2
	s_and_not1_saveexec_b32 s10, s10
; %bb.2613:                             ;   in Loop: Header=BB12_2491 Depth=2
	v_and_b32_e32 v6, 0xffff, v7
	v_or_b32_e32 v8, 0x10000, v7
	s_delay_alu instid0(VALU_DEP_2) | instskip(NEXT) | instid1(VALU_DEP_2)
	v_cmp_eq_u32_e32 vcc_lo, 0, v6
	v_cndmask_b32_e32 v6, v8, v7, vcc_lo
; %bb.2614:                             ;   in Loop: Header=BB12_2491 Depth=2
	s_or_b32 exec_lo, exec_lo, s10
	v_and_b32_e32 v7, 0xffff0000, v12
	v_and_b32_e32 v8, 0xffff0000, v25
	s_delay_alu instid0(VALU_DEP_1) | instskip(NEXT) | instid1(VALU_DEP_1)
	v_add_f32_e32 v8, v8, v7
	v_and_b32_e32 v7, 0x7f800000, v8
	s_delay_alu instid0(VALU_DEP_1) | instskip(SKIP_1) | instid1(SALU_CYCLE_1)
	v_cmp_ne_u32_e32 vcc_lo, 0x7f800000, v7
                                        ; implicit-def: $vgpr7
	s_and_saveexec_b32 s10, vcc_lo
	s_xor_b32 s10, exec_lo, s10
; %bb.2615:                             ;   in Loop: Header=BB12_2491 Depth=2
	v_bfe_u32 v7, v8, 16, 1
	s_delay_alu instid0(VALU_DEP_1)
	v_add3_u32 v7, v8, v7, 0x7fff
                                        ; implicit-def: $vgpr8
; %bb.2616:                             ;   in Loop: Header=BB12_2491 Depth=2
	s_and_not1_saveexec_b32 s10, s10
; %bb.2617:                             ;   in Loop: Header=BB12_2491 Depth=2
	v_and_b32_e32 v7, 0xffff, v8
	v_or_b32_e32 v9, 0x10000, v8
	s_delay_alu instid0(VALU_DEP_2) | instskip(NEXT) | instid1(VALU_DEP_2)
	v_cmp_eq_u32_e32 vcc_lo, 0, v7
	v_cndmask_b32_e32 v7, v9, v8, vcc_lo
; %bb.2618:                             ;   in Loop: Header=BB12_2491 Depth=2
	s_or_b32 exec_lo, exec_lo, s10
	v_and_b32_e32 v8, 0xffff0000, v26
	v_lshlrev_b32_e32 v9, 16, v13
	s_delay_alu instid0(VALU_DEP_1) | instskip(NEXT) | instid1(VALU_DEP_1)
	v_add_f32_e32 v9, v8, v9
	v_and_b32_e32 v8, 0x7f800000, v9
	s_delay_alu instid0(VALU_DEP_1) | instskip(SKIP_1) | instid1(SALU_CYCLE_1)
	v_cmp_ne_u32_e32 vcc_lo, 0x7f800000, v8
                                        ; implicit-def: $vgpr8
	s_and_saveexec_b32 s10, vcc_lo
	s_xor_b32 s10, exec_lo, s10
; %bb.2619:                             ;   in Loop: Header=BB12_2491 Depth=2
	v_bfe_u32 v8, v9, 16, 1
	s_delay_alu instid0(VALU_DEP_1)
	v_add3_u32 v8, v9, v8, 0x7fff
                                        ; implicit-def: $vgpr9
; %bb.2620:                             ;   in Loop: Header=BB12_2491 Depth=2
	s_and_not1_saveexec_b32 s10, s10
; %bb.2621:                             ;   in Loop: Header=BB12_2491 Depth=2
	v_and_b32_e32 v8, 0xffff, v9
	v_or_b32_e32 v12, 0x10000, v9
	s_delay_alu instid0(VALU_DEP_2) | instskip(NEXT) | instid1(VALU_DEP_2)
	v_cmp_eq_u32_e32 vcc_lo, 0, v8
	v_cndmask_b32_e32 v8, v12, v9, vcc_lo
; %bb.2622:                             ;   in Loop: Header=BB12_2491 Depth=2
	s_or_b32 exec_lo, exec_lo, s10
	v_and_b32_e32 v9, 0xffff0000, v13
	v_and_b32_e32 v5, 0xffff0000, v5
	s_delay_alu instid0(VALU_DEP_1) | instskip(NEXT) | instid1(VALU_DEP_1)
	v_add_f32_e32 v9, v5, v9
	v_and_b32_e32 v5, 0x7f800000, v9
	s_delay_alu instid0(VALU_DEP_1) | instskip(SKIP_1) | instid1(SALU_CYCLE_1)
	v_cmp_ne_u32_e32 vcc_lo, 0x7f800000, v5
                                        ; implicit-def: $vgpr5
	s_and_saveexec_b32 s10, vcc_lo
	s_xor_b32 s10, exec_lo, s10
; %bb.2623:                             ;   in Loop: Header=BB12_2491 Depth=2
	v_bfe_u32 v5, v9, 16, 1
	s_delay_alu instid0(VALU_DEP_1)
	v_add3_u32 v5, v9, v5, 0x7fff
                                        ; implicit-def: $vgpr9
; %bb.2624:                             ;   in Loop: Header=BB12_2491 Depth=2
	s_and_not1_saveexec_b32 s10, s10
; %bb.2625:                             ;   in Loop: Header=BB12_2491 Depth=2
	v_and_b32_e32 v5, 0xffff, v9
	v_or_b32_e32 v12, 0x10000, v9
	s_delay_alu instid0(VALU_DEP_2) | instskip(NEXT) | instid1(VALU_DEP_2)
	v_cmp_eq_u32_e32 vcc_lo, 0, v5
	v_cndmask_b32_e32 v5, v12, v9, vcc_lo
; %bb.2626:                             ;   in Loop: Header=BB12_2491 Depth=2
	s_or_b32 exec_lo, exec_lo, s10
	v_dual_lshrrev_b32 v9, 16, v18 :: v_dual_lshrrev_b32 v4, 16, v4
	v_dual_lshrrev_b32 v6, 16, v6 :: v_dual_lshrrev_b32 v12, 16, v8
	v_sub_nc_u32_e32 v24, v24, v62
	s_delay_alu instid0(VALU_DEP_3) | instskip(NEXT) | instid1(VALU_DEP_4)
	v_and_or_b32 v9, 0xffff0000, v11, v9
	v_and_or_b32 v8, 0xffff0000, v10, v4
	s_delay_alu instid0(VALU_DEP_4)
	v_and_or_b32 v10, 0xffff0000, v7, v6
	v_and_or_b32 v11, 0xffff0000, v5, v12
	global_store_b128 v[2:3], v[8:11], off th:TH_STORE_NT
	s_wait_xcnt 0x0
	v_add_nc_u64_e32 v[2:3], 0x200, v[2:3]
	scratch_store_b128 off, v[8:11], s33 offset:192
	s_wait_xcnt 0x0
	s_and_saveexec_b32 s10, s41
	s_cbranch_execz .LBB12_2490
; %bb.2627:                             ;   in Loop: Header=BB12_2491 Depth=2
	v_add_nc_u64_e32 v[14:15], v[14:15], v[94:95]
	v_add_nc_u64_e32 v[16:17], v[16:17], v[94:95]
	;; [unrolled: 1-line block ×3, first 2 shown]
	v_sub_nc_u32_e32 v0, v0, v57
	v_sub_nc_u32_e32 v24, v24, v62
	s_branch .LBB12_2490
.LBB12_2628:                            ;   in Loop: Header=BB12_1634 Depth=1
	s_or_b32 exec_lo, exec_lo, s29
	s_delay_alu instid0(SALU_CYCLE_1)
	s_and_b32 s11, s40, exec_lo
.LBB12_2629:                            ;   in Loop: Header=BB12_1634 Depth=1
	s_or_b32 exec_lo, exec_lo, s28
	s_and_saveexec_b32 s10, s11
	s_cbranch_execz .LBB12_2695
; %bb.2630:                             ;   in Loop: Header=BB12_1634 Depth=1
	s_trap 2
	scratch_load_b128 v[10:13], off, s33 offset:224
	ds_load_b32 v0, v0
	s_wait_loadcnt_dscnt 0x0
	v_dual_lshlrev_b32 v0, 16, v0 :: v_dual_lshlrev_b32 v1, 16, v10
	s_delay_alu instid0(VALU_DEP_1) | instskip(NEXT) | instid1(VALU_DEP_1)
	v_mul_f32_e32 v4, v0, v1
	v_and_b32_e32 v1, 0x7f800000, v4
	s_delay_alu instid0(VALU_DEP_1) | instskip(SKIP_2) | instid1(SALU_CYCLE_1)
	v_cmp_ne_u32_e32 vcc_lo, 0x7f800000, v1
                                        ; implicit-def: $vgpr1
	s_wait_xcnt 0x0
	s_and_saveexec_b32 s11, vcc_lo
	s_xor_b32 s11, exec_lo, s11
; %bb.2631:                             ;   in Loop: Header=BB12_1634 Depth=1
	v_bfe_u32 v1, v4, 16, 1
	s_delay_alu instid0(VALU_DEP_1)
	v_add3_u32 v1, v4, v1, 0x7fff
                                        ; implicit-def: $vgpr4
; %bb.2632:                             ;   in Loop: Header=BB12_1634 Depth=1
	s_and_not1_saveexec_b32 s11, s11
; %bb.2633:                             ;   in Loop: Header=BB12_1634 Depth=1
	v_and_b32_e32 v1, 0xffff, v4
	v_or_b32_e32 v5, 0x10000, v4
	s_delay_alu instid0(VALU_DEP_2) | instskip(NEXT) | instid1(VALU_DEP_2)
	v_cmp_eq_u32_e32 vcc_lo, 0, v1
	v_cndmask_b32_e32 v1, v5, v4, vcc_lo
; %bb.2634:                             ;   in Loop: Header=BB12_1634 Depth=1
	s_or_b32 exec_lo, exec_lo, s11
	v_and_b32_e32 v4, 0xffff0000, v10
	s_mov_b32 s11, exec_lo
                                        ; implicit-def: $vgpr14
	s_delay_alu instid0(VALU_DEP_1) | instskip(NEXT) | instid1(VALU_DEP_1)
	v_mul_f32_e32 v4, v0, v4
	v_and_b32_e32 v5, 0x7f800000, v4
	s_delay_alu instid0(VALU_DEP_1)
	v_cmpx_ne_u32_e32 0x7f800000, v5
	s_xor_b32 s11, exec_lo, s11
; %bb.2635:                             ;   in Loop: Header=BB12_1634 Depth=1
	v_bfe_u32 v5, v4, 16, 1
	s_delay_alu instid0(VALU_DEP_1)
	v_add3_u32 v14, v4, v5, 0x7fff
                                        ; implicit-def: $vgpr4
; %bb.2636:                             ;   in Loop: Header=BB12_1634 Depth=1
	s_and_not1_saveexec_b32 s11, s11
; %bb.2637:                             ;   in Loop: Header=BB12_1634 Depth=1
	v_and_b32_e32 v5, 0xffff, v4
	v_or_b32_e32 v6, 0x10000, v4
	s_delay_alu instid0(VALU_DEP_2) | instskip(NEXT) | instid1(VALU_DEP_2)
	v_cmp_eq_u32_e32 vcc_lo, 0, v5
	v_cndmask_b32_e32 v14, v6, v4, vcc_lo
; %bb.2638:                             ;   in Loop: Header=BB12_1634 Depth=1
	s_or_b32 exec_lo, exec_lo, s11
	v_lshlrev_b32_e32 v4, 16, v11
	s_mov_b32 s11, exec_lo
                                        ; implicit-def: $vgpr18
	s_delay_alu instid0(VALU_DEP_1) | instskip(NEXT) | instid1(VALU_DEP_1)
	v_mul_f32_e32 v4, v0, v4
	v_and_b32_e32 v5, 0x7f800000, v4
	s_delay_alu instid0(VALU_DEP_1)
	v_cmpx_ne_u32_e32 0x7f800000, v5
	s_xor_b32 s11, exec_lo, s11
; %bb.2639:                             ;   in Loop: Header=BB12_1634 Depth=1
	v_bfe_u32 v5, v4, 16, 1
	s_delay_alu instid0(VALU_DEP_1)
	v_add3_u32 v18, v4, v5, 0x7fff
                                        ; implicit-def: $vgpr4
; %bb.2640:                             ;   in Loop: Header=BB12_1634 Depth=1
	s_and_not1_saveexec_b32 s11, s11
; %bb.2641:                             ;   in Loop: Header=BB12_1634 Depth=1
	v_and_b32_e32 v5, 0xffff, v4
	v_or_b32_e32 v6, 0x10000, v4
	s_delay_alu instid0(VALU_DEP_2) | instskip(NEXT) | instid1(VALU_DEP_2)
	v_cmp_eq_u32_e32 vcc_lo, 0, v5
	v_cndmask_b32_e32 v18, v6, v4, vcc_lo
; %bb.2642:                             ;   in Loop: Header=BB12_1634 Depth=1
	s_or_b32 exec_lo, exec_lo, s11
	v_and_b32_e32 v4, 0xffff0000, v11
	s_mov_b32 s11, exec_lo
                                        ; implicit-def: $vgpr16
	s_delay_alu instid0(VALU_DEP_1) | instskip(NEXT) | instid1(VALU_DEP_1)
	v_mul_f32_e32 v4, v0, v4
	v_and_b32_e32 v5, 0x7f800000, v4
	s_delay_alu instid0(VALU_DEP_1)
	v_cmpx_ne_u32_e32 0x7f800000, v5
	s_xor_b32 s11, exec_lo, s11
; %bb.2643:                             ;   in Loop: Header=BB12_1634 Depth=1
	v_bfe_u32 v5, v4, 16, 1
	s_delay_alu instid0(VALU_DEP_1)
	v_add3_u32 v16, v4, v5, 0x7fff
                                        ; implicit-def: $vgpr4
; %bb.2644:                             ;   in Loop: Header=BB12_1634 Depth=1
	s_and_not1_saveexec_b32 s11, s11
; %bb.2645:                             ;   in Loop: Header=BB12_1634 Depth=1
	v_and_b32_e32 v5, 0xffff, v4
	v_or_b32_e32 v6, 0x10000, v4
	s_delay_alu instid0(VALU_DEP_2) | instskip(NEXT) | instid1(VALU_DEP_2)
	v_cmp_eq_u32_e32 vcc_lo, 0, v5
	v_cndmask_b32_e32 v16, v6, v4, vcc_lo
; %bb.2646:                             ;   in Loop: Header=BB12_1634 Depth=1
	s_or_b32 exec_lo, exec_lo, s11
	v_lshlrev_b32_e32 v4, 16, v12
	s_mov_b32 s11, exec_lo
                                        ; implicit-def: $vgpr17
	s_delay_alu instid0(VALU_DEP_1) | instskip(NEXT) | instid1(VALU_DEP_1)
	v_mul_f32_e32 v4, v0, v4
	v_and_b32_e32 v5, 0x7f800000, v4
	s_delay_alu instid0(VALU_DEP_1)
	v_cmpx_ne_u32_e32 0x7f800000, v5
	s_xor_b32 s11, exec_lo, s11
; %bb.2647:                             ;   in Loop: Header=BB12_1634 Depth=1
	v_bfe_u32 v5, v4, 16, 1
	s_delay_alu instid0(VALU_DEP_1)
	v_add3_u32 v17, v4, v5, 0x7fff
                                        ; implicit-def: $vgpr4
; %bb.2648:                             ;   in Loop: Header=BB12_1634 Depth=1
	s_and_not1_saveexec_b32 s11, s11
; %bb.2649:                             ;   in Loop: Header=BB12_1634 Depth=1
	v_and_b32_e32 v5, 0xffff, v4
	v_or_b32_e32 v6, 0x10000, v4
	s_delay_alu instid0(VALU_DEP_2) | instskip(NEXT) | instid1(VALU_DEP_2)
	v_cmp_eq_u32_e32 vcc_lo, 0, v5
	v_cndmask_b32_e32 v17, v6, v4, vcc_lo
; %bb.2650:                             ;   in Loop: Header=BB12_1634 Depth=1
	s_or_b32 exec_lo, exec_lo, s11
	v_and_b32_e32 v4, 0xffff0000, v12
	s_delay_alu instid0(VALU_DEP_1) | instskip(NEXT) | instid1(VALU_DEP_1)
	v_mul_f32_e32 v5, v0, v4
	v_and_b32_e32 v4, 0x7f800000, v5
	s_delay_alu instid0(VALU_DEP_1) | instskip(SKIP_1) | instid1(SALU_CYCLE_1)
	v_cmp_ne_u32_e32 vcc_lo, 0x7f800000, v4
                                        ; implicit-def: $vgpr4
	s_and_saveexec_b32 s11, vcc_lo
	s_xor_b32 s11, exec_lo, s11
; %bb.2651:                             ;   in Loop: Header=BB12_1634 Depth=1
	v_bfe_u32 v4, v5, 16, 1
	s_delay_alu instid0(VALU_DEP_1)
	v_add3_u32 v4, v5, v4, 0x7fff
                                        ; implicit-def: $vgpr5
; %bb.2652:                             ;   in Loop: Header=BB12_1634 Depth=1
	s_and_not1_saveexec_b32 s11, s11
; %bb.2653:                             ;   in Loop: Header=BB12_1634 Depth=1
	v_and_b32_e32 v4, 0xffff, v5
	v_or_b32_e32 v6, 0x10000, v5
	s_delay_alu instid0(VALU_DEP_2) | instskip(NEXT) | instid1(VALU_DEP_2)
	v_cmp_eq_u32_e32 vcc_lo, 0, v4
	v_cndmask_b32_e32 v4, v6, v5, vcc_lo
; %bb.2654:                             ;   in Loop: Header=BB12_1634 Depth=1
	s_or_b32 exec_lo, exec_lo, s11
	v_lshlrev_b32_e32 v5, 16, v13
	s_delay_alu instid0(VALU_DEP_1) | instskip(NEXT) | instid1(VALU_DEP_1)
	v_mul_f32_e32 v6, v0, v5
	v_and_b32_e32 v5, 0x7f800000, v6
	s_delay_alu instid0(VALU_DEP_1) | instskip(SKIP_1) | instid1(SALU_CYCLE_1)
	v_cmp_ne_u32_e32 vcc_lo, 0x7f800000, v5
                                        ; implicit-def: $vgpr5
	s_and_saveexec_b32 s11, vcc_lo
	s_xor_b32 s11, exec_lo, s11
; %bb.2655:                             ;   in Loop: Header=BB12_1634 Depth=1
	v_bfe_u32 v5, v6, 16, 1
	s_delay_alu instid0(VALU_DEP_1)
	v_add3_u32 v5, v6, v5, 0x7fff
                                        ; implicit-def: $vgpr6
; %bb.2656:                             ;   in Loop: Header=BB12_1634 Depth=1
	s_and_not1_saveexec_b32 s11, s11
; %bb.2657:                             ;   in Loop: Header=BB12_1634 Depth=1
	v_and_b32_e32 v5, 0xffff, v6
	v_or_b32_e32 v7, 0x10000, v6
	s_delay_alu instid0(VALU_DEP_2) | instskip(NEXT) | instid1(VALU_DEP_2)
	v_cmp_eq_u32_e32 vcc_lo, 0, v5
	v_cndmask_b32_e32 v5, v7, v6, vcc_lo
; %bb.2658:                             ;   in Loop: Header=BB12_1634 Depth=1
	s_or_b32 exec_lo, exec_lo, s11
	v_and_b32_e32 v6, 0xffff0000, v13
	s_delay_alu instid0(VALU_DEP_1) | instskip(NEXT) | instid1(VALU_DEP_1)
	v_mul_f32_e32 v6, v0, v6
	v_and_b32_e32 v0, 0x7f800000, v6
	s_delay_alu instid0(VALU_DEP_1) | instskip(SKIP_1) | instid1(SALU_CYCLE_1)
	v_cmp_ne_u32_e32 vcc_lo, 0x7f800000, v0
                                        ; implicit-def: $vgpr0
	s_and_saveexec_b32 s11, vcc_lo
	s_xor_b32 s11, exec_lo, s11
; %bb.2659:                             ;   in Loop: Header=BB12_1634 Depth=1
	v_bfe_u32 v0, v6, 16, 1
	s_delay_alu instid0(VALU_DEP_1)
	v_add3_u32 v0, v6, v0, 0x7fff
                                        ; implicit-def: $vgpr6
; %bb.2660:                             ;   in Loop: Header=BB12_1634 Depth=1
	s_and_not1_saveexec_b32 s11, s11
; %bb.2661:                             ;   in Loop: Header=BB12_1634 Depth=1
	v_and_b32_e32 v0, 0xffff, v6
	v_or_b32_e32 v7, 0x10000, v6
	s_delay_alu instid0(VALU_DEP_2) | instskip(NEXT) | instid1(VALU_DEP_2)
	v_cmp_eq_u32_e32 vcc_lo, 0, v0
	v_cndmask_b32_e32 v0, v7, v6, vcc_lo
; %bb.2662:                             ;   in Loop: Header=BB12_1634 Depth=1
	s_or_b32 exec_lo, exec_lo, s11
	scratch_load_b128 v[10:13], off, s33 offset:240
	v_and_b32_e32 v1, 0xffff0000, v1
	s_wait_loadcnt 0x0
	v_lshlrev_b32_e32 v6, 16, v10
	s_delay_alu instid0(VALU_DEP_1) | instskip(NEXT) | instid1(VALU_DEP_1)
	v_add_f32_e32 v6, v1, v6
	v_and_b32_e32 v1, 0x7f800000, v6
	s_delay_alu instid0(VALU_DEP_1) | instskip(SKIP_2) | instid1(SALU_CYCLE_1)
	v_cmp_ne_u32_e32 vcc_lo, 0x7f800000, v1
                                        ; implicit-def: $vgpr1
	s_wait_xcnt 0x0
	s_and_saveexec_b32 s11, vcc_lo
	s_xor_b32 s11, exec_lo, s11
; %bb.2663:                             ;   in Loop: Header=BB12_1634 Depth=1
	v_bfe_u32 v1, v6, 16, 1
	s_delay_alu instid0(VALU_DEP_1)
	v_add3_u32 v1, v6, v1, 0x7fff
                                        ; implicit-def: $vgpr6
; %bb.2664:                             ;   in Loop: Header=BB12_1634 Depth=1
	s_and_not1_saveexec_b32 s11, s11
; %bb.2665:                             ;   in Loop: Header=BB12_1634 Depth=1
	v_and_b32_e32 v1, 0xffff, v6
	v_or_b32_e32 v7, 0x10000, v6
	s_delay_alu instid0(VALU_DEP_2) | instskip(NEXT) | instid1(VALU_DEP_2)
	v_cmp_eq_u32_e32 vcc_lo, 0, v1
	v_cndmask_b32_e32 v1, v7, v6, vcc_lo
; %bb.2666:                             ;   in Loop: Header=BB12_1634 Depth=1
	s_or_b32 exec_lo, exec_lo, s11
	v_and_b32_e32 v7, 0xffff0000, v10
	v_and_b32_e32 v6, 0xffff0000, v14
	s_mov_b32 s11, exec_lo
                                        ; implicit-def: $vgpr10
	s_delay_alu instid0(VALU_DEP_2) | instskip(NEXT) | instid1(VALU_DEP_1)
	v_mov_b32_e32 v8, v7
	v_pk_add_f32 v[14:15], v[8:9], v[6:7]
	s_delay_alu instid0(VALU_DEP_1) | instskip(NEXT) | instid1(VALU_DEP_1)
	v_and_b32_e32 v6, 0x7f800000, v14
	v_cmpx_ne_u32_e32 0x7f800000, v6
	s_xor_b32 s11, exec_lo, s11
; %bb.2667:                             ;   in Loop: Header=BB12_1634 Depth=1
	v_bfe_u32 v6, v14, 16, 1
	s_delay_alu instid0(VALU_DEP_1)
	v_add3_u32 v10, v14, v6, 0x7fff
                                        ; implicit-def: $vgpr14_vgpr15
; %bb.2668:                             ;   in Loop: Header=BB12_1634 Depth=1
	s_and_not1_saveexec_b32 s11, s11
; %bb.2669:                             ;   in Loop: Header=BB12_1634 Depth=1
	v_and_b32_e32 v6, 0xffff, v14
	v_or_b32_e32 v7, 0x10000, v14
	s_delay_alu instid0(VALU_DEP_2) | instskip(NEXT) | instid1(VALU_DEP_2)
	v_cmp_eq_u32_e32 vcc_lo, 0, v6
	v_cndmask_b32_e32 v10, v7, v14, vcc_lo
; %bb.2670:                             ;   in Loop: Header=BB12_1634 Depth=1
	s_or_b32 exec_lo, exec_lo, s11
	v_and_b32_e32 v6, 0xffff0000, v18
	v_lshlrev_b32_e32 v7, 16, v11
	s_mov_b32 s11, exec_lo
                                        ; implicit-def: $vgpr14
	s_delay_alu instid0(VALU_DEP_1) | instskip(NEXT) | instid1(VALU_DEP_1)
	v_add_f32_e32 v6, v6, v7
	v_and_b32_e32 v7, 0x7f800000, v6
	s_delay_alu instid0(VALU_DEP_1)
	v_cmpx_ne_u32_e32 0x7f800000, v7
	s_xor_b32 s11, exec_lo, s11
; %bb.2671:                             ;   in Loop: Header=BB12_1634 Depth=1
	v_bfe_u32 v7, v6, 16, 1
	s_delay_alu instid0(VALU_DEP_1)
	v_add3_u32 v14, v6, v7, 0x7fff
                                        ; implicit-def: $vgpr6
; %bb.2672:                             ;   in Loop: Header=BB12_1634 Depth=1
	s_and_not1_saveexec_b32 s11, s11
; %bb.2673:                             ;   in Loop: Header=BB12_1634 Depth=1
	v_and_b32_e32 v7, 0xffff, v6
	v_or_b32_e32 v8, 0x10000, v6
	s_delay_alu instid0(VALU_DEP_2) | instskip(NEXT) | instid1(VALU_DEP_2)
	v_cmp_eq_u32_e32 vcc_lo, 0, v7
	v_cndmask_b32_e32 v14, v8, v6, vcc_lo
; %bb.2674:                             ;   in Loop: Header=BB12_1634 Depth=1
	s_or_b32 exec_lo, exec_lo, s11
	v_and_b32_e32 v6, 0xffff0000, v11
	v_and_b32_e32 v7, 0xffff0000, v16
	s_mov_b32 s11, exec_lo
                                        ; implicit-def: $vgpr11
	s_delay_alu instid0(VALU_DEP_1) | instskip(NEXT) | instid1(VALU_DEP_1)
	v_add_f32_e32 v6, v7, v6
	v_and_b32_e32 v7, 0x7f800000, v6
	s_delay_alu instid0(VALU_DEP_1)
	v_cmpx_ne_u32_e32 0x7f800000, v7
	s_xor_b32 s11, exec_lo, s11
; %bb.2675:                             ;   in Loop: Header=BB12_1634 Depth=1
	v_bfe_u32 v7, v6, 16, 1
	s_delay_alu instid0(VALU_DEP_1)
	v_add3_u32 v11, v6, v7, 0x7fff
                                        ; implicit-def: $vgpr6
; %bb.2676:                             ;   in Loop: Header=BB12_1634 Depth=1
	s_and_not1_saveexec_b32 s11, s11
; %bb.2677:                             ;   in Loop: Header=BB12_1634 Depth=1
	v_and_b32_e32 v7, 0xffff, v6
	v_or_b32_e32 v8, 0x10000, v6
	s_delay_alu instid0(VALU_DEP_2) | instskip(NEXT) | instid1(VALU_DEP_2)
	v_cmp_eq_u32_e32 vcc_lo, 0, v7
	v_cndmask_b32_e32 v11, v8, v6, vcc_lo
; %bb.2678:                             ;   in Loop: Header=BB12_1634 Depth=1
	s_or_b32 exec_lo, exec_lo, s11
	v_and_b32_e32 v6, 0xffff0000, v17
	v_lshlrev_b32_e32 v7, 16, v12
	s_delay_alu instid0(VALU_DEP_1) | instskip(NEXT) | instid1(VALU_DEP_1)
	v_add_f32_e32 v7, v6, v7
	v_and_b32_e32 v6, 0x7f800000, v7
	s_delay_alu instid0(VALU_DEP_1) | instskip(SKIP_1) | instid1(SALU_CYCLE_1)
	v_cmp_ne_u32_e32 vcc_lo, 0x7f800000, v6
                                        ; implicit-def: $vgpr6
	s_and_saveexec_b32 s11, vcc_lo
	s_xor_b32 s11, exec_lo, s11
; %bb.2679:                             ;   in Loop: Header=BB12_1634 Depth=1
	v_bfe_u32 v6, v7, 16, 1
	s_delay_alu instid0(VALU_DEP_1)
	v_add3_u32 v6, v7, v6, 0x7fff
                                        ; implicit-def: $vgpr7
; %bb.2680:                             ;   in Loop: Header=BB12_1634 Depth=1
	s_and_not1_saveexec_b32 s11, s11
; %bb.2681:                             ;   in Loop: Header=BB12_1634 Depth=1
	v_and_b32_e32 v6, 0xffff, v7
	v_or_b32_e32 v8, 0x10000, v7
	s_delay_alu instid0(VALU_DEP_2) | instskip(NEXT) | instid1(VALU_DEP_2)
	v_cmp_eq_u32_e32 vcc_lo, 0, v6
	v_cndmask_b32_e32 v6, v8, v7, vcc_lo
; %bb.2682:                             ;   in Loop: Header=BB12_1634 Depth=1
	s_or_b32 exec_lo, exec_lo, s11
	v_and_b32_e32 v7, 0xffff0000, v12
	v_and_b32_e32 v4, 0xffff0000, v4
	s_delay_alu instid0(VALU_DEP_1) | instskip(NEXT) | instid1(VALU_DEP_1)
	v_add_f32_e32 v7, v4, v7
	v_and_b32_e32 v4, 0x7f800000, v7
	s_delay_alu instid0(VALU_DEP_1) | instskip(SKIP_1) | instid1(SALU_CYCLE_1)
	v_cmp_ne_u32_e32 vcc_lo, 0x7f800000, v4
                                        ; implicit-def: $vgpr4
	s_and_saveexec_b32 s11, vcc_lo
	s_xor_b32 s11, exec_lo, s11
; %bb.2683:                             ;   in Loop: Header=BB12_1634 Depth=1
	v_bfe_u32 v4, v7, 16, 1
	s_delay_alu instid0(VALU_DEP_1)
	v_add3_u32 v4, v7, v4, 0x7fff
                                        ; implicit-def: $vgpr7
; %bb.2684:                             ;   in Loop: Header=BB12_1634 Depth=1
	s_and_not1_saveexec_b32 s11, s11
; %bb.2685:                             ;   in Loop: Header=BB12_1634 Depth=1
	v_and_b32_e32 v4, 0xffff, v7
	v_or_b32_e32 v8, 0x10000, v7
	s_delay_alu instid0(VALU_DEP_2) | instskip(NEXT) | instid1(VALU_DEP_2)
	v_cmp_eq_u32_e32 vcc_lo, 0, v4
	v_cndmask_b32_e32 v4, v8, v7, vcc_lo
; %bb.2686:                             ;   in Loop: Header=BB12_1634 Depth=1
	s_or_b32 exec_lo, exec_lo, s11
	v_and_b32_e32 v5, 0xffff0000, v5
	v_lshlrev_b32_e32 v7, 16, v13
	s_delay_alu instid0(VALU_DEP_1) | instskip(NEXT) | instid1(VALU_DEP_1)
	v_add_f32_e32 v7, v5, v7
	v_and_b32_e32 v5, 0x7f800000, v7
	s_delay_alu instid0(VALU_DEP_1) | instskip(SKIP_1) | instid1(SALU_CYCLE_1)
	v_cmp_ne_u32_e32 vcc_lo, 0x7f800000, v5
                                        ; implicit-def: $vgpr5
	s_and_saveexec_b32 s11, vcc_lo
	s_xor_b32 s11, exec_lo, s11
; %bb.2687:                             ;   in Loop: Header=BB12_1634 Depth=1
	v_bfe_u32 v5, v7, 16, 1
	s_delay_alu instid0(VALU_DEP_1)
	v_add3_u32 v5, v7, v5, 0x7fff
                                        ; implicit-def: $vgpr7
; %bb.2688:                             ;   in Loop: Header=BB12_1634 Depth=1
	s_and_not1_saveexec_b32 s11, s11
; %bb.2689:                             ;   in Loop: Header=BB12_1634 Depth=1
	v_and_b32_e32 v5, 0xffff, v7
	v_or_b32_e32 v8, 0x10000, v7
	s_delay_alu instid0(VALU_DEP_2) | instskip(NEXT) | instid1(VALU_DEP_2)
	v_cmp_eq_u32_e32 vcc_lo, 0, v5
	v_cndmask_b32_e32 v5, v8, v7, vcc_lo
; %bb.2690:                             ;   in Loop: Header=BB12_1634 Depth=1
	s_or_b32 exec_lo, exec_lo, s11
	v_and_b32_e32 v7, 0xffff0000, v13
	v_and_b32_e32 v0, 0xffff0000, v0
	s_delay_alu instid0(VALU_DEP_1) | instskip(NEXT) | instid1(VALU_DEP_1)
	v_add_f32_e32 v7, v0, v7
	v_and_b32_e32 v0, 0x7f800000, v7
	s_delay_alu instid0(VALU_DEP_1) | instskip(SKIP_1) | instid1(SALU_CYCLE_1)
	v_cmp_ne_u32_e32 vcc_lo, 0x7f800000, v0
                                        ; implicit-def: $vgpr0
	s_and_saveexec_b32 s11, vcc_lo
	s_xor_b32 s11, exec_lo, s11
; %bb.2691:                             ;   in Loop: Header=BB12_1634 Depth=1
	v_bfe_u32 v0, v7, 16, 1
	s_delay_alu instid0(VALU_DEP_1)
	v_add3_u32 v0, v7, v0, 0x7fff
                                        ; implicit-def: $vgpr7
; %bb.2692:                             ;   in Loop: Header=BB12_1634 Depth=1
	s_and_not1_saveexec_b32 s11, s11
; %bb.2693:                             ;   in Loop: Header=BB12_1634 Depth=1
	v_and_b32_e32 v0, 0xffff, v7
	v_or_b32_e32 v8, 0x10000, v7
	s_delay_alu instid0(VALU_DEP_2) | instskip(NEXT) | instid1(VALU_DEP_2)
	v_cmp_eq_u32_e32 vcc_lo, 0, v0
	v_cndmask_b32_e32 v0, v8, v7, vcc_lo
; %bb.2694:                             ;   in Loop: Header=BB12_1634 Depth=1
	s_or_b32 exec_lo, exec_lo, s11
	v_dual_lshrrev_b32 v7, 16, v14 :: v_dual_lshrrev_b32 v1, 16, v1
	v_dual_lshrrev_b32 v8, 16, v6 :: v_dual_lshrrev_b32 v5, 16, v5
	s_delay_alu instid0(VALU_DEP_2) | instskip(NEXT) | instid1(VALU_DEP_3)
	v_and_or_b32 v7, 0xffff0000, v11, v7
	v_and_or_b32 v6, 0xffff0000, v10, v1
	s_delay_alu instid0(VALU_DEP_3) | instskip(NEXT) | instid1(VALU_DEP_4)
	v_and_or_b32 v8, 0xffff0000, v4, v8
	v_and_or_b32 v9, 0xffff0000, v0, v5
	global_store_b128 v[2:3], v[6:9], off th:TH_STORE_NT
.LBB12_2695:                            ;   in Loop: Header=BB12_1634 Depth=1
	s_wait_xcnt 0x0
	s_or_b32 exec_lo, exec_lo, s10
	v_and_b32_e32 v1, 14, v102
	s_mov_b32 s11, s26
	s_mov_b32 s10, exec_lo
                                        ; implicit-def: $vgpr18
                                        ; implicit-def: $vgpr0
                                        ; implicit-def: $vgpr19
	s_delay_alu instid0(VALU_DEP_1) | instskip(NEXT) | instid1(VALU_DEP_1)
	v_cndmask_b32_e64 v102, v23, v1, s7
	v_cmpx_ne_u32_e32 0, v102
	s_cbranch_execz .LBB12_2697
; %bb.2696:                             ;   in Loop: Header=BB12_1634 Depth=1
	v_cmp_lt_i32_e32 vcc_lo, 0, v24
	s_or_b32 s11, s26, exec_lo
	v_dual_cndmask_b32 v0, 0, v62 :: v_dual_sub_nc_u32 v1, v23, v1
	s_delay_alu instid0(VALU_DEP_1) | instskip(NEXT) | instid1(VALU_DEP_1)
	v_dual_cndmask_b32 v1, 0, v1, s7 :: v_dual_sub_nc_u32 v0, v0, v24
	v_add3_u32 v18, v22, v20, v1
	s_delay_alu instid0(VALU_DEP_2) | instskip(NEXT) | instid1(VALU_DEP_1)
	v_lshl_add_u32 v0, v0, 5, v21
	v_ashrrev_i32_e32 v2, 31, v0
	s_delay_alu instid0(VALU_DEP_1) | instskip(NEXT) | instid1(VALU_DEP_1)
	v_lshrrev_b32_e32 v2, 27, v2
	v_add_nc_u32_e32 v2, v0, v2
	s_delay_alu instid0(VALU_DEP_1) | instskip(NEXT) | instid1(VALU_DEP_1)
	v_and_b32_e32 v2, 0xffffffe0, v2
	v_sub_nc_u32_e32 v19, v0, v2
.LBB12_2697:                            ;   in Loop: Header=BB12_1634 Depth=1
	s_or_b32 exec_lo, exec_lo, s10
	s_delay_alu instid0(SALU_CYCLE_1) | instskip(SKIP_1) | instid1(SALU_CYCLE_1)
	s_and_not1_b32 s7, s26, exec_lo
	s_and_b32 s10, s11, exec_lo
	s_or_b32 s26, s7, s10
.LBB12_2698:                            ;   in Loop: Header=BB12_1634 Depth=1
	s_or_b32 exec_lo, exec_lo, s27
	s_and_saveexec_b32 s11, s26
	s_cbranch_execz .LBB12_3130
.LBB12_2699:                            ;   in Loop: Header=BB12_1634 Depth=1
	s_delay_alu instid0(VALU_DEP_1) | instskip(SKIP_1) | instid1(VALU_DEP_2)
	v_dual_ashrrev_i32 v1, 31, v0 :: v_dual_lshlrev_b32 v2, 1, v19
	v_dual_ashrrev_i32 v3, 31, v102 :: v_dual_mov_b32 v87, 0
	v_dual_mov_b32 v53, 0 :: v_dual_lshrrev_b32 v1, 27, v1
	v_dual_mov_b32 v85, 0 :: v_dual_mov_b32 v83, 0
	v_dual_mov_b32 v81, 0 :: v_dual_mov_b32 v71, 0
	s_delay_alu instid0(VALU_DEP_3) | instskip(SKIP_1) | instid1(VALU_DEP_2)
	v_dual_add_nc_u32 v0, v0, v1 :: v_dual_mov_b32 v68, 0
	v_dual_lshrrev_b32 v1, 22, v3 :: v_dual_mov_b32 v67, 0
	v_dual_mov_b32 v66, 0 :: v_dual_ashrrev_i32 v0, 5, v0
	s_delay_alu instid0(VALU_DEP_2) | instskip(SKIP_1) | instid1(VALU_DEP_3)
	v_dual_mov_b32 v54, 0 :: v_dual_add_nc_u32 v1, v102, v1
	v_dual_mov_b32 v65, 0 :: v_dual_mov_b32 v64, 0
	v_dual_mov_b32 v52, 0 :: v_dual_lshlrev_b32 v3, 10, v0
	s_delay_alu instid0(VALU_DEP_3) | instskip(SKIP_1) | instid1(VALU_DEP_3)
	v_dual_ashrrev_i32 v20, 10, v1 :: v_dual_mov_b32 v4, 0
	v_dual_mov_b32 v51, 0 :: v_dual_mov_b32 v5, 0
	v_add3_u32 v12, v18, v2, v3
	s_delay_alu instid0(VALU_DEP_3)
	v_dual_mov_b32 v48, 0 :: v_dual_sub_nc_u32 v39, v20, v0
	scratch_load_b64 v[0:1], off, s33 offset:328 ; 8-byte Folded Reload
	v_dual_mov_b32 v31, 0 :: v_dual_ashrrev_i32 v13, 31, v12
	v_dual_mov_b32 v50, 0 :: v_dual_mov_b32 v49, 0
	v_dual_mov_b32 v24, 0 :: v_dual_mov_b32 v23, 0
	;; [unrolled: 1-line block ×6, first 2 shown]
	s_mov_b32 s10, 0
	s_mov_b32 s7, exec_lo
	s_wait_loadcnt 0x0
	v_add_nc_u64_e32 v[10:11], v[0:1], v[12:13]
	v_dual_mov_b32 v1, 0 :: v_dual_mov_b32 v0, 0
	s_wait_xcnt 0x0
	v_cmpx_lt_i32_e32 0, v39
	s_cbranch_execz .LBB12_2963
; %bb.2700:                             ;   in Loop: Header=BB12_1634 Depth=1
	s_trap 2
	scratch_load_b64 v[2:3], off, s33 offset:264 ; 8-byte Folded Reload
	ds_load_b64 v[0:1], v0
	v_dual_mov_b32 v89, v102 :: v_dual_mov_b32 v60, v101
	s_mov_b32 s13, 0
	s_mov_b32 s12, 0
                                        ; implicit-def: $sgpr10
                                        ; implicit-def: $vgpr42
                                        ; implicit-def: $vgpr118
                                        ; implicit-def: $vgpr116
                                        ; implicit-def: $vgpr114
                                        ; implicit-def: $vgpr112
                                        ; implicit-def: $vgpr102
                                        ; implicit-def: $vgpr100
                                        ; implicit-def: $vgpr98
                                        ; implicit-def: $vgpr96
                                        ; implicit-def: $vgpr86
                                        ; implicit-def: $vgpr84
                                        ; implicit-def: $vgpr82
                                        ; implicit-def: $vgpr80
                                        ; implicit-def: $vgpr70
                                        ; implicit-def: $vgpr69
                                        ; implicit-def: $vgpr21
                                        ; implicit-def: $vgpr22
                                        ; implicit-def: $vgpr23
                                        ; implicit-def: $vgpr24
                                        ; implicit-def: $vgpr25
                                        ; implicit-def: $vgpr26
                                        ; implicit-def: $vgpr27
                                        ; implicit-def: $vgpr28
                                        ; implicit-def: $vgpr29
                                        ; implicit-def: $vgpr32
                                        ; implicit-def: $vgpr33
                                        ; implicit-def: $vgpr34
                                        ; implicit-def: $vgpr35
                                        ; implicit-def: $vgpr36
                                        ; implicit-def: $vgpr37
                                        ; implicit-def: $vgpr38
	s_wait_loadcnt 0x0
	v_add_nc_u64_e32 v[2:3], v[12:13], v[2:3]
	s_wait_dscnt 0x0
	v_add_nc_u64_e32 v[12:13], v[0:1], v[12:13]
                                        ; implicit-def: $vgpr1
	s_branch .LBB12_2702
.LBB12_2701:                            ;   in Loop: Header=BB12_2702 Depth=2
	s_or_b32 exec_lo, exec_lo, s26
	s_clause 0x7
	flat_store_d16_hi_b16 v[10:11], v4 th:TH_STORE_NT
	flat_store_d16_hi_b16 v[10:11], v15 offset:64 th:TH_STORE_NT
	flat_store_d16_hi_b16 v[10:11], v71 offset:128 th:TH_STORE_NT
	;; [unrolled: 1-line block ×7, first 2 shown]
	s_wait_xcnt 0x7
	v_dual_cndmask_b32 v4, 0, v62, s13 :: v_dual_cndmask_b32 v49, 0, v93, s13
	s_wait_xcnt 0x6
	v_add_nc_u64_e32 v[14:15], v[12:13], v[78:79]
	v_add_nc_u64_e32 v[8:9], v[2:3], v[78:79]
	v_cndmask_b32_e64 v48, 0x400, v92, s13
	v_sub_nc_u32_e32 v39, v39, v4
	s_clause 0x7
	flat_store_d16_hi_b16 v[10:11], v55 offset:512 th:TH_STORE_NT
	flat_store_d16_hi_b16 v[10:11], v54 offset:576 th:TH_STORE_NT
	;; [unrolled: 1-line block ×8, first 2 shown]
	v_cndmask_b32_e64 v13, v13, v15, s13
	v_cmp_gt_i32_e32 vcc_lo, 1, v39
	s_wait_xcnt 0x0
	v_add_nc_u64_e32 v[10:11], v[10:11], v[48:49]
	v_dual_cndmask_b32 v3, v3, v9, s13 :: v_dual_cndmask_b32 v2, v2, v8, s13
	v_cndmask_b32_e64 v12, v12, v14, s13
	s_or_b32 s12, vcc_lo, s12
	s_and_not1_b32 s10, s10, exec_lo
	s_and_b32 s26, s13, exec_lo
	s_delay_alu instid0(SALU_CYCLE_1)
	s_or_b32 s10, s10, s26
	s_and_not1_b32 exec_lo, exec_lo, s12
	s_cbranch_execz .LBB12_2962
.LBB12_2702:                            ;   Parent Loop BB12_1634 Depth=1
                                        ; =>  This Inner Loop Header: Depth=2
	s_clause 0xf
	flat_load_u16 v121, v[2:3] th:TH_LOAD_NT
	flat_load_u16 v120, v[2:3] offset:64 th:TH_LOAD_NT
	flat_load_u16 v45, v[2:3] offset:128 th:TH_LOAD_NT
	;; [unrolled: 1-line block ×15, first 2 shown]
	s_clause 0xf
	flat_load_u16 v83, v[12:13] th:TH_LOAD_NT
	flat_load_u16 v81, v[12:13] offset:64 th:TH_LOAD_NT
	flat_load_u16 v71, v[12:13] offset:128 th:TH_LOAD_NT
	;; [unrolled: 1-line block ×15, first 2 shown]
	s_wait_xcnt 0x0
	s_and_saveexec_b32 s26, s13
	s_cbranch_execz .LBB12_2832
; %bb.2703:                             ;   in Loop: Header=BB12_2702 Depth=2
	s_trap 2
	s_wait_loadcnt_dscnt 0x1414
	ds_load_b32 v4, v0
	s_wait_dscnt 0x0
	v_dual_lshlrev_b32 v14, 16, v42 :: v_dual_lshlrev_b32 v15, 16, v4
	s_delay_alu instid0(VALU_DEP_1) | instskip(NEXT) | instid1(VALU_DEP_1)
	v_mov_b32_e32 v4, v15
	v_pk_mul_f32 v[16:17], v[4:5], v[14:15]
	s_delay_alu instid0(VALU_DEP_1) | instskip(NEXT) | instid1(VALU_DEP_1)
	v_and_b32_e32 v4, 0x7f800000, v16
	v_cmp_ne_u32_e32 vcc_lo, 0x7f800000, v4
                                        ; implicit-def: $vgpr4
	s_and_saveexec_b32 s13, vcc_lo
	s_delay_alu instid0(SALU_CYCLE_1)
	s_xor_b32 s13, exec_lo, s13
; %bb.2704:                             ;   in Loop: Header=BB12_2702 Depth=2
	v_bfe_u32 v4, v16, 16, 1
	s_delay_alu instid0(VALU_DEP_1)
	v_add3_u32 v4, v16, v4, 0x7fff
                                        ; implicit-def: $vgpr16_vgpr17
; %bb.2705:                             ;   in Loop: Header=BB12_2702 Depth=2
	s_and_not1_saveexec_b32 s13, s13
; %bb.2706:                             ;   in Loop: Header=BB12_2702 Depth=2
	v_and_b32_e32 v4, 0xffff, v16
	v_or_b32_e32 v5, 0x10000, v16
	s_delay_alu instid0(VALU_DEP_2) | instskip(NEXT) | instid1(VALU_DEP_2)
	v_cmp_eq_u32_e32 vcc_lo, 0, v4
	v_cndmask_b32_e32 v4, v5, v16, vcc_lo
; %bb.2707:                             ;   in Loop: Header=BB12_2702 Depth=2
	s_or_b32 exec_lo, exec_lo, s13
	v_lshlrev_b32_e32 v5, 16, v118
	s_mov_b32 s13, exec_lo
                                        ; implicit-def: $vgpr42
	s_delay_alu instid0(VALU_DEP_1) | instskip(NEXT) | instid1(VALU_DEP_1)
	v_mul_f32_e32 v5, v15, v5
	v_and_b32_e32 v6, 0x7f800000, v5
	s_delay_alu instid0(VALU_DEP_1)
	v_cmpx_ne_u32_e32 0x7f800000, v6
	s_xor_b32 s13, exec_lo, s13
; %bb.2708:                             ;   in Loop: Header=BB12_2702 Depth=2
	v_bfe_u32 v6, v5, 16, 1
	s_delay_alu instid0(VALU_DEP_1)
	v_add3_u32 v42, v5, v6, 0x7fff
                                        ; implicit-def: $vgpr5
; %bb.2709:                             ;   in Loop: Header=BB12_2702 Depth=2
	s_and_not1_saveexec_b32 s13, s13
; %bb.2710:                             ;   in Loop: Header=BB12_2702 Depth=2
	v_and_b32_e32 v6, 0xffff, v5
	v_or_b32_e32 v7, 0x10000, v5
	s_delay_alu instid0(VALU_DEP_2) | instskip(NEXT) | instid1(VALU_DEP_2)
	v_cmp_eq_u32_e32 vcc_lo, 0, v6
	v_cndmask_b32_e32 v42, v7, v5, vcc_lo
; %bb.2711:                             ;   in Loop: Header=BB12_2702 Depth=2
	s_or_b32 exec_lo, exec_lo, s13
	v_lshlrev_b32_e32 v5, 16, v116
	s_mov_b32 s13, exec_lo
                                        ; implicit-def: $vgpr118
	s_delay_alu instid0(VALU_DEP_1) | instskip(NEXT) | instid1(VALU_DEP_1)
	v_mul_f32_e32 v5, v15, v5
	v_and_b32_e32 v6, 0x7f800000, v5
	s_delay_alu instid0(VALU_DEP_1)
	v_cmpx_ne_u32_e32 0x7f800000, v6
	s_xor_b32 s13, exec_lo, s13
; %bb.2712:                             ;   in Loop: Header=BB12_2702 Depth=2
	v_bfe_u32 v6, v5, 16, 1
	s_delay_alu instid0(VALU_DEP_1)
	v_add3_u32 v118, v5, v6, 0x7fff
                                        ; implicit-def: $vgpr5
; %bb.2713:                             ;   in Loop: Header=BB12_2702 Depth=2
	s_and_not1_saveexec_b32 s13, s13
; %bb.2714:                             ;   in Loop: Header=BB12_2702 Depth=2
	v_and_b32_e32 v6, 0xffff, v5
	v_or_b32_e32 v7, 0x10000, v5
	s_delay_alu instid0(VALU_DEP_2) | instskip(NEXT) | instid1(VALU_DEP_2)
	v_cmp_eq_u32_e32 vcc_lo, 0, v6
	v_cndmask_b32_e32 v118, v7, v5, vcc_lo
; %bb.2715:                             ;   in Loop: Header=BB12_2702 Depth=2
	s_or_b32 exec_lo, exec_lo, s13
	v_lshlrev_b32_e32 v5, 16, v114
	s_mov_b32 s13, exec_lo
                                        ; implicit-def: $vgpr116
	s_delay_alu instid0(VALU_DEP_1) | instskip(NEXT) | instid1(VALU_DEP_1)
	v_mul_f32_e32 v5, v15, v5
	v_and_b32_e32 v6, 0x7f800000, v5
	s_delay_alu instid0(VALU_DEP_1)
	v_cmpx_ne_u32_e32 0x7f800000, v6
	s_xor_b32 s13, exec_lo, s13
; %bb.2716:                             ;   in Loop: Header=BB12_2702 Depth=2
	v_bfe_u32 v6, v5, 16, 1
	s_delay_alu instid0(VALU_DEP_1)
	v_add3_u32 v116, v5, v6, 0x7fff
                                        ; implicit-def: $vgpr5
; %bb.2717:                             ;   in Loop: Header=BB12_2702 Depth=2
	s_and_not1_saveexec_b32 s13, s13
; %bb.2718:                             ;   in Loop: Header=BB12_2702 Depth=2
	v_and_b32_e32 v6, 0xffff, v5
	v_or_b32_e32 v7, 0x10000, v5
	s_delay_alu instid0(VALU_DEP_2) | instskip(NEXT) | instid1(VALU_DEP_2)
	v_cmp_eq_u32_e32 vcc_lo, 0, v6
	v_cndmask_b32_e32 v116, v7, v5, vcc_lo
; %bb.2719:                             ;   in Loop: Header=BB12_2702 Depth=2
	s_or_b32 exec_lo, exec_lo, s13
	v_lshlrev_b32_e32 v5, 16, v112
	s_mov_b32 s13, exec_lo
                                        ; implicit-def: $vgpr114
	s_delay_alu instid0(VALU_DEP_1) | instskip(NEXT) | instid1(VALU_DEP_1)
	v_mul_f32_e32 v5, v15, v5
	v_and_b32_e32 v6, 0x7f800000, v5
	s_delay_alu instid0(VALU_DEP_1)
	v_cmpx_ne_u32_e32 0x7f800000, v6
	s_xor_b32 s13, exec_lo, s13
; %bb.2720:                             ;   in Loop: Header=BB12_2702 Depth=2
	v_bfe_u32 v6, v5, 16, 1
	s_delay_alu instid0(VALU_DEP_1)
	v_add3_u32 v114, v5, v6, 0x7fff
                                        ; implicit-def: $vgpr5
; %bb.2721:                             ;   in Loop: Header=BB12_2702 Depth=2
	s_and_not1_saveexec_b32 s13, s13
; %bb.2722:                             ;   in Loop: Header=BB12_2702 Depth=2
	v_and_b32_e32 v6, 0xffff, v5
	v_or_b32_e32 v7, 0x10000, v5
	s_delay_alu instid0(VALU_DEP_2) | instskip(NEXT) | instid1(VALU_DEP_2)
	v_cmp_eq_u32_e32 vcc_lo, 0, v6
	v_cndmask_b32_e32 v114, v7, v5, vcc_lo
; %bb.2723:                             ;   in Loop: Header=BB12_2702 Depth=2
	s_or_b32 exec_lo, exec_lo, s13
	v_lshlrev_b32_e32 v5, 16, v102
	s_mov_b32 s13, exec_lo
                                        ; implicit-def: $vgpr112
	s_delay_alu instid0(VALU_DEP_1) | instskip(NEXT) | instid1(VALU_DEP_1)
	v_mul_f32_e32 v5, v15, v5
	v_and_b32_e32 v6, 0x7f800000, v5
	s_delay_alu instid0(VALU_DEP_1)
	v_cmpx_ne_u32_e32 0x7f800000, v6
	s_xor_b32 s13, exec_lo, s13
; %bb.2724:                             ;   in Loop: Header=BB12_2702 Depth=2
	v_bfe_u32 v6, v5, 16, 1
	s_delay_alu instid0(VALU_DEP_1)
	v_add3_u32 v112, v5, v6, 0x7fff
                                        ; implicit-def: $vgpr5
; %bb.2725:                             ;   in Loop: Header=BB12_2702 Depth=2
	s_and_not1_saveexec_b32 s13, s13
; %bb.2726:                             ;   in Loop: Header=BB12_2702 Depth=2
	v_and_b32_e32 v6, 0xffff, v5
	v_or_b32_e32 v7, 0x10000, v5
	s_delay_alu instid0(VALU_DEP_2) | instskip(NEXT) | instid1(VALU_DEP_2)
	v_cmp_eq_u32_e32 vcc_lo, 0, v6
	v_cndmask_b32_e32 v112, v7, v5, vcc_lo
; %bb.2727:                             ;   in Loop: Header=BB12_2702 Depth=2
	s_or_b32 exec_lo, exec_lo, s13
	v_lshlrev_b32_e32 v1, 16, v1
	s_mov_b32 s13, exec_lo
                                        ; implicit-def: $vgpr102
	s_delay_alu instid0(VALU_DEP_1) | instskip(NEXT) | instid1(VALU_DEP_1)
	v_mul_f32_e32 v1, v15, v1
	v_and_b32_e32 v5, 0x7f800000, v1
	s_delay_alu instid0(VALU_DEP_1)
	v_cmpx_ne_u32_e32 0x7f800000, v5
	s_xor_b32 s13, exec_lo, s13
; %bb.2728:                             ;   in Loop: Header=BB12_2702 Depth=2
	v_bfe_u32 v5, v1, 16, 1
	s_delay_alu instid0(VALU_DEP_1)
	v_add3_u32 v102, v1, v5, 0x7fff
                                        ; implicit-def: $vgpr1
; %bb.2729:                             ;   in Loop: Header=BB12_2702 Depth=2
	s_and_not1_saveexec_b32 s13, s13
; %bb.2730:                             ;   in Loop: Header=BB12_2702 Depth=2
	v_and_b32_e32 v5, 0xffff, v1
	v_or_b32_e32 v6, 0x10000, v1
	s_delay_alu instid0(VALU_DEP_2) | instskip(NEXT) | instid1(VALU_DEP_2)
	v_cmp_eq_u32_e32 vcc_lo, 0, v5
	v_cndmask_b32_e32 v102, v6, v1, vcc_lo
; %bb.2731:                             ;   in Loop: Header=BB12_2702 Depth=2
	s_or_b32 exec_lo, exec_lo, s13
	v_lshlrev_b32_e32 v1, 16, v100
	s_mov_b32 s13, exec_lo
                                        ; implicit-def: $vgpr100
	s_delay_alu instid0(VALU_DEP_1) | instskip(NEXT) | instid1(VALU_DEP_1)
	v_mul_f32_e32 v1, v15, v1
	v_and_b32_e32 v5, 0x7f800000, v1
	s_delay_alu instid0(VALU_DEP_1)
	v_cmpx_ne_u32_e32 0x7f800000, v5
	s_xor_b32 s13, exec_lo, s13
; %bb.2732:                             ;   in Loop: Header=BB12_2702 Depth=2
	v_bfe_u32 v5, v1, 16, 1
	s_delay_alu instid0(VALU_DEP_1)
	v_add3_u32 v100, v1, v5, 0x7fff
                                        ; implicit-def: $vgpr1
; %bb.2733:                             ;   in Loop: Header=BB12_2702 Depth=2
	s_and_not1_saveexec_b32 s13, s13
; %bb.2734:                             ;   in Loop: Header=BB12_2702 Depth=2
	v_and_b32_e32 v5, 0xffff, v1
	v_or_b32_e32 v6, 0x10000, v1
	s_delay_alu instid0(VALU_DEP_2) | instskip(NEXT) | instid1(VALU_DEP_2)
	v_cmp_eq_u32_e32 vcc_lo, 0, v5
	v_cndmask_b32_e32 v100, v6, v1, vcc_lo
; %bb.2735:                             ;   in Loop: Header=BB12_2702 Depth=2
	s_or_b32 exec_lo, exec_lo, s13
	v_lshlrev_b32_e32 v1, 16, v98
	s_mov_b32 s13, exec_lo
                                        ; implicit-def: $vgpr98
	s_delay_alu instid0(VALU_DEP_1) | instskip(NEXT) | instid1(VALU_DEP_1)
	v_mul_f32_e32 v1, v15, v1
	v_and_b32_e32 v5, 0x7f800000, v1
	s_delay_alu instid0(VALU_DEP_1)
	v_cmpx_ne_u32_e32 0x7f800000, v5
	s_xor_b32 s13, exec_lo, s13
; %bb.2736:                             ;   in Loop: Header=BB12_2702 Depth=2
	v_bfe_u32 v5, v1, 16, 1
	s_delay_alu instid0(VALU_DEP_1)
	v_add3_u32 v98, v1, v5, 0x7fff
                                        ; implicit-def: $vgpr1
; %bb.2737:                             ;   in Loop: Header=BB12_2702 Depth=2
	s_and_not1_saveexec_b32 s13, s13
; %bb.2738:                             ;   in Loop: Header=BB12_2702 Depth=2
	v_and_b32_e32 v5, 0xffff, v1
	v_or_b32_e32 v6, 0x10000, v1
	s_delay_alu instid0(VALU_DEP_2) | instskip(NEXT) | instid1(VALU_DEP_2)
	v_cmp_eq_u32_e32 vcc_lo, 0, v5
	v_cndmask_b32_e32 v98, v6, v1, vcc_lo
; %bb.2739:                             ;   in Loop: Header=BB12_2702 Depth=2
	s_or_b32 exec_lo, exec_lo, s13
	v_lshlrev_b32_e32 v1, 16, v96
	s_mov_b32 s13, exec_lo
                                        ; implicit-def: $vgpr96
	s_delay_alu instid0(VALU_DEP_1) | instskip(NEXT) | instid1(VALU_DEP_1)
	v_mul_f32_e32 v1, v15, v1
	v_and_b32_e32 v5, 0x7f800000, v1
	s_delay_alu instid0(VALU_DEP_1)
	v_cmpx_ne_u32_e32 0x7f800000, v5
	s_xor_b32 s13, exec_lo, s13
; %bb.2740:                             ;   in Loop: Header=BB12_2702 Depth=2
	v_bfe_u32 v5, v1, 16, 1
	s_delay_alu instid0(VALU_DEP_1)
	v_add3_u32 v96, v1, v5, 0x7fff
                                        ; implicit-def: $vgpr1
; %bb.2741:                             ;   in Loop: Header=BB12_2702 Depth=2
	s_and_not1_saveexec_b32 s13, s13
; %bb.2742:                             ;   in Loop: Header=BB12_2702 Depth=2
	v_and_b32_e32 v5, 0xffff, v1
	v_or_b32_e32 v6, 0x10000, v1
	s_delay_alu instid0(VALU_DEP_2) | instskip(NEXT) | instid1(VALU_DEP_2)
	v_cmp_eq_u32_e32 vcc_lo, 0, v5
	v_cndmask_b32_e32 v96, v6, v1, vcc_lo
; %bb.2743:                             ;   in Loop: Header=BB12_2702 Depth=2
	s_or_b32 exec_lo, exec_lo, s13
	v_lshlrev_b32_e32 v1, 16, v86
	s_mov_b32 s13, exec_lo
                                        ; implicit-def: $vgpr31
	s_delay_alu instid0(VALU_DEP_1) | instskip(NEXT) | instid1(VALU_DEP_1)
	v_mul_f32_e32 v1, v15, v1
	v_and_b32_e32 v5, 0x7f800000, v1
	s_delay_alu instid0(VALU_DEP_1)
	v_cmpx_ne_u32_e32 0x7f800000, v5
	s_xor_b32 s13, exec_lo, s13
; %bb.2744:                             ;   in Loop: Header=BB12_2702 Depth=2
	v_bfe_u32 v5, v1, 16, 1
	s_delay_alu instid0(VALU_DEP_1)
	v_add3_u32 v31, v1, v5, 0x7fff
                                        ; implicit-def: $vgpr1
; %bb.2745:                             ;   in Loop: Header=BB12_2702 Depth=2
	s_and_not1_saveexec_b32 s13, s13
; %bb.2746:                             ;   in Loop: Header=BB12_2702 Depth=2
	v_and_b32_e32 v5, 0xffff, v1
	v_or_b32_e32 v6, 0x10000, v1
	s_delay_alu instid0(VALU_DEP_2) | instskip(NEXT) | instid1(VALU_DEP_2)
	v_cmp_eq_u32_e32 vcc_lo, 0, v5
	v_cndmask_b32_e32 v31, v6, v1, vcc_lo
; %bb.2747:                             ;   in Loop: Header=BB12_2702 Depth=2
	s_or_b32 exec_lo, exec_lo, s13
	v_lshlrev_b32_e32 v1, 16, v84
	s_mov_b32 s13, exec_lo
                                        ; implicit-def: $vgpr17
	s_delay_alu instid0(VALU_DEP_1) | instskip(NEXT) | instid1(VALU_DEP_1)
	v_mul_f32_e32 v1, v15, v1
	v_and_b32_e32 v5, 0x7f800000, v1
	s_delay_alu instid0(VALU_DEP_1)
	v_cmpx_ne_u32_e32 0x7f800000, v5
	s_xor_b32 s13, exec_lo, s13
; %bb.2748:                             ;   in Loop: Header=BB12_2702 Depth=2
	v_bfe_u32 v5, v1, 16, 1
	s_delay_alu instid0(VALU_DEP_1)
	v_add3_u32 v17, v1, v5, 0x7fff
                                        ; implicit-def: $vgpr1
; %bb.2749:                             ;   in Loop: Header=BB12_2702 Depth=2
	s_and_not1_saveexec_b32 s13, s13
; %bb.2750:                             ;   in Loop: Header=BB12_2702 Depth=2
	v_and_b32_e32 v5, 0xffff, v1
	v_or_b32_e32 v6, 0x10000, v1
	s_delay_alu instid0(VALU_DEP_2) | instskip(NEXT) | instid1(VALU_DEP_2)
	v_cmp_eq_u32_e32 vcc_lo, 0, v5
	v_cndmask_b32_e32 v17, v6, v1, vcc_lo
; %bb.2751:                             ;   in Loop: Header=BB12_2702 Depth=2
	s_or_b32 exec_lo, exec_lo, s13
	v_lshlrev_b32_e32 v1, 16, v82
	s_mov_b32 s13, exec_lo
                                        ; implicit-def: $vgpr16
	s_delay_alu instid0(VALU_DEP_1) | instskip(NEXT) | instid1(VALU_DEP_1)
	v_mul_f32_e32 v1, v15, v1
	v_and_b32_e32 v5, 0x7f800000, v1
	s_delay_alu instid0(VALU_DEP_1)
	v_cmpx_ne_u32_e32 0x7f800000, v5
	s_xor_b32 s13, exec_lo, s13
; %bb.2752:                             ;   in Loop: Header=BB12_2702 Depth=2
	v_bfe_u32 v5, v1, 16, 1
	s_delay_alu instid0(VALU_DEP_1)
	v_add3_u32 v16, v1, v5, 0x7fff
                                        ; implicit-def: $vgpr1
; %bb.2753:                             ;   in Loop: Header=BB12_2702 Depth=2
	s_and_not1_saveexec_b32 s13, s13
; %bb.2754:                             ;   in Loop: Header=BB12_2702 Depth=2
	v_and_b32_e32 v5, 0xffff, v1
	v_or_b32_e32 v6, 0x10000, v1
	s_delay_alu instid0(VALU_DEP_2) | instskip(NEXT) | instid1(VALU_DEP_2)
	v_cmp_eq_u32_e32 vcc_lo, 0, v5
	v_cndmask_b32_e32 v16, v6, v1, vcc_lo
; %bb.2755:                             ;   in Loop: Header=BB12_2702 Depth=2
	s_or_b32 exec_lo, exec_lo, s13
	v_lshlrev_b32_e32 v1, 16, v80
	s_mov_b32 s13, exec_lo
                                        ; implicit-def: $vgpr14
	s_delay_alu instid0(VALU_DEP_1) | instskip(NEXT) | instid1(VALU_DEP_1)
	v_mul_f32_e32 v1, v15, v1
	v_and_b32_e32 v5, 0x7f800000, v1
	s_delay_alu instid0(VALU_DEP_1)
	v_cmpx_ne_u32_e32 0x7f800000, v5
	s_xor_b32 s13, exec_lo, s13
; %bb.2756:                             ;   in Loop: Header=BB12_2702 Depth=2
	v_bfe_u32 v5, v1, 16, 1
	s_delay_alu instid0(VALU_DEP_1)
	v_add3_u32 v14, v1, v5, 0x7fff
                                        ; implicit-def: $vgpr1
; %bb.2757:                             ;   in Loop: Header=BB12_2702 Depth=2
	s_and_not1_saveexec_b32 s13, s13
; %bb.2758:                             ;   in Loop: Header=BB12_2702 Depth=2
	v_and_b32_e32 v5, 0xffff, v1
	v_or_b32_e32 v6, 0x10000, v1
	s_delay_alu instid0(VALU_DEP_2) | instskip(NEXT) | instid1(VALU_DEP_2)
	v_cmp_eq_u32_e32 vcc_lo, 0, v5
	v_cndmask_b32_e32 v14, v6, v1, vcc_lo
; %bb.2759:                             ;   in Loop: Header=BB12_2702 Depth=2
	s_or_b32 exec_lo, exec_lo, s13
	v_lshlrev_b32_e32 v1, 16, v70
	s_delay_alu instid0(VALU_DEP_1) | instskip(NEXT) | instid1(VALU_DEP_1)
	v_mul_f32_e32 v1, v15, v1
	v_and_b32_e32 v5, 0x7f800000, v1
	s_delay_alu instid0(VALU_DEP_1) | instskip(SKIP_1) | instid1(SALU_CYCLE_1)
	v_cmp_ne_u32_e32 vcc_lo, 0x7f800000, v5
                                        ; implicit-def: $vgpr5
	s_and_saveexec_b32 s13, vcc_lo
	s_xor_b32 s13, exec_lo, s13
; %bb.2760:                             ;   in Loop: Header=BB12_2702 Depth=2
	v_bfe_u32 v5, v1, 16, 1
	s_delay_alu instid0(VALU_DEP_1)
	v_add3_u32 v5, v1, v5, 0x7fff
                                        ; implicit-def: $vgpr1
; %bb.2761:                             ;   in Loop: Header=BB12_2702 Depth=2
	s_and_not1_saveexec_b32 s13, s13
; %bb.2762:                             ;   in Loop: Header=BB12_2702 Depth=2
	v_and_b32_e32 v5, 0xffff, v1
	v_or_b32_e32 v6, 0x10000, v1
	s_delay_alu instid0(VALU_DEP_2) | instskip(NEXT) | instid1(VALU_DEP_2)
	v_cmp_eq_u32_e32 vcc_lo, 0, v5
	v_cndmask_b32_e32 v5, v6, v1, vcc_lo
; %bb.2763:                             ;   in Loop: Header=BB12_2702 Depth=2
	s_or_b32 exec_lo, exec_lo, s13
	v_lshlrev_b32_e32 v1, 16, v69
	s_delay_alu instid0(VALU_DEP_1) | instskip(NEXT) | instid1(VALU_DEP_1)
	v_mul_f32_e32 v6, v15, v1
	v_and_b32_e32 v1, 0x7f800000, v6
	s_delay_alu instid0(VALU_DEP_1) | instskip(SKIP_1) | instid1(SALU_CYCLE_1)
	v_cmp_ne_u32_e32 vcc_lo, 0x7f800000, v1
                                        ; implicit-def: $vgpr1
	s_and_saveexec_b32 s13, vcc_lo
	s_xor_b32 s13, exec_lo, s13
; %bb.2764:                             ;   in Loop: Header=BB12_2702 Depth=2
	v_bfe_u32 v1, v6, 16, 1
	s_delay_alu instid0(VALU_DEP_1)
	v_add3_u32 v1, v6, v1, 0x7fff
                                        ; implicit-def: $vgpr6
; %bb.2765:                             ;   in Loop: Header=BB12_2702 Depth=2
	s_and_not1_saveexec_b32 s13, s13
; %bb.2766:                             ;   in Loop: Header=BB12_2702 Depth=2
	v_and_b32_e32 v1, 0xffff, v6
	v_or_b32_e32 v7, 0x10000, v6
	s_delay_alu instid0(VALU_DEP_2) | instskip(NEXT) | instid1(VALU_DEP_2)
	v_cmp_eq_u32_e32 vcc_lo, 0, v1
	v_cndmask_b32_e32 v1, v7, v6, vcc_lo
; %bb.2767:                             ;   in Loop: Header=BB12_2702 Depth=2
	s_or_b32 exec_lo, exec_lo, s13
	v_and_b32_e32 v4, 0xffff0000, v4
	v_lshlrev_b32_e32 v6, 16, v21
	s_delay_alu instid0(VALU_DEP_1) | instskip(NEXT) | instid1(VALU_DEP_1)
	v_add_f32_e32 v6, v6, v4
	v_and_b32_e32 v4, 0x7f800000, v6
	s_delay_alu instid0(VALU_DEP_1) | instskip(SKIP_1) | instid1(SALU_CYCLE_1)
	v_cmp_ne_u32_e32 vcc_lo, 0x7f800000, v4
                                        ; implicit-def: $vgpr4
	s_and_saveexec_b32 s13, vcc_lo
	s_xor_b32 s13, exec_lo, s13
; %bb.2768:                             ;   in Loop: Header=BB12_2702 Depth=2
	v_bfe_u32 v4, v6, 16, 1
	s_delay_alu instid0(VALU_DEP_1)
	v_add3_u32 v4, v6, v4, 0x7fff
                                        ; implicit-def: $vgpr6
; %bb.2769:                             ;   in Loop: Header=BB12_2702 Depth=2
	s_and_not1_saveexec_b32 s13, s13
; %bb.2770:                             ;   in Loop: Header=BB12_2702 Depth=2
	v_and_b32_e32 v4, 0xffff, v6
	v_or_b32_e32 v7, 0x10000, v6
	s_delay_alu instid0(VALU_DEP_2) | instskip(NEXT) | instid1(VALU_DEP_2)
	v_cmp_eq_u32_e32 vcc_lo, 0, v4
	v_cndmask_b32_e32 v4, v7, v6, vcc_lo
; %bb.2771:                             ;   in Loop: Header=BB12_2702 Depth=2
	s_or_b32 exec_lo, exec_lo, s13
	v_and_b32_e32 v6, 0xffff0000, v42
	v_lshlrev_b32_e32 v7, 16, v22
	s_mov_b32 s13, exec_lo
                                        ; implicit-def: $vgpr15
	s_delay_alu instid0(VALU_DEP_1) | instskip(NEXT) | instid1(VALU_DEP_1)
	v_add_f32_e32 v6, v7, v6
	v_and_b32_e32 v7, 0x7f800000, v6
	s_delay_alu instid0(VALU_DEP_1)
	v_cmpx_ne_u32_e32 0x7f800000, v7
	s_xor_b32 s13, exec_lo, s13
; %bb.2772:                             ;   in Loop: Header=BB12_2702 Depth=2
	v_bfe_u32 v7, v6, 16, 1
	s_delay_alu instid0(VALU_DEP_1)
	v_add3_u32 v15, v6, v7, 0x7fff
                                        ; implicit-def: $vgpr6
; %bb.2773:                             ;   in Loop: Header=BB12_2702 Depth=2
	s_and_not1_saveexec_b32 s13, s13
; %bb.2774:                             ;   in Loop: Header=BB12_2702 Depth=2
	v_and_b32_e32 v7, 0xffff, v6
	v_or_b32_e32 v8, 0x10000, v6
	s_delay_alu instid0(VALU_DEP_2) | instskip(NEXT) | instid1(VALU_DEP_2)
	v_cmp_eq_u32_e32 vcc_lo, 0, v7
	v_cndmask_b32_e32 v15, v8, v6, vcc_lo
; %bb.2775:                             ;   in Loop: Header=BB12_2702 Depth=2
	s_or_b32 exec_lo, exec_lo, s13
	v_and_b32_e32 v6, 0xffff0000, v118
	v_lshlrev_b32_e32 v7, 16, v23
	s_mov_b32 s13, exec_lo
                                        ; implicit-def: $vgpr69
	s_delay_alu instid0(VALU_DEP_1) | instskip(NEXT) | instid1(VALU_DEP_1)
	v_add_f32_e32 v6, v7, v6
	v_and_b32_e32 v7, 0x7f800000, v6
	s_delay_alu instid0(VALU_DEP_1)
	v_cmpx_ne_u32_e32 0x7f800000, v7
	s_xor_b32 s13, exec_lo, s13
; %bb.2776:                             ;   in Loop: Header=BB12_2702 Depth=2
	v_bfe_u32 v7, v6, 16, 1
	s_delay_alu instid0(VALU_DEP_1)
	v_add3_u32 v69, v6, v7, 0x7fff
                                        ; implicit-def: $vgpr6
; %bb.2777:                             ;   in Loop: Header=BB12_2702 Depth=2
	s_and_not1_saveexec_b32 s13, s13
; %bb.2778:                             ;   in Loop: Header=BB12_2702 Depth=2
	v_and_b32_e32 v7, 0xffff, v6
	v_or_b32_e32 v8, 0x10000, v6
	s_delay_alu instid0(VALU_DEP_2) | instskip(NEXT) | instid1(VALU_DEP_2)
	v_cmp_eq_u32_e32 vcc_lo, 0, v7
	v_cndmask_b32_e32 v69, v8, v6, vcc_lo
; %bb.2779:                             ;   in Loop: Header=BB12_2702 Depth=2
	s_or_b32 exec_lo, exec_lo, s13
	v_and_b32_e32 v6, 0xffff0000, v116
	v_lshlrev_b32_e32 v7, 16, v24
	s_mov_b32 s13, exec_lo
                                        ; implicit-def: $vgpr58
	s_delay_alu instid0(VALU_DEP_1) | instskip(NEXT) | instid1(VALU_DEP_1)
	v_add_f32_e32 v6, v7, v6
	v_and_b32_e32 v7, 0x7f800000, v6
	s_delay_alu instid0(VALU_DEP_1)
	v_cmpx_ne_u32_e32 0x7f800000, v7
	s_xor_b32 s13, exec_lo, s13
; %bb.2780:                             ;   in Loop: Header=BB12_2702 Depth=2
	v_bfe_u32 v7, v6, 16, 1
	s_delay_alu instid0(VALU_DEP_1)
	v_add3_u32 v58, v6, v7, 0x7fff
                                        ; implicit-def: $vgpr6
; %bb.2781:                             ;   in Loop: Header=BB12_2702 Depth=2
	s_and_not1_saveexec_b32 s13, s13
; %bb.2782:                             ;   in Loop: Header=BB12_2702 Depth=2
	v_and_b32_e32 v7, 0xffff, v6
	v_or_b32_e32 v8, 0x10000, v6
	s_delay_alu instid0(VALU_DEP_2) | instskip(NEXT) | instid1(VALU_DEP_2)
	v_cmp_eq_u32_e32 vcc_lo, 0, v7
	v_cndmask_b32_e32 v58, v8, v6, vcc_lo
; %bb.2783:                             ;   in Loop: Header=BB12_2702 Depth=2
	s_or_b32 exec_lo, exec_lo, s13
	v_and_b32_e32 v6, 0xffff0000, v114
	v_lshlrev_b32_e32 v7, 16, v25
	s_mov_b32 s13, exec_lo
                                        ; implicit-def: $vgpr114
	s_delay_alu instid0(VALU_DEP_1) | instskip(NEXT) | instid1(VALU_DEP_1)
	v_add_f32_e32 v6, v7, v6
	v_and_b32_e32 v7, 0x7f800000, v6
	s_delay_alu instid0(VALU_DEP_1)
	v_cmpx_ne_u32_e32 0x7f800000, v7
	s_xor_b32 s13, exec_lo, s13
; %bb.2784:                             ;   in Loop: Header=BB12_2702 Depth=2
	v_bfe_u32 v7, v6, 16, 1
	s_delay_alu instid0(VALU_DEP_1)
	v_add3_u32 v114, v6, v7, 0x7fff
                                        ; implicit-def: $vgpr6
; %bb.2785:                             ;   in Loop: Header=BB12_2702 Depth=2
	s_and_not1_saveexec_b32 s13, s13
; %bb.2786:                             ;   in Loop: Header=BB12_2702 Depth=2
	v_and_b32_e32 v7, 0xffff, v6
	v_or_b32_e32 v8, 0x10000, v6
	s_delay_alu instid0(VALU_DEP_2) | instskip(NEXT) | instid1(VALU_DEP_2)
	v_cmp_eq_u32_e32 vcc_lo, 0, v7
	v_cndmask_b32_e32 v114, v8, v6, vcc_lo
; %bb.2787:                             ;   in Loop: Header=BB12_2702 Depth=2
	s_or_b32 exec_lo, exec_lo, s13
	v_and_b32_e32 v6, 0xffff0000, v112
	v_lshlrev_b32_e32 v7, 16, v26
	s_mov_b32 s13, exec_lo
                                        ; implicit-def: $vgpr112
	s_delay_alu instid0(VALU_DEP_1) | instskip(NEXT) | instid1(VALU_DEP_1)
	v_add_f32_e32 v6, v7, v6
	v_and_b32_e32 v7, 0x7f800000, v6
	s_delay_alu instid0(VALU_DEP_1)
	v_cmpx_ne_u32_e32 0x7f800000, v7
	s_xor_b32 s13, exec_lo, s13
; %bb.2788:                             ;   in Loop: Header=BB12_2702 Depth=2
	v_bfe_u32 v7, v6, 16, 1
	s_delay_alu instid0(VALU_DEP_1)
	v_add3_u32 v112, v6, v7, 0x7fff
                                        ; implicit-def: $vgpr6
; %bb.2789:                             ;   in Loop: Header=BB12_2702 Depth=2
	s_and_not1_saveexec_b32 s13, s13
; %bb.2790:                             ;   in Loop: Header=BB12_2702 Depth=2
	v_and_b32_e32 v7, 0xffff, v6
	v_or_b32_e32 v8, 0x10000, v6
	s_delay_alu instid0(VALU_DEP_2) | instskip(NEXT) | instid1(VALU_DEP_2)
	v_cmp_eq_u32_e32 vcc_lo, 0, v7
	v_cndmask_b32_e32 v112, v8, v6, vcc_lo
; %bb.2791:                             ;   in Loop: Header=BB12_2702 Depth=2
	s_or_b32 exec_lo, exec_lo, s13
	v_and_b32_e32 v6, 0xffff0000, v102
	v_lshlrev_b32_e32 v7, 16, v27
	s_mov_b32 s13, exec_lo
                                        ; implicit-def: $vgpr102
	s_delay_alu instid0(VALU_DEP_1) | instskip(NEXT) | instid1(VALU_DEP_1)
	v_add_f32_e32 v6, v7, v6
	v_and_b32_e32 v7, 0x7f800000, v6
	s_delay_alu instid0(VALU_DEP_1)
	v_cmpx_ne_u32_e32 0x7f800000, v7
	s_xor_b32 s13, exec_lo, s13
; %bb.2792:                             ;   in Loop: Header=BB12_2702 Depth=2
	v_bfe_u32 v7, v6, 16, 1
	s_delay_alu instid0(VALU_DEP_1)
	v_add3_u32 v102, v6, v7, 0x7fff
                                        ; implicit-def: $vgpr6
; %bb.2793:                             ;   in Loop: Header=BB12_2702 Depth=2
	s_and_not1_saveexec_b32 s13, s13
; %bb.2794:                             ;   in Loop: Header=BB12_2702 Depth=2
	v_and_b32_e32 v7, 0xffff, v6
	v_or_b32_e32 v8, 0x10000, v6
	s_delay_alu instid0(VALU_DEP_2) | instskip(NEXT) | instid1(VALU_DEP_2)
	v_cmp_eq_u32_e32 vcc_lo, 0, v7
	v_cndmask_b32_e32 v102, v8, v6, vcc_lo
; %bb.2795:                             ;   in Loop: Header=BB12_2702 Depth=2
	s_or_b32 exec_lo, exec_lo, s13
	v_and_b32_e32 v6, 0xffff0000, v100
	v_lshlrev_b32_e32 v7, 16, v28
	s_mov_b32 s13, exec_lo
                                        ; implicit-def: $vgpr100
	s_delay_alu instid0(VALU_DEP_1) | instskip(NEXT) | instid1(VALU_DEP_1)
	v_add_f32_e32 v6, v7, v6
	v_and_b32_e32 v7, 0x7f800000, v6
	s_delay_alu instid0(VALU_DEP_1)
	v_cmpx_ne_u32_e32 0x7f800000, v7
	s_xor_b32 s13, exec_lo, s13
; %bb.2796:                             ;   in Loop: Header=BB12_2702 Depth=2
	v_bfe_u32 v7, v6, 16, 1
	s_delay_alu instid0(VALU_DEP_1)
	v_add3_u32 v100, v6, v7, 0x7fff
                                        ; implicit-def: $vgpr6
; %bb.2797:                             ;   in Loop: Header=BB12_2702 Depth=2
	s_and_not1_saveexec_b32 s13, s13
; %bb.2798:                             ;   in Loop: Header=BB12_2702 Depth=2
	v_and_b32_e32 v7, 0xffff, v6
	v_or_b32_e32 v8, 0x10000, v6
	s_delay_alu instid0(VALU_DEP_2) | instskip(NEXT) | instid1(VALU_DEP_2)
	v_cmp_eq_u32_e32 vcc_lo, 0, v7
	v_cndmask_b32_e32 v100, v8, v6, vcc_lo
; %bb.2799:                             ;   in Loop: Header=BB12_2702 Depth=2
	s_or_b32 exec_lo, exec_lo, s13
	v_and_b32_e32 v6, 0xffff0000, v98
	v_lshlrev_b32_e32 v7, 16, v29
	s_mov_b32 s13, exec_lo
                                        ; implicit-def: $vgpr98
	s_delay_alu instid0(VALU_DEP_1) | instskip(NEXT) | instid1(VALU_DEP_1)
	v_add_f32_e32 v6, v7, v6
	v_and_b32_e32 v7, 0x7f800000, v6
	s_delay_alu instid0(VALU_DEP_1)
	v_cmpx_ne_u32_e32 0x7f800000, v7
	s_xor_b32 s13, exec_lo, s13
; %bb.2800:                             ;   in Loop: Header=BB12_2702 Depth=2
	v_bfe_u32 v7, v6, 16, 1
	s_delay_alu instid0(VALU_DEP_1)
	v_add3_u32 v98, v6, v7, 0x7fff
                                        ; implicit-def: $vgpr6
; %bb.2801:                             ;   in Loop: Header=BB12_2702 Depth=2
	s_and_not1_saveexec_b32 s13, s13
; %bb.2802:                             ;   in Loop: Header=BB12_2702 Depth=2
	v_and_b32_e32 v7, 0xffff, v6
	v_or_b32_e32 v8, 0x10000, v6
	s_delay_alu instid0(VALU_DEP_2) | instskip(NEXT) | instid1(VALU_DEP_2)
	v_cmp_eq_u32_e32 vcc_lo, 0, v7
	v_cndmask_b32_e32 v98, v8, v6, vcc_lo
; %bb.2803:                             ;   in Loop: Header=BB12_2702 Depth=2
	s_or_b32 exec_lo, exec_lo, s13
	v_and_b32_e32 v6, 0xffff0000, v96
	v_lshlrev_b32_e32 v7, 16, v32
	s_mov_b32 s13, exec_lo
                                        ; implicit-def: $vgpr96
	s_delay_alu instid0(VALU_DEP_1) | instskip(NEXT) | instid1(VALU_DEP_1)
	v_add_f32_e32 v6, v7, v6
	v_and_b32_e32 v7, 0x7f800000, v6
	s_delay_alu instid0(VALU_DEP_1)
	v_cmpx_ne_u32_e32 0x7f800000, v7
	s_xor_b32 s13, exec_lo, s13
; %bb.2804:                             ;   in Loop: Header=BB12_2702 Depth=2
	v_bfe_u32 v7, v6, 16, 1
	s_delay_alu instid0(VALU_DEP_1)
	v_add3_u32 v96, v6, v7, 0x7fff
                                        ; implicit-def: $vgpr6
; %bb.2805:                             ;   in Loop: Header=BB12_2702 Depth=2
	s_and_not1_saveexec_b32 s13, s13
; %bb.2806:                             ;   in Loop: Header=BB12_2702 Depth=2
	v_and_b32_e32 v7, 0xffff, v6
	v_or_b32_e32 v8, 0x10000, v6
	s_delay_alu instid0(VALU_DEP_2) | instskip(NEXT) | instid1(VALU_DEP_2)
	v_cmp_eq_u32_e32 vcc_lo, 0, v7
	v_cndmask_b32_e32 v96, v8, v6, vcc_lo
; %bb.2807:                             ;   in Loop: Header=BB12_2702 Depth=2
	s_or_b32 exec_lo, exec_lo, s13
	v_and_b32_e32 v6, 0xffff0000, v31
	v_lshlrev_b32_e32 v7, 16, v33
	s_mov_b32 s13, exec_lo
                                        ; implicit-def: $vgpr31
	s_delay_alu instid0(VALU_DEP_1) | instskip(NEXT) | instid1(VALU_DEP_1)
	v_add_f32_e32 v6, v7, v6
	v_and_b32_e32 v7, 0x7f800000, v6
	s_delay_alu instid0(VALU_DEP_1)
	v_cmpx_ne_u32_e32 0x7f800000, v7
	s_xor_b32 s13, exec_lo, s13
; %bb.2808:                             ;   in Loop: Header=BB12_2702 Depth=2
	v_bfe_u32 v7, v6, 16, 1
	s_delay_alu instid0(VALU_DEP_1)
	v_add3_u32 v31, v6, v7, 0x7fff
                                        ; implicit-def: $vgpr6
; %bb.2809:                             ;   in Loop: Header=BB12_2702 Depth=2
	s_and_not1_saveexec_b32 s13, s13
; %bb.2810:                             ;   in Loop: Header=BB12_2702 Depth=2
	v_and_b32_e32 v7, 0xffff, v6
	v_or_b32_e32 v8, 0x10000, v6
	s_delay_alu instid0(VALU_DEP_2) | instskip(NEXT) | instid1(VALU_DEP_2)
	v_cmp_eq_u32_e32 vcc_lo, 0, v7
	v_cndmask_b32_e32 v31, v8, v6, vcc_lo
; %bb.2811:                             ;   in Loop: Header=BB12_2702 Depth=2
	s_or_b32 exec_lo, exec_lo, s13
	v_and_b32_e32 v6, 0xffff0000, v17
	v_lshlrev_b32_e32 v7, 16, v34
	s_mov_b32 s13, exec_lo
                                        ; implicit-def: $vgpr17
	s_delay_alu instid0(VALU_DEP_1) | instskip(NEXT) | instid1(VALU_DEP_1)
	v_add_f32_e32 v6, v7, v6
	v_and_b32_e32 v7, 0x7f800000, v6
	s_delay_alu instid0(VALU_DEP_1)
	v_cmpx_ne_u32_e32 0x7f800000, v7
	s_xor_b32 s13, exec_lo, s13
; %bb.2812:                             ;   in Loop: Header=BB12_2702 Depth=2
	v_bfe_u32 v7, v6, 16, 1
	s_delay_alu instid0(VALU_DEP_1)
	v_add3_u32 v17, v6, v7, 0x7fff
                                        ; implicit-def: $vgpr6
; %bb.2813:                             ;   in Loop: Header=BB12_2702 Depth=2
	s_and_not1_saveexec_b32 s13, s13
; %bb.2814:                             ;   in Loop: Header=BB12_2702 Depth=2
	v_and_b32_e32 v7, 0xffff, v6
	v_or_b32_e32 v8, 0x10000, v6
	s_delay_alu instid0(VALU_DEP_2) | instskip(NEXT) | instid1(VALU_DEP_2)
	v_cmp_eq_u32_e32 vcc_lo, 0, v7
	v_cndmask_b32_e32 v17, v8, v6, vcc_lo
; %bb.2815:                             ;   in Loop: Header=BB12_2702 Depth=2
	s_or_b32 exec_lo, exec_lo, s13
	v_and_b32_e32 v6, 0xffff0000, v16
	v_lshlrev_b32_e32 v7, 16, v35
	s_delay_alu instid0(VALU_DEP_1) | instskip(NEXT) | instid1(VALU_DEP_1)
	v_add_f32_e32 v7, v7, v6
	v_and_b32_e32 v6, 0x7f800000, v7
	s_delay_alu instid0(VALU_DEP_1) | instskip(SKIP_1) | instid1(SALU_CYCLE_1)
	v_cmp_ne_u32_e32 vcc_lo, 0x7f800000, v6
                                        ; implicit-def: $vgpr6
	s_and_saveexec_b32 s13, vcc_lo
	s_xor_b32 s13, exec_lo, s13
; %bb.2816:                             ;   in Loop: Header=BB12_2702 Depth=2
	v_bfe_u32 v6, v7, 16, 1
	s_delay_alu instid0(VALU_DEP_1)
	v_add3_u32 v6, v7, v6, 0x7fff
                                        ; implicit-def: $vgpr7
; %bb.2817:                             ;   in Loop: Header=BB12_2702 Depth=2
	s_and_not1_saveexec_b32 s13, s13
; %bb.2818:                             ;   in Loop: Header=BB12_2702 Depth=2
	v_and_b32_e32 v6, 0xffff, v7
	v_or_b32_e32 v8, 0x10000, v7
	s_delay_alu instid0(VALU_DEP_2) | instskip(NEXT) | instid1(VALU_DEP_2)
	v_cmp_eq_u32_e32 vcc_lo, 0, v6
	v_cndmask_b32_e32 v6, v8, v7, vcc_lo
; %bb.2819:                             ;   in Loop: Header=BB12_2702 Depth=2
	s_or_b32 exec_lo, exec_lo, s13
	v_and_b32_e32 v7, 0xffff0000, v14
	v_lshlrev_b32_e32 v8, 16, v36
	s_delay_alu instid0(VALU_DEP_1) | instskip(NEXT) | instid1(VALU_DEP_1)
	v_add_f32_e32 v8, v8, v7
	v_and_b32_e32 v7, 0x7f800000, v8
	s_delay_alu instid0(VALU_DEP_1) | instskip(SKIP_1) | instid1(SALU_CYCLE_1)
	v_cmp_ne_u32_e32 vcc_lo, 0x7f800000, v7
                                        ; implicit-def: $vgpr7
	s_and_saveexec_b32 s13, vcc_lo
	s_xor_b32 s13, exec_lo, s13
; %bb.2820:                             ;   in Loop: Header=BB12_2702 Depth=2
	v_bfe_u32 v7, v8, 16, 1
	s_delay_alu instid0(VALU_DEP_1)
	v_add3_u32 v7, v8, v7, 0x7fff
                                        ; implicit-def: $vgpr8
; %bb.2821:                             ;   in Loop: Header=BB12_2702 Depth=2
	s_and_not1_saveexec_b32 s13, s13
; %bb.2822:                             ;   in Loop: Header=BB12_2702 Depth=2
	v_and_b32_e32 v7, 0xffff, v8
	v_or_b32_e32 v9, 0x10000, v8
	s_delay_alu instid0(VALU_DEP_2) | instskip(NEXT) | instid1(VALU_DEP_2)
	v_cmp_eq_u32_e32 vcc_lo, 0, v7
	v_cndmask_b32_e32 v7, v9, v8, vcc_lo
; %bb.2823:                             ;   in Loop: Header=BB12_2702 Depth=2
	s_or_b32 exec_lo, exec_lo, s13
	v_and_b32_e32 v5, 0xffff0000, v5
	v_lshlrev_b32_e32 v8, 16, v37
	s_delay_alu instid0(VALU_DEP_1) | instskip(NEXT) | instid1(VALU_DEP_1)
	v_add_f32_e32 v8, v8, v5
	v_and_b32_e32 v5, 0x7f800000, v8
	s_delay_alu instid0(VALU_DEP_1) | instskip(SKIP_1) | instid1(SALU_CYCLE_1)
	v_cmp_ne_u32_e32 vcc_lo, 0x7f800000, v5
                                        ; implicit-def: $vgpr5
	s_and_saveexec_b32 s13, vcc_lo
	s_xor_b32 s13, exec_lo, s13
; %bb.2824:                             ;   in Loop: Header=BB12_2702 Depth=2
	v_bfe_u32 v5, v8, 16, 1
	s_delay_alu instid0(VALU_DEP_1)
	v_add3_u32 v5, v8, v5, 0x7fff
                                        ; implicit-def: $vgpr8
; %bb.2825:                             ;   in Loop: Header=BB12_2702 Depth=2
	s_and_not1_saveexec_b32 s13, s13
; %bb.2826:                             ;   in Loop: Header=BB12_2702 Depth=2
	v_and_b32_e32 v5, 0xffff, v8
	v_or_b32_e32 v9, 0x10000, v8
	s_delay_alu instid0(VALU_DEP_2) | instskip(NEXT) | instid1(VALU_DEP_2)
	v_cmp_eq_u32_e32 vcc_lo, 0, v5
	v_cndmask_b32_e32 v5, v9, v8, vcc_lo
; %bb.2827:                             ;   in Loop: Header=BB12_2702 Depth=2
	s_or_b32 exec_lo, exec_lo, s13
	v_and_b32_e32 v1, 0xffff0000, v1
	v_lshlrev_b32_e32 v8, 16, v38
	s_delay_alu instid0(VALU_DEP_1) | instskip(NEXT) | instid1(VALU_DEP_1)
	v_add_f32_e32 v1, v8, v1
	v_and_b32_e32 v8, 0x7f800000, v1
	s_delay_alu instid0(VALU_DEP_1) | instskip(SKIP_1) | instid1(SALU_CYCLE_1)
	v_cmp_ne_u32_e32 vcc_lo, 0x7f800000, v8
                                        ; implicit-def: $vgpr8
	s_and_saveexec_b32 s13, vcc_lo
	s_xor_b32 s13, exec_lo, s13
; %bb.2828:                             ;   in Loop: Header=BB12_2702 Depth=2
	v_bfe_u32 v8, v1, 16, 1
	s_delay_alu instid0(VALU_DEP_1)
	v_add3_u32 v8, v1, v8, 0x7fff
                                        ; implicit-def: $vgpr1
; %bb.2829:                             ;   in Loop: Header=BB12_2702 Depth=2
	s_and_not1_saveexec_b32 s13, s13
; %bb.2830:                             ;   in Loop: Header=BB12_2702 Depth=2
	v_and_b32_e32 v8, 0xffff, v1
	v_or_b32_e32 v9, 0x10000, v1
	s_delay_alu instid0(VALU_DEP_2) | instskip(NEXT) | instid1(VALU_DEP_2)
	v_cmp_eq_u32_e32 vcc_lo, 0, v8
	v_cndmask_b32_e32 v8, v9, v1, vcc_lo
; %bb.2831:                             ;   in Loop: Header=BB12_2702 Depth=2
	s_or_b32 exec_lo, exec_lo, s13
	v_dual_lshrrev_b32 v1, 16, v102 :: v_dual_lshrrev_b32 v102, 16, v112
	v_dual_lshrrev_b32 v112, 16, v114 :: v_dual_lshrrev_b32 v42, 16, v4
	;; [unrolled: 1-line block ×8, first 2 shown]
	s_clause 0xf
	flat_store_b16 v[10:11], v42 th:TH_STORE_NT
	flat_store_b16 v[10:11], v118 offset:64 th:TH_STORE_NT
	flat_store_b16 v[10:11], v116 offset:128 th:TH_STORE_NT
	;; [unrolled: 1-line block ×15, first 2 shown]
	s_wait_xcnt 0x0
	v_add_nc_u64_e32 v[10:11], v[10:11], v[92:93]
.LBB12_2832:                            ;   in Loop: Header=BB12_2702 Depth=2
	s_or_b32 exec_lo, exec_lo, s26
	v_sub_nc_u32_e32 v39, v39, v62
	v_add_nc_u64_e32 v[2:3], v[2:3], v[92:93]
	v_add_nc_u64_e32 v[12:13], v[12:13], v[92:93]
	s_delay_alu instid0(VALU_DEP_3)
	v_cmp_lt_i32_e64 s13, 0, v39
	s_and_saveexec_b32 s26, s13
	s_cbranch_execz .LBB12_2834
; %bb.2833:                             ;   in Loop: Header=BB12_2702 Depth=2
	s_clause 0xf
	flat_load_u16 v42, v[2:3] th:TH_LOAD_NT
	flat_load_u16 v118, v[2:3] offset:64 th:TH_LOAD_NT
	flat_load_u16 v116, v[2:3] offset:128 th:TH_LOAD_NT
	;; [unrolled: 1-line block ×15, first 2 shown]
	s_clause 0xf
	flat_load_u16 v21, v[12:13] th:TH_LOAD_NT
	flat_load_u16 v22, v[12:13] offset:64 th:TH_LOAD_NT
	flat_load_u16 v23, v[12:13] offset:128 th:TH_LOAD_NT
	;; [unrolled: 1-line block ×15, first 2 shown]
	s_wait_xcnt 0x10
	v_add_nc_u64_e32 v[2:3], 0x400, v[2:3]
	s_wait_xcnt 0x0
	v_add_nc_u64_e32 v[12:13], 0x400, v[12:13]
.LBB12_2834:                            ;   in Loop: Header=BB12_2702 Depth=2
	s_or_b32 exec_lo, exec_lo, s26
	s_trap 2
	s_wait_loadcnt_dscnt 0x1414
	ds_load_b32 v4, v0
	s_wait_dscnt 0x0
	v_dual_lshlrev_b32 v14, 16, v121 :: v_dual_lshlrev_b32 v15, 16, v4
	s_delay_alu instid0(VALU_DEP_1) | instskip(NEXT) | instid1(VALU_DEP_1)
	v_mov_b32_e32 v4, v15
	v_pk_mul_f32 v[16:17], v[4:5], v[14:15]
	s_delay_alu instid0(VALU_DEP_1) | instskip(NEXT) | instid1(VALU_DEP_1)
	v_and_b32_e32 v4, 0x7f800000, v16
	v_cmp_ne_u32_e32 vcc_lo, 0x7f800000, v4
                                        ; implicit-def: $vgpr4
	s_and_saveexec_b32 s26, vcc_lo
	s_delay_alu instid0(SALU_CYCLE_1)
	s_xor_b32 s26, exec_lo, s26
; %bb.2835:                             ;   in Loop: Header=BB12_2702 Depth=2
	v_bfe_u32 v4, v16, 16, 1
	s_delay_alu instid0(VALU_DEP_1)
	v_add3_u32 v4, v16, v4, 0x7fff
                                        ; implicit-def: $vgpr16_vgpr17
; %bb.2836:                             ;   in Loop: Header=BB12_2702 Depth=2
	s_and_not1_saveexec_b32 s26, s26
; %bb.2837:                             ;   in Loop: Header=BB12_2702 Depth=2
	v_and_b32_e32 v4, 0xffff, v16
	v_or_b32_e32 v5, 0x10000, v16
	s_delay_alu instid0(VALU_DEP_2) | instskip(NEXT) | instid1(VALU_DEP_2)
	v_cmp_eq_u32_e32 vcc_lo, 0, v4
	v_cndmask_b32_e32 v4, v5, v16, vcc_lo
; %bb.2838:                             ;   in Loop: Header=BB12_2702 Depth=2
	s_or_b32 exec_lo, exec_lo, s26
	v_lshlrev_b32_e32 v5, 16, v120
	s_mov_b32 s26, exec_lo
                                        ; implicit-def: $vgpr58
	s_delay_alu instid0(VALU_DEP_1) | instskip(NEXT) | instid1(VALU_DEP_1)
	v_mul_f32_e32 v5, v15, v5
	v_and_b32_e32 v6, 0x7f800000, v5
	s_delay_alu instid0(VALU_DEP_1)
	v_cmpx_ne_u32_e32 0x7f800000, v6
	s_xor_b32 s26, exec_lo, s26
; %bb.2839:                             ;   in Loop: Header=BB12_2702 Depth=2
	v_bfe_u32 v6, v5, 16, 1
	s_delay_alu instid0(VALU_DEP_1)
	v_add3_u32 v58, v5, v6, 0x7fff
                                        ; implicit-def: $vgpr5
; %bb.2840:                             ;   in Loop: Header=BB12_2702 Depth=2
	s_and_not1_saveexec_b32 s26, s26
; %bb.2841:                             ;   in Loop: Header=BB12_2702 Depth=2
	v_and_b32_e32 v6, 0xffff, v5
	v_or_b32_e32 v7, 0x10000, v5
	s_delay_alu instid0(VALU_DEP_2) | instskip(NEXT) | instid1(VALU_DEP_2)
	v_cmp_eq_u32_e32 vcc_lo, 0, v6
	v_cndmask_b32_e32 v58, v7, v5, vcc_lo
; %bb.2842:                             ;   in Loop: Header=BB12_2702 Depth=2
	s_or_b32 exec_lo, exec_lo, s26
	v_lshlrev_b32_e32 v5, 16, v45
	s_mov_b32 s26, exec_lo
                                        ; implicit-def: $vgpr45
	s_delay_alu instid0(VALU_DEP_1) | instskip(NEXT) | instid1(VALU_DEP_1)
	v_mul_f32_e32 v5, v15, v5
	v_and_b32_e32 v6, 0x7f800000, v5
	s_delay_alu instid0(VALU_DEP_1)
	v_cmpx_ne_u32_e32 0x7f800000, v6
	s_xor_b32 s26, exec_lo, s26
; %bb.2843:                             ;   in Loop: Header=BB12_2702 Depth=2
	v_bfe_u32 v6, v5, 16, 1
	s_delay_alu instid0(VALU_DEP_1)
	v_add3_u32 v45, v5, v6, 0x7fff
                                        ; implicit-def: $vgpr5
; %bb.2844:                             ;   in Loop: Header=BB12_2702 Depth=2
	s_and_not1_saveexec_b32 s26, s26
; %bb.2845:                             ;   in Loop: Header=BB12_2702 Depth=2
	v_and_b32_e32 v6, 0xffff, v5
	v_or_b32_e32 v7, 0x10000, v5
	s_delay_alu instid0(VALU_DEP_2) | instskip(NEXT) | instid1(VALU_DEP_2)
	v_cmp_eq_u32_e32 vcc_lo, 0, v6
	v_cndmask_b32_e32 v45, v7, v5, vcc_lo
; %bb.2846:                             ;   in Loop: Header=BB12_2702 Depth=2
	s_or_b32 exec_lo, exec_lo, s26
	v_lshlrev_b32_e32 v5, 16, v44
	s_mov_b32 s26, exec_lo
                                        ; implicit-def: $vgpr44
	s_delay_alu instid0(VALU_DEP_1) | instskip(NEXT) | instid1(VALU_DEP_1)
	v_mul_f32_e32 v5, v15, v5
	v_and_b32_e32 v6, 0x7f800000, v5
	s_delay_alu instid0(VALU_DEP_1)
	v_cmpx_ne_u32_e32 0x7f800000, v6
	s_xor_b32 s26, exec_lo, s26
; %bb.2847:                             ;   in Loop: Header=BB12_2702 Depth=2
	v_bfe_u32 v6, v5, 16, 1
	s_delay_alu instid0(VALU_DEP_1)
	v_add3_u32 v44, v5, v6, 0x7fff
                                        ; implicit-def: $vgpr5
; %bb.2848:                             ;   in Loop: Header=BB12_2702 Depth=2
	s_and_not1_saveexec_b32 s26, s26
; %bb.2849:                             ;   in Loop: Header=BB12_2702 Depth=2
	v_and_b32_e32 v6, 0xffff, v5
	v_or_b32_e32 v7, 0x10000, v5
	s_delay_alu instid0(VALU_DEP_2) | instskip(NEXT) | instid1(VALU_DEP_2)
	v_cmp_eq_u32_e32 vcc_lo, 0, v6
	v_cndmask_b32_e32 v44, v7, v5, vcc_lo
; %bb.2850:                             ;   in Loop: Header=BB12_2702 Depth=2
	s_or_b32 exec_lo, exec_lo, s26
	v_lshlrev_b32_e32 v5, 16, v43
	s_mov_b32 s26, exec_lo
                                        ; implicit-def: $vgpr43
	s_delay_alu instid0(VALU_DEP_1) | instskip(NEXT) | instid1(VALU_DEP_1)
	v_mul_f32_e32 v5, v15, v5
	v_and_b32_e32 v6, 0x7f800000, v5
	s_delay_alu instid0(VALU_DEP_1)
	v_cmpx_ne_u32_e32 0x7f800000, v6
	s_xor_b32 s26, exec_lo, s26
; %bb.2851:                             ;   in Loop: Header=BB12_2702 Depth=2
	v_bfe_u32 v6, v5, 16, 1
	s_delay_alu instid0(VALU_DEP_1)
	v_add3_u32 v43, v5, v6, 0x7fff
                                        ; implicit-def: $vgpr5
; %bb.2852:                             ;   in Loop: Header=BB12_2702 Depth=2
	s_and_not1_saveexec_b32 s26, s26
; %bb.2853:                             ;   in Loop: Header=BB12_2702 Depth=2
	v_and_b32_e32 v6, 0xffff, v5
	v_or_b32_e32 v7, 0x10000, v5
	s_delay_alu instid0(VALU_DEP_2) | instskip(NEXT) | instid1(VALU_DEP_2)
	v_cmp_eq_u32_e32 vcc_lo, 0, v6
	v_cndmask_b32_e32 v43, v7, v5, vcc_lo
; %bb.2854:                             ;   in Loop: Header=BB12_2702 Depth=2
	s_or_b32 exec_lo, exec_lo, s26
	v_lshlrev_b32_e32 v5, 16, v119
	s_mov_b32 s26, exec_lo
                                        ; implicit-def: $vgpr119
	s_delay_alu instid0(VALU_DEP_1) | instskip(NEXT) | instid1(VALU_DEP_1)
	v_mul_f32_e32 v5, v15, v5
	v_and_b32_e32 v6, 0x7f800000, v5
	s_delay_alu instid0(VALU_DEP_1)
	v_cmpx_ne_u32_e32 0x7f800000, v6
	s_xor_b32 s26, exec_lo, s26
; %bb.2855:                             ;   in Loop: Header=BB12_2702 Depth=2
	v_bfe_u32 v6, v5, 16, 1
	s_delay_alu instid0(VALU_DEP_1)
	v_add3_u32 v119, v5, v6, 0x7fff
                                        ; implicit-def: $vgpr5
; %bb.2856:                             ;   in Loop: Header=BB12_2702 Depth=2
	s_and_not1_saveexec_b32 s26, s26
; %bb.2857:                             ;   in Loop: Header=BB12_2702 Depth=2
	v_and_b32_e32 v6, 0xffff, v5
	v_or_b32_e32 v7, 0x10000, v5
	s_delay_alu instid0(VALU_DEP_2) | instskip(NEXT) | instid1(VALU_DEP_2)
	v_cmp_eq_u32_e32 vcc_lo, 0, v6
	v_cndmask_b32_e32 v119, v7, v5, vcc_lo
; %bb.2858:                             ;   in Loop: Header=BB12_2702 Depth=2
	s_or_b32 exec_lo, exec_lo, s26
	v_lshlrev_b32_e32 v5, 16, v117
	s_mov_b32 s26, exec_lo
                                        ; implicit-def: $vgpr117
	s_delay_alu instid0(VALU_DEP_1) | instskip(NEXT) | instid1(VALU_DEP_1)
	v_mul_f32_e32 v5, v15, v5
	v_and_b32_e32 v6, 0x7f800000, v5
	s_delay_alu instid0(VALU_DEP_1)
	v_cmpx_ne_u32_e32 0x7f800000, v6
	s_xor_b32 s26, exec_lo, s26
; %bb.2859:                             ;   in Loop: Header=BB12_2702 Depth=2
	v_bfe_u32 v6, v5, 16, 1
	s_delay_alu instid0(VALU_DEP_1)
	v_add3_u32 v117, v5, v6, 0x7fff
                                        ; implicit-def: $vgpr5
; %bb.2860:                             ;   in Loop: Header=BB12_2702 Depth=2
	s_and_not1_saveexec_b32 s26, s26
; %bb.2861:                             ;   in Loop: Header=BB12_2702 Depth=2
	v_and_b32_e32 v6, 0xffff, v5
	v_or_b32_e32 v7, 0x10000, v5
	s_delay_alu instid0(VALU_DEP_2) | instskip(NEXT) | instid1(VALU_DEP_2)
	v_cmp_eq_u32_e32 vcc_lo, 0, v6
	v_cndmask_b32_e32 v117, v7, v5, vcc_lo
; %bb.2862:                             ;   in Loop: Header=BB12_2702 Depth=2
	s_or_b32 exec_lo, exec_lo, s26
	v_lshlrev_b32_e32 v5, 16, v115
	s_mov_b32 s26, exec_lo
                                        ; implicit-def: $vgpr115
	s_delay_alu instid0(VALU_DEP_1) | instskip(NEXT) | instid1(VALU_DEP_1)
	v_mul_f32_e32 v5, v15, v5
	v_and_b32_e32 v6, 0x7f800000, v5
	s_delay_alu instid0(VALU_DEP_1)
	v_cmpx_ne_u32_e32 0x7f800000, v6
	s_xor_b32 s26, exec_lo, s26
; %bb.2863:                             ;   in Loop: Header=BB12_2702 Depth=2
	v_bfe_u32 v6, v5, 16, 1
	s_delay_alu instid0(VALU_DEP_1)
	v_add3_u32 v115, v5, v6, 0x7fff
                                        ; implicit-def: $vgpr5
; %bb.2864:                             ;   in Loop: Header=BB12_2702 Depth=2
	s_and_not1_saveexec_b32 s26, s26
; %bb.2865:                             ;   in Loop: Header=BB12_2702 Depth=2
	v_and_b32_e32 v6, 0xffff, v5
	v_or_b32_e32 v7, 0x10000, v5
	s_delay_alu instid0(VALU_DEP_2) | instskip(NEXT) | instid1(VALU_DEP_2)
	v_cmp_eq_u32_e32 vcc_lo, 0, v6
	v_cndmask_b32_e32 v115, v7, v5, vcc_lo
; %bb.2866:                             ;   in Loop: Header=BB12_2702 Depth=2
	s_or_b32 exec_lo, exec_lo, s26
	v_lshlrev_b32_e32 v5, 16, v113
	s_mov_b32 s26, exec_lo
                                        ; implicit-def: $vgpr113
	s_delay_alu instid0(VALU_DEP_1) | instskip(NEXT) | instid1(VALU_DEP_1)
	v_mul_f32_e32 v5, v15, v5
	v_and_b32_e32 v6, 0x7f800000, v5
	s_delay_alu instid0(VALU_DEP_1)
	v_cmpx_ne_u32_e32 0x7f800000, v6
	s_xor_b32 s26, exec_lo, s26
; %bb.2867:                             ;   in Loop: Header=BB12_2702 Depth=2
	v_bfe_u32 v6, v5, 16, 1
	s_delay_alu instid0(VALU_DEP_1)
	v_add3_u32 v113, v5, v6, 0x7fff
                                        ; implicit-def: $vgpr5
; %bb.2868:                             ;   in Loop: Header=BB12_2702 Depth=2
	s_and_not1_saveexec_b32 s26, s26
; %bb.2869:                             ;   in Loop: Header=BB12_2702 Depth=2
	v_and_b32_e32 v6, 0xffff, v5
	v_or_b32_e32 v7, 0x10000, v5
	s_delay_alu instid0(VALU_DEP_2) | instskip(NEXT) | instid1(VALU_DEP_2)
	v_cmp_eq_u32_e32 vcc_lo, 0, v6
	v_cndmask_b32_e32 v113, v7, v5, vcc_lo
; %bb.2870:                             ;   in Loop: Header=BB12_2702 Depth=2
	s_or_b32 exec_lo, exec_lo, s26
	v_lshlrev_b32_e32 v5, 16, v103
	s_mov_b32 s26, exec_lo
                                        ; implicit-def: $vgpr103
	s_delay_alu instid0(VALU_DEP_1) | instskip(NEXT) | instid1(VALU_DEP_1)
	v_mul_f32_e32 v5, v15, v5
	v_and_b32_e32 v6, 0x7f800000, v5
	s_delay_alu instid0(VALU_DEP_1)
	v_cmpx_ne_u32_e32 0x7f800000, v6
	s_xor_b32 s26, exec_lo, s26
; %bb.2871:                             ;   in Loop: Header=BB12_2702 Depth=2
	v_bfe_u32 v6, v5, 16, 1
	s_delay_alu instid0(VALU_DEP_1)
	v_add3_u32 v103, v5, v6, 0x7fff
                                        ; implicit-def: $vgpr5
; %bb.2872:                             ;   in Loop: Header=BB12_2702 Depth=2
	s_and_not1_saveexec_b32 s26, s26
; %bb.2873:                             ;   in Loop: Header=BB12_2702 Depth=2
	v_and_b32_e32 v6, 0xffff, v5
	v_or_b32_e32 v7, 0x10000, v5
	s_delay_alu instid0(VALU_DEP_2) | instskip(NEXT) | instid1(VALU_DEP_2)
	v_cmp_eq_u32_e32 vcc_lo, 0, v6
	v_cndmask_b32_e32 v103, v7, v5, vcc_lo
; %bb.2874:                             ;   in Loop: Header=BB12_2702 Depth=2
	s_or_b32 exec_lo, exec_lo, s26
	v_lshlrev_b32_e32 v5, 16, v101
	s_mov_b32 s26, exec_lo
                                        ; implicit-def: $vgpr31
	s_delay_alu instid0(VALU_DEP_1) | instskip(NEXT) | instid1(VALU_DEP_1)
	v_mul_f32_e32 v5, v15, v5
	v_and_b32_e32 v6, 0x7f800000, v5
	s_delay_alu instid0(VALU_DEP_1)
	v_cmpx_ne_u32_e32 0x7f800000, v6
	s_xor_b32 s26, exec_lo, s26
; %bb.2875:                             ;   in Loop: Header=BB12_2702 Depth=2
	v_bfe_u32 v6, v5, 16, 1
	s_delay_alu instid0(VALU_DEP_1)
	v_add3_u32 v31, v5, v6, 0x7fff
                                        ; implicit-def: $vgpr5
; %bb.2876:                             ;   in Loop: Header=BB12_2702 Depth=2
	s_and_not1_saveexec_b32 s26, s26
; %bb.2877:                             ;   in Loop: Header=BB12_2702 Depth=2
	v_and_b32_e32 v6, 0xffff, v5
	v_or_b32_e32 v7, 0x10000, v5
	s_delay_alu instid0(VALU_DEP_2) | instskip(NEXT) | instid1(VALU_DEP_2)
	v_cmp_eq_u32_e32 vcc_lo, 0, v6
	v_cndmask_b32_e32 v31, v7, v5, vcc_lo
; %bb.2878:                             ;   in Loop: Header=BB12_2702 Depth=2
	s_or_b32 exec_lo, exec_lo, s26
	v_lshlrev_b32_e32 v0, 16, v0
	s_mov_b32 s26, exec_lo
                                        ; implicit-def: $vgpr17
	s_delay_alu instid0(VALU_DEP_1) | instskip(NEXT) | instid1(VALU_DEP_1)
	v_mul_f32_e32 v0, v15, v0
	v_and_b32_e32 v5, 0x7f800000, v0
	s_delay_alu instid0(VALU_DEP_1)
	v_cmpx_ne_u32_e32 0x7f800000, v5
	s_xor_b32 s26, exec_lo, s26
; %bb.2879:                             ;   in Loop: Header=BB12_2702 Depth=2
	v_bfe_u32 v5, v0, 16, 1
	s_delay_alu instid0(VALU_DEP_1)
	v_add3_u32 v17, v0, v5, 0x7fff
                                        ; implicit-def: $vgpr0
; %bb.2880:                             ;   in Loop: Header=BB12_2702 Depth=2
	s_and_not1_saveexec_b32 s26, s26
; %bb.2881:                             ;   in Loop: Header=BB12_2702 Depth=2
	v_and_b32_e32 v5, 0xffff, v0
	v_or_b32_e32 v6, 0x10000, v0
	s_delay_alu instid0(VALU_DEP_2) | instskip(NEXT) | instid1(VALU_DEP_2)
	v_cmp_eq_u32_e32 vcc_lo, 0, v5
	v_cndmask_b32_e32 v17, v6, v0, vcc_lo
; %bb.2882:                             ;   in Loop: Header=BB12_2702 Depth=2
	s_or_b32 exec_lo, exec_lo, s26
	s_wait_loadcnt 0x13
	v_lshlrev_b32_e32 v0, 16, v99
	s_mov_b32 s26, exec_lo
                                        ; implicit-def: $vgpr16
	s_delay_alu instid0(VALU_DEP_1) | instskip(NEXT) | instid1(VALU_DEP_1)
	v_mul_f32_e32 v0, v15, v0
	v_and_b32_e32 v5, 0x7f800000, v0
	s_delay_alu instid0(VALU_DEP_1)
	v_cmpx_ne_u32_e32 0x7f800000, v5
	s_xor_b32 s26, exec_lo, s26
; %bb.2883:                             ;   in Loop: Header=BB12_2702 Depth=2
	v_bfe_u32 v5, v0, 16, 1
	s_delay_alu instid0(VALU_DEP_1)
	v_add3_u32 v16, v0, v5, 0x7fff
                                        ; implicit-def: $vgpr0
; %bb.2884:                             ;   in Loop: Header=BB12_2702 Depth=2
	s_and_not1_saveexec_b32 s26, s26
; %bb.2885:                             ;   in Loop: Header=BB12_2702 Depth=2
	v_and_b32_e32 v5, 0xffff, v0
	v_or_b32_e32 v6, 0x10000, v0
	s_delay_alu instid0(VALU_DEP_2) | instskip(NEXT) | instid1(VALU_DEP_2)
	v_cmp_eq_u32_e32 vcc_lo, 0, v5
	v_cndmask_b32_e32 v16, v6, v0, vcc_lo
; %bb.2886:                             ;   in Loop: Header=BB12_2702 Depth=2
	s_or_b32 exec_lo, exec_lo, s26
	s_wait_loadcnt 0x12
	v_lshlrev_b32_e32 v0, 16, v97
	s_mov_b32 s26, exec_lo
                                        ; implicit-def: $vgpr14
	s_delay_alu instid0(VALU_DEP_1) | instskip(NEXT) | instid1(VALU_DEP_1)
	v_mul_f32_e32 v0, v15, v0
	v_and_b32_e32 v5, 0x7f800000, v0
	s_delay_alu instid0(VALU_DEP_1)
	v_cmpx_ne_u32_e32 0x7f800000, v5
	s_xor_b32 s26, exec_lo, s26
; %bb.2887:                             ;   in Loop: Header=BB12_2702 Depth=2
	v_bfe_u32 v5, v0, 16, 1
	s_delay_alu instid0(VALU_DEP_1)
	v_add3_u32 v14, v0, v5, 0x7fff
                                        ; implicit-def: $vgpr0
; %bb.2888:                             ;   in Loop: Header=BB12_2702 Depth=2
	s_and_not1_saveexec_b32 s26, s26
; %bb.2889:                             ;   in Loop: Header=BB12_2702 Depth=2
	v_and_b32_e32 v5, 0xffff, v0
	v_or_b32_e32 v6, 0x10000, v0
	s_delay_alu instid0(VALU_DEP_2) | instskip(NEXT) | instid1(VALU_DEP_2)
	v_cmp_eq_u32_e32 vcc_lo, 0, v5
	v_cndmask_b32_e32 v14, v6, v0, vcc_lo
; %bb.2890:                             ;   in Loop: Header=BB12_2702 Depth=2
	s_or_b32 exec_lo, exec_lo, s26
	s_wait_loadcnt 0x11
	v_lshlrev_b32_e32 v0, 16, v87
	s_delay_alu instid0(VALU_DEP_1) | instskip(NEXT) | instid1(VALU_DEP_1)
	v_mul_f32_e32 v0, v15, v0
	v_and_b32_e32 v5, 0x7f800000, v0
	s_delay_alu instid0(VALU_DEP_1) | instskip(SKIP_1) | instid1(SALU_CYCLE_1)
	v_cmp_ne_u32_e32 vcc_lo, 0x7f800000, v5
                                        ; implicit-def: $vgpr5
	s_and_saveexec_b32 s26, vcc_lo
	s_xor_b32 s26, exec_lo, s26
; %bb.2891:                             ;   in Loop: Header=BB12_2702 Depth=2
	v_bfe_u32 v5, v0, 16, 1
	s_delay_alu instid0(VALU_DEP_1)
	v_add3_u32 v5, v0, v5, 0x7fff
                                        ; implicit-def: $vgpr0
; %bb.2892:                             ;   in Loop: Header=BB12_2702 Depth=2
	s_and_not1_saveexec_b32 s26, s26
; %bb.2893:                             ;   in Loop: Header=BB12_2702 Depth=2
	v_and_b32_e32 v5, 0xffff, v0
	v_or_b32_e32 v6, 0x10000, v0
	s_delay_alu instid0(VALU_DEP_2) | instskip(NEXT) | instid1(VALU_DEP_2)
	v_cmp_eq_u32_e32 vcc_lo, 0, v5
	v_cndmask_b32_e32 v5, v6, v0, vcc_lo
; %bb.2894:                             ;   in Loop: Header=BB12_2702 Depth=2
	s_or_b32 exec_lo, exec_lo, s26
	s_wait_loadcnt 0x10
	v_lshlrev_b32_e32 v0, 16, v85
	s_delay_alu instid0(VALU_DEP_1) | instskip(NEXT) | instid1(VALU_DEP_1)
	v_mul_f32_e32 v6, v15, v0
	v_and_b32_e32 v0, 0x7f800000, v6
	s_delay_alu instid0(VALU_DEP_1) | instskip(SKIP_1) | instid1(SALU_CYCLE_1)
	v_cmp_ne_u32_e32 vcc_lo, 0x7f800000, v0
                                        ; implicit-def: $vgpr0
	s_and_saveexec_b32 s26, vcc_lo
	s_xor_b32 s26, exec_lo, s26
; %bb.2895:                             ;   in Loop: Header=BB12_2702 Depth=2
	v_bfe_u32 v0, v6, 16, 1
	s_delay_alu instid0(VALU_DEP_1)
	v_add3_u32 v0, v6, v0, 0x7fff
                                        ; implicit-def: $vgpr6
; %bb.2896:                             ;   in Loop: Header=BB12_2702 Depth=2
	s_and_not1_saveexec_b32 s26, s26
; %bb.2897:                             ;   in Loop: Header=BB12_2702 Depth=2
	v_and_b32_e32 v0, 0xffff, v6
	v_or_b32_e32 v7, 0x10000, v6
	s_delay_alu instid0(VALU_DEP_2) | instskip(NEXT) | instid1(VALU_DEP_2)
	v_cmp_eq_u32_e32 vcc_lo, 0, v0
	v_cndmask_b32_e32 v0, v7, v6, vcc_lo
; %bb.2898:                             ;   in Loop: Header=BB12_2702 Depth=2
	s_or_b32 exec_lo, exec_lo, s26
	v_and_b32_e32 v4, 0xffff0000, v4
	s_wait_loadcnt 0xf
	v_lshlrev_b32_e32 v6, 16, v83
	s_delay_alu instid0(VALU_DEP_1) | instskip(NEXT) | instid1(VALU_DEP_1)
	v_add_f32_e32 v6, v6, v4
	v_and_b32_e32 v4, 0x7f800000, v6
	s_delay_alu instid0(VALU_DEP_1) | instskip(SKIP_1) | instid1(SALU_CYCLE_1)
	v_cmp_ne_u32_e32 vcc_lo, 0x7f800000, v4
                                        ; implicit-def: $vgpr4
	s_and_saveexec_b32 s26, vcc_lo
	s_xor_b32 s26, exec_lo, s26
; %bb.2899:                             ;   in Loop: Header=BB12_2702 Depth=2
	v_bfe_u32 v4, v6, 16, 1
	s_delay_alu instid0(VALU_DEP_1)
	v_add3_u32 v4, v6, v4, 0x7fff
                                        ; implicit-def: $vgpr6
; %bb.2900:                             ;   in Loop: Header=BB12_2702 Depth=2
	s_and_not1_saveexec_b32 s26, s26
; %bb.2901:                             ;   in Loop: Header=BB12_2702 Depth=2
	v_and_b32_e32 v4, 0xffff, v6
	v_or_b32_e32 v7, 0x10000, v6
	s_delay_alu instid0(VALU_DEP_2) | instskip(NEXT) | instid1(VALU_DEP_2)
	v_cmp_eq_u32_e32 vcc_lo, 0, v4
	v_cndmask_b32_e32 v4, v7, v6, vcc_lo
; %bb.2902:                             ;   in Loop: Header=BB12_2702 Depth=2
	s_or_b32 exec_lo, exec_lo, s26
	v_and_b32_e32 v6, 0xffff0000, v58
	s_wait_loadcnt 0xe
	v_lshlrev_b32_e32 v7, 16, v81
	s_mov_b32 s26, exec_lo
                                        ; implicit-def: $vgpr15
	s_delay_alu instid0(VALU_DEP_1) | instskip(NEXT) | instid1(VALU_DEP_1)
	v_add_f32_e32 v6, v7, v6
	v_and_b32_e32 v7, 0x7f800000, v6
	s_delay_alu instid0(VALU_DEP_1)
	v_cmpx_ne_u32_e32 0x7f800000, v7
	s_xor_b32 s26, exec_lo, s26
; %bb.2903:                             ;   in Loop: Header=BB12_2702 Depth=2
	v_bfe_u32 v7, v6, 16, 1
	s_delay_alu instid0(VALU_DEP_1)
	v_add3_u32 v15, v6, v7, 0x7fff
                                        ; implicit-def: $vgpr6
; %bb.2904:                             ;   in Loop: Header=BB12_2702 Depth=2
	s_and_not1_saveexec_b32 s26, s26
; %bb.2905:                             ;   in Loop: Header=BB12_2702 Depth=2
	v_and_b32_e32 v7, 0xffff, v6
	v_or_b32_e32 v8, 0x10000, v6
	s_delay_alu instid0(VALU_DEP_2) | instskip(NEXT) | instid1(VALU_DEP_2)
	v_cmp_eq_u32_e32 vcc_lo, 0, v7
	v_cndmask_b32_e32 v15, v8, v6, vcc_lo
; %bb.2906:                             ;   in Loop: Header=BB12_2702 Depth=2
	s_or_b32 exec_lo, exec_lo, s26
	v_and_b32_e32 v6, 0xffff0000, v45
	s_wait_loadcnt 0xd
	v_lshlrev_b32_e32 v7, 16, v71
	s_mov_b32 s26, exec_lo
                                        ; implicit-def: $vgpr71
	s_delay_alu instid0(VALU_DEP_1) | instskip(NEXT) | instid1(VALU_DEP_1)
	v_add_f32_e32 v6, v7, v6
	v_and_b32_e32 v7, 0x7f800000, v6
	s_delay_alu instid0(VALU_DEP_1)
	v_cmpx_ne_u32_e32 0x7f800000, v7
	s_xor_b32 s26, exec_lo, s26
; %bb.2907:                             ;   in Loop: Header=BB12_2702 Depth=2
	v_bfe_u32 v7, v6, 16, 1
	s_delay_alu instid0(VALU_DEP_1)
	v_add3_u32 v71, v6, v7, 0x7fff
                                        ; implicit-def: $vgpr6
; %bb.2908:                             ;   in Loop: Header=BB12_2702 Depth=2
	s_and_not1_saveexec_b32 s26, s26
; %bb.2909:                             ;   in Loop: Header=BB12_2702 Depth=2
	v_and_b32_e32 v7, 0xffff, v6
	v_or_b32_e32 v8, 0x10000, v6
	s_delay_alu instid0(VALU_DEP_2) | instskip(NEXT) | instid1(VALU_DEP_2)
	v_cmp_eq_u32_e32 vcc_lo, 0, v7
	v_cndmask_b32_e32 v71, v8, v6, vcc_lo
; %bb.2910:                             ;   in Loop: Header=BB12_2702 Depth=2
	s_or_b32 exec_lo, exec_lo, s26
	v_and_b32_e32 v6, 0xffff0000, v44
	s_wait_loadcnt 0xc
	v_lshlrev_b32_e32 v7, 16, v68
	s_mov_b32 s26, exec_lo
                                        ; implicit-def: $vgpr68
	s_delay_alu instid0(VALU_DEP_1) | instskip(NEXT) | instid1(VALU_DEP_1)
	v_add_f32_e32 v6, v7, v6
	v_and_b32_e32 v7, 0x7f800000, v6
	s_delay_alu instid0(VALU_DEP_1)
	v_cmpx_ne_u32_e32 0x7f800000, v7
	s_xor_b32 s26, exec_lo, s26
; %bb.2911:                             ;   in Loop: Header=BB12_2702 Depth=2
	v_bfe_u32 v7, v6, 16, 1
	s_delay_alu instid0(VALU_DEP_1)
	v_add3_u32 v68, v6, v7, 0x7fff
                                        ; implicit-def: $vgpr6
; %bb.2912:                             ;   in Loop: Header=BB12_2702 Depth=2
	s_and_not1_saveexec_b32 s26, s26
; %bb.2913:                             ;   in Loop: Header=BB12_2702 Depth=2
	v_and_b32_e32 v7, 0xffff, v6
	v_or_b32_e32 v8, 0x10000, v6
	s_delay_alu instid0(VALU_DEP_2) | instskip(NEXT) | instid1(VALU_DEP_2)
	v_cmp_eq_u32_e32 vcc_lo, 0, v7
	v_cndmask_b32_e32 v68, v8, v6, vcc_lo
; %bb.2914:                             ;   in Loop: Header=BB12_2702 Depth=2
	s_or_b32 exec_lo, exec_lo, s26
	v_and_b32_e32 v6, 0xffff0000, v43
	s_wait_loadcnt 0xb
	v_lshlrev_b32_e32 v7, 16, v67
	s_mov_b32 s26, exec_lo
                                        ; implicit-def: $vgpr67
	s_delay_alu instid0(VALU_DEP_1) | instskip(NEXT) | instid1(VALU_DEP_1)
	v_add_f32_e32 v6, v7, v6
	v_and_b32_e32 v7, 0x7f800000, v6
	s_delay_alu instid0(VALU_DEP_1)
	v_cmpx_ne_u32_e32 0x7f800000, v7
	s_xor_b32 s26, exec_lo, s26
; %bb.2915:                             ;   in Loop: Header=BB12_2702 Depth=2
	v_bfe_u32 v7, v6, 16, 1
	s_delay_alu instid0(VALU_DEP_1)
	v_add3_u32 v67, v6, v7, 0x7fff
                                        ; implicit-def: $vgpr6
; %bb.2916:                             ;   in Loop: Header=BB12_2702 Depth=2
	s_and_not1_saveexec_b32 s26, s26
; %bb.2917:                             ;   in Loop: Header=BB12_2702 Depth=2
	v_and_b32_e32 v7, 0xffff, v6
	v_or_b32_e32 v8, 0x10000, v6
	s_delay_alu instid0(VALU_DEP_2) | instskip(NEXT) | instid1(VALU_DEP_2)
	v_cmp_eq_u32_e32 vcc_lo, 0, v7
	v_cndmask_b32_e32 v67, v8, v6, vcc_lo
; %bb.2918:                             ;   in Loop: Header=BB12_2702 Depth=2
	s_or_b32 exec_lo, exec_lo, s26
	v_and_b32_e32 v6, 0xffff0000, v119
	s_wait_loadcnt 0xa
	v_lshlrev_b32_e32 v7, 16, v66
	s_mov_b32 s26, exec_lo
                                        ; implicit-def: $vgpr66
	s_delay_alu instid0(VALU_DEP_1) | instskip(NEXT) | instid1(VALU_DEP_1)
	v_add_f32_e32 v6, v7, v6
	v_and_b32_e32 v7, 0x7f800000, v6
	s_delay_alu instid0(VALU_DEP_1)
	v_cmpx_ne_u32_e32 0x7f800000, v7
	s_xor_b32 s26, exec_lo, s26
; %bb.2919:                             ;   in Loop: Header=BB12_2702 Depth=2
	v_bfe_u32 v7, v6, 16, 1
	s_delay_alu instid0(VALU_DEP_1)
	v_add3_u32 v66, v6, v7, 0x7fff
                                        ; implicit-def: $vgpr6
; %bb.2920:                             ;   in Loop: Header=BB12_2702 Depth=2
	s_and_not1_saveexec_b32 s26, s26
; %bb.2921:                             ;   in Loop: Header=BB12_2702 Depth=2
	v_and_b32_e32 v7, 0xffff, v6
	v_or_b32_e32 v8, 0x10000, v6
	s_delay_alu instid0(VALU_DEP_2) | instskip(NEXT) | instid1(VALU_DEP_2)
	v_cmp_eq_u32_e32 vcc_lo, 0, v7
	v_cndmask_b32_e32 v66, v8, v6, vcc_lo
; %bb.2922:                             ;   in Loop: Header=BB12_2702 Depth=2
	s_or_b32 exec_lo, exec_lo, s26
	v_and_b32_e32 v6, 0xffff0000, v117
	s_wait_loadcnt 0x9
	v_lshlrev_b32_e32 v7, 16, v65
	s_mov_b32 s26, exec_lo
                                        ; implicit-def: $vgpr65
	s_delay_alu instid0(VALU_DEP_1) | instskip(NEXT) | instid1(VALU_DEP_1)
	v_add_f32_e32 v6, v7, v6
	v_and_b32_e32 v7, 0x7f800000, v6
	s_delay_alu instid0(VALU_DEP_1)
	v_cmpx_ne_u32_e32 0x7f800000, v7
	s_xor_b32 s26, exec_lo, s26
; %bb.2923:                             ;   in Loop: Header=BB12_2702 Depth=2
	v_bfe_u32 v7, v6, 16, 1
	s_delay_alu instid0(VALU_DEP_1)
	v_add3_u32 v65, v6, v7, 0x7fff
                                        ; implicit-def: $vgpr6
; %bb.2924:                             ;   in Loop: Header=BB12_2702 Depth=2
	s_and_not1_saveexec_b32 s26, s26
; %bb.2925:                             ;   in Loop: Header=BB12_2702 Depth=2
	v_and_b32_e32 v7, 0xffff, v6
	v_or_b32_e32 v8, 0x10000, v6
	s_delay_alu instid0(VALU_DEP_2) | instskip(NEXT) | instid1(VALU_DEP_2)
	v_cmp_eq_u32_e32 vcc_lo, 0, v7
	v_cndmask_b32_e32 v65, v8, v6, vcc_lo
; %bb.2926:                             ;   in Loop: Header=BB12_2702 Depth=2
	s_or_b32 exec_lo, exec_lo, s26
	v_and_b32_e32 v6, 0xffff0000, v115
	s_wait_loadcnt 0x8
	v_lshlrev_b32_e32 v7, 16, v64
	s_mov_b32 s26, exec_lo
                                        ; implicit-def: $vgpr64
	s_delay_alu instid0(VALU_DEP_1) | instskip(NEXT) | instid1(VALU_DEP_1)
	v_add_f32_e32 v6, v7, v6
	v_and_b32_e32 v7, 0x7f800000, v6
	s_delay_alu instid0(VALU_DEP_1)
	v_cmpx_ne_u32_e32 0x7f800000, v7
	s_xor_b32 s26, exec_lo, s26
; %bb.2927:                             ;   in Loop: Header=BB12_2702 Depth=2
	v_bfe_u32 v7, v6, 16, 1
	s_delay_alu instid0(VALU_DEP_1)
	v_add3_u32 v64, v6, v7, 0x7fff
                                        ; implicit-def: $vgpr6
; %bb.2928:                             ;   in Loop: Header=BB12_2702 Depth=2
	s_and_not1_saveexec_b32 s26, s26
; %bb.2929:                             ;   in Loop: Header=BB12_2702 Depth=2
	v_and_b32_e32 v7, 0xffff, v6
	v_or_b32_e32 v8, 0x10000, v6
	s_delay_alu instid0(VALU_DEP_2) | instskip(NEXT) | instid1(VALU_DEP_2)
	v_cmp_eq_u32_e32 vcc_lo, 0, v7
	v_cndmask_b32_e32 v64, v8, v6, vcc_lo
; %bb.2930:                             ;   in Loop: Header=BB12_2702 Depth=2
	s_or_b32 exec_lo, exec_lo, s26
	v_and_b32_e32 v6, 0xffff0000, v113
	s_wait_loadcnt 0x7
	v_lshlrev_b32_e32 v7, 16, v55
	s_mov_b32 s26, exec_lo
                                        ; implicit-def: $vgpr55
	s_delay_alu instid0(VALU_DEP_1) | instskip(NEXT) | instid1(VALU_DEP_1)
	v_add_f32_e32 v6, v7, v6
	v_and_b32_e32 v7, 0x7f800000, v6
	s_delay_alu instid0(VALU_DEP_1)
	v_cmpx_ne_u32_e32 0x7f800000, v7
	s_xor_b32 s26, exec_lo, s26
; %bb.2931:                             ;   in Loop: Header=BB12_2702 Depth=2
	v_bfe_u32 v7, v6, 16, 1
	s_delay_alu instid0(VALU_DEP_1)
	v_add3_u32 v55, v6, v7, 0x7fff
                                        ; implicit-def: $vgpr6
; %bb.2932:                             ;   in Loop: Header=BB12_2702 Depth=2
	s_and_not1_saveexec_b32 s26, s26
; %bb.2933:                             ;   in Loop: Header=BB12_2702 Depth=2
	v_and_b32_e32 v7, 0xffff, v6
	v_or_b32_e32 v8, 0x10000, v6
	s_delay_alu instid0(VALU_DEP_2) | instskip(NEXT) | instid1(VALU_DEP_2)
	v_cmp_eq_u32_e32 vcc_lo, 0, v7
	v_cndmask_b32_e32 v55, v8, v6, vcc_lo
; %bb.2934:                             ;   in Loop: Header=BB12_2702 Depth=2
	s_or_b32 exec_lo, exec_lo, s26
	v_and_b32_e32 v6, 0xffff0000, v103
	s_wait_loadcnt 0x6
	v_lshlrev_b32_e32 v7, 16, v54
	s_mov_b32 s26, exec_lo
                                        ; implicit-def: $vgpr54
	s_delay_alu instid0(VALU_DEP_1) | instskip(NEXT) | instid1(VALU_DEP_1)
	v_add_f32_e32 v6, v7, v6
	v_and_b32_e32 v7, 0x7f800000, v6
	s_delay_alu instid0(VALU_DEP_1)
	v_cmpx_ne_u32_e32 0x7f800000, v7
	s_xor_b32 s26, exec_lo, s26
; %bb.2935:                             ;   in Loop: Header=BB12_2702 Depth=2
	v_bfe_u32 v7, v6, 16, 1
	s_delay_alu instid0(VALU_DEP_1)
	v_add3_u32 v54, v6, v7, 0x7fff
                                        ; implicit-def: $vgpr6
; %bb.2936:                             ;   in Loop: Header=BB12_2702 Depth=2
	s_and_not1_saveexec_b32 s26, s26
; %bb.2937:                             ;   in Loop: Header=BB12_2702 Depth=2
	v_and_b32_e32 v7, 0xffff, v6
	v_or_b32_e32 v8, 0x10000, v6
	s_delay_alu instid0(VALU_DEP_2) | instskip(NEXT) | instid1(VALU_DEP_2)
	v_cmp_eq_u32_e32 vcc_lo, 0, v7
	v_cndmask_b32_e32 v54, v8, v6, vcc_lo
; %bb.2938:                             ;   in Loop: Header=BB12_2702 Depth=2
	s_or_b32 exec_lo, exec_lo, s26
	v_and_b32_e32 v6, 0xffff0000, v31
	s_wait_loadcnt 0x5
	v_lshlrev_b32_e32 v7, 16, v53
	s_mov_b32 s26, exec_lo
                                        ; implicit-def: $vgpr31
	s_delay_alu instid0(VALU_DEP_1) | instskip(NEXT) | instid1(VALU_DEP_1)
	v_add_f32_e32 v6, v7, v6
	v_and_b32_e32 v7, 0x7f800000, v6
	s_delay_alu instid0(VALU_DEP_1)
	v_cmpx_ne_u32_e32 0x7f800000, v7
	s_xor_b32 s26, exec_lo, s26
; %bb.2939:                             ;   in Loop: Header=BB12_2702 Depth=2
	v_bfe_u32 v7, v6, 16, 1
	s_delay_alu instid0(VALU_DEP_1)
	v_add3_u32 v31, v6, v7, 0x7fff
                                        ; implicit-def: $vgpr6
; %bb.2940:                             ;   in Loop: Header=BB12_2702 Depth=2
	s_and_not1_saveexec_b32 s26, s26
; %bb.2941:                             ;   in Loop: Header=BB12_2702 Depth=2
	v_and_b32_e32 v7, 0xffff, v6
	v_or_b32_e32 v8, 0x10000, v6
	s_delay_alu instid0(VALU_DEP_2) | instskip(NEXT) | instid1(VALU_DEP_2)
	v_cmp_eq_u32_e32 vcc_lo, 0, v7
	v_cndmask_b32_e32 v31, v8, v6, vcc_lo
; %bb.2942:                             ;   in Loop: Header=BB12_2702 Depth=2
	s_or_b32 exec_lo, exec_lo, s26
	v_and_b32_e32 v6, 0xffff0000, v17
	s_wait_loadcnt 0x4
	v_lshlrev_b32_e32 v7, 16, v52
	s_mov_b32 s26, exec_lo
                                        ; implicit-def: $vgpr17
	s_delay_alu instid0(VALU_DEP_1) | instskip(NEXT) | instid1(VALU_DEP_1)
	v_add_f32_e32 v6, v7, v6
	v_and_b32_e32 v7, 0x7f800000, v6
	s_delay_alu instid0(VALU_DEP_1)
	v_cmpx_ne_u32_e32 0x7f800000, v7
	s_xor_b32 s26, exec_lo, s26
; %bb.2943:                             ;   in Loop: Header=BB12_2702 Depth=2
	v_bfe_u32 v7, v6, 16, 1
	s_delay_alu instid0(VALU_DEP_1)
	v_add3_u32 v17, v6, v7, 0x7fff
                                        ; implicit-def: $vgpr6
; %bb.2944:                             ;   in Loop: Header=BB12_2702 Depth=2
	s_and_not1_saveexec_b32 s26, s26
; %bb.2945:                             ;   in Loop: Header=BB12_2702 Depth=2
	v_and_b32_e32 v7, 0xffff, v6
	v_or_b32_e32 v8, 0x10000, v6
	s_delay_alu instid0(VALU_DEP_2) | instskip(NEXT) | instid1(VALU_DEP_2)
	v_cmp_eq_u32_e32 vcc_lo, 0, v7
	v_cndmask_b32_e32 v17, v8, v6, vcc_lo
; %bb.2946:                             ;   in Loop: Header=BB12_2702 Depth=2
	s_or_b32 exec_lo, exec_lo, s26
	v_and_b32_e32 v6, 0xffff0000, v16
	s_wait_loadcnt 0x3
	v_lshlrev_b32_e32 v7, 16, v51
	s_mov_b32 s26, exec_lo
                                        ; implicit-def: $vgpr16
	s_delay_alu instid0(VALU_DEP_1) | instskip(NEXT) | instid1(VALU_DEP_1)
	v_add_f32_e32 v6, v7, v6
	v_and_b32_e32 v7, 0x7f800000, v6
	s_delay_alu instid0(VALU_DEP_1)
	v_cmpx_ne_u32_e32 0x7f800000, v7
	s_xor_b32 s26, exec_lo, s26
; %bb.2947:                             ;   in Loop: Header=BB12_2702 Depth=2
	v_bfe_u32 v7, v6, 16, 1
	s_delay_alu instid0(VALU_DEP_1)
	v_add3_u32 v16, v6, v7, 0x7fff
                                        ; implicit-def: $vgpr6
; %bb.2948:                             ;   in Loop: Header=BB12_2702 Depth=2
	s_and_not1_saveexec_b32 s26, s26
; %bb.2949:                             ;   in Loop: Header=BB12_2702 Depth=2
	v_and_b32_e32 v7, 0xffff, v6
	v_or_b32_e32 v8, 0x10000, v6
	s_delay_alu instid0(VALU_DEP_2) | instskip(NEXT) | instid1(VALU_DEP_2)
	v_cmp_eq_u32_e32 vcc_lo, 0, v7
	v_cndmask_b32_e32 v16, v8, v6, vcc_lo
; %bb.2950:                             ;   in Loop: Header=BB12_2702 Depth=2
	s_or_b32 exec_lo, exec_lo, s26
	v_and_b32_e32 v6, 0xffff0000, v14
	s_wait_loadcnt 0x2
	v_lshlrev_b32_e32 v7, 16, v50
	s_delay_alu instid0(VALU_DEP_1) | instskip(NEXT) | instid1(VALU_DEP_1)
	v_add_f32_e32 v7, v7, v6
	v_and_b32_e32 v6, 0x7f800000, v7
	s_delay_alu instid0(VALU_DEP_1) | instskip(SKIP_1) | instid1(SALU_CYCLE_1)
	v_cmp_ne_u32_e32 vcc_lo, 0x7f800000, v6
                                        ; implicit-def: $vgpr6
	s_and_saveexec_b32 s26, vcc_lo
	s_xor_b32 s26, exec_lo, s26
; %bb.2951:                             ;   in Loop: Header=BB12_2702 Depth=2
	v_bfe_u32 v6, v7, 16, 1
	s_delay_alu instid0(VALU_DEP_1)
	v_add3_u32 v6, v7, v6, 0x7fff
                                        ; implicit-def: $vgpr7
; %bb.2952:                             ;   in Loop: Header=BB12_2702 Depth=2
	s_and_not1_saveexec_b32 s26, s26
; %bb.2953:                             ;   in Loop: Header=BB12_2702 Depth=2
	v_and_b32_e32 v6, 0xffff, v7
	v_or_b32_e32 v8, 0x10000, v7
	s_delay_alu instid0(VALU_DEP_2) | instskip(NEXT) | instid1(VALU_DEP_2)
	v_cmp_eq_u32_e32 vcc_lo, 0, v6
	v_cndmask_b32_e32 v6, v8, v7, vcc_lo
; %bb.2954:                             ;   in Loop: Header=BB12_2702 Depth=2
	s_or_b32 exec_lo, exec_lo, s26
	v_and_b32_e32 v5, 0xffff0000, v5
	s_wait_loadcnt 0x1
	v_lshlrev_b32_e32 v7, 16, v49
	s_delay_alu instid0(VALU_DEP_1) | instskip(NEXT) | instid1(VALU_DEP_1)
	v_add_f32_e32 v7, v7, v5
	v_and_b32_e32 v5, 0x7f800000, v7
	s_delay_alu instid0(VALU_DEP_1) | instskip(SKIP_1) | instid1(SALU_CYCLE_1)
	v_cmp_ne_u32_e32 vcc_lo, 0x7f800000, v5
                                        ; implicit-def: $vgpr5
	s_and_saveexec_b32 s26, vcc_lo
	s_xor_b32 s26, exec_lo, s26
; %bb.2955:                             ;   in Loop: Header=BB12_2702 Depth=2
	v_bfe_u32 v5, v7, 16, 1
	s_delay_alu instid0(VALU_DEP_1)
	v_add3_u32 v5, v7, v5, 0x7fff
                                        ; implicit-def: $vgpr7
; %bb.2956:                             ;   in Loop: Header=BB12_2702 Depth=2
	s_and_not1_saveexec_b32 s26, s26
; %bb.2957:                             ;   in Loop: Header=BB12_2702 Depth=2
	v_and_b32_e32 v5, 0xffff, v7
	v_or_b32_e32 v8, 0x10000, v7
	s_delay_alu instid0(VALU_DEP_2) | instskip(NEXT) | instid1(VALU_DEP_2)
	v_cmp_eq_u32_e32 vcc_lo, 0, v5
	v_cndmask_b32_e32 v5, v8, v7, vcc_lo
; %bb.2958:                             ;   in Loop: Header=BB12_2702 Depth=2
	s_or_b32 exec_lo, exec_lo, s26
	v_and_b32_e32 v0, 0xffff0000, v0
	s_wait_loadcnt 0x0
	v_lshlrev_b32_e32 v7, 16, v48
	s_delay_alu instid0(VALU_DEP_1) | instskip(NEXT) | instid1(VALU_DEP_1)
	v_add_f32_e32 v7, v7, v0
	v_and_b32_e32 v0, 0x7f800000, v7
	s_delay_alu instid0(VALU_DEP_1) | instskip(SKIP_1) | instid1(SALU_CYCLE_1)
	v_cmp_ne_u32_e32 vcc_lo, 0x7f800000, v0
                                        ; implicit-def: $vgpr0
	s_and_saveexec_b32 s26, vcc_lo
	s_xor_b32 s26, exec_lo, s26
; %bb.2959:                             ;   in Loop: Header=BB12_2702 Depth=2
	v_bfe_u32 v0, v7, 16, 1
	s_delay_alu instid0(VALU_DEP_1)
	v_add3_u32 v0, v7, v0, 0x7fff
                                        ; implicit-def: $vgpr7
; %bb.2960:                             ;   in Loop: Header=BB12_2702 Depth=2
	s_and_not1_saveexec_b32 s26, s26
	s_cbranch_execz .LBB12_2701
; %bb.2961:                             ;   in Loop: Header=BB12_2702 Depth=2
	v_and_b32_e32 v0, 0xffff, v7
	v_or_b32_e32 v8, 0x10000, v7
	s_delay_alu instid0(VALU_DEP_2) | instskip(NEXT) | instid1(VALU_DEP_2)
	v_cmp_eq_u32_e32 vcc_lo, 0, v0
	v_cndmask_b32_e32 v0, v8, v7, vcc_lo
	s_branch .LBB12_2701
.LBB12_2962:                            ;   in Loop: Header=BB12_1634 Depth=1
	s_or_b32 exec_lo, exec_lo, s12
	v_dual_lshlrev_b32 v71, 16, v102 :: v_dual_lshlrev_b32 v67, 16, v100
	scratch_load_b32 v100, off, s33 offset:344 ; 4-byte Folded Reload
	v_dual_lshlrev_b32 v87, 16, v42 :: v_dual_lshlrev_b32 v85, 16, v116
	v_dual_lshlrev_b32 v53, 16, v118 :: v_dual_lshlrev_b32 v81, 16, v112
	;; [unrolled: 1-line block ×15, first 2 shown]
	v_dual_mov_b32 v101, v60 :: v_dual_mov_b32 v102, v89
	s_and_b32 s10, s10, exec_lo
.LBB12_2963:                            ;   in Loop: Header=BB12_1634 Depth=1
	s_wait_xcnt 0x0
	s_or_b32 exec_lo, exec_lo, s7
	s_and_saveexec_b32 s7, s10
	s_cbranch_execz .LBB12_3093
; %bb.2964:                             ;   in Loop: Header=BB12_1634 Depth=1
	s_trap 2
	ds_load_b32 v6, v0
	s_mov_b32 s10, exec_lo
                                        ; implicit-def: $vgpr38
	s_wait_dscnt 0x0
	v_lshlrev_b32_e32 v55, 16, v6
	s_delay_alu instid0(VALU_DEP_1) | instskip(NEXT) | instid1(VALU_DEP_1)
	v_mul_f32_e32 v6, v87, v55
	v_and_b32_e32 v7, 0x7f800000, v6
	s_delay_alu instid0(VALU_DEP_1)
	v_cmpx_ne_u32_e32 0x7f800000, v7
	s_xor_b32 s10, exec_lo, s10
; %bb.2965:                             ;   in Loop: Header=BB12_1634 Depth=1
	v_bfe_u32 v7, v6, 16, 1
	s_delay_alu instid0(VALU_DEP_1)
	v_add3_u32 v38, v6, v7, 0x7fff
                                        ; implicit-def: $vgpr6
; %bb.2966:                             ;   in Loop: Header=BB12_1634 Depth=1
	s_and_not1_saveexec_b32 s10, s10
; %bb.2967:                             ;   in Loop: Header=BB12_1634 Depth=1
	v_and_b32_e32 v7, 0xffff, v6
	v_or_b32_e32 v8, 0x10000, v6
	s_delay_alu instid0(VALU_DEP_2) | instskip(NEXT) | instid1(VALU_DEP_2)
	v_cmp_eq_u32_e32 vcc_lo, 0, v7
	v_cndmask_b32_e32 v38, v8, v6, vcc_lo
; %bb.2968:                             ;   in Loop: Header=BB12_1634 Depth=1
	s_or_b32 exec_lo, exec_lo, s10
	v_mul_f32_e32 v6, v53, v55
	s_mov_b32 s10, exec_lo
                                        ; implicit-def: $vgpr53
	s_delay_alu instid0(VALU_DEP_1) | instskip(NEXT) | instid1(VALU_DEP_1)
	v_and_b32_e32 v7, 0x7f800000, v6
	v_cmpx_ne_u32_e32 0x7f800000, v7
	s_xor_b32 s10, exec_lo, s10
; %bb.2969:                             ;   in Loop: Header=BB12_1634 Depth=1
	v_bfe_u32 v7, v6, 16, 1
	s_delay_alu instid0(VALU_DEP_1)
	v_add3_u32 v53, v6, v7, 0x7fff
                                        ; implicit-def: $vgpr6
; %bb.2970:                             ;   in Loop: Header=BB12_1634 Depth=1
	s_and_not1_saveexec_b32 s10, s10
; %bb.2971:                             ;   in Loop: Header=BB12_1634 Depth=1
	v_and_b32_e32 v7, 0xffff, v6
	v_or_b32_e32 v8, 0x10000, v6
	s_delay_alu instid0(VALU_DEP_2) | instskip(NEXT) | instid1(VALU_DEP_2)
	v_cmp_eq_u32_e32 vcc_lo, 0, v7
	v_cndmask_b32_e32 v53, v8, v6, vcc_lo
; %bb.2972:                             ;   in Loop: Header=BB12_1634 Depth=1
	s_or_b32 exec_lo, exec_lo, s10
	v_mul_f32_e32 v6, v85, v55
	s_mov_b32 s10, exec_lo
                                        ; implicit-def: $vgpr37
	s_delay_alu instid0(VALU_DEP_1) | instskip(NEXT) | instid1(VALU_DEP_1)
	v_and_b32_e32 v7, 0x7f800000, v6
	v_cmpx_ne_u32_e32 0x7f800000, v7
	s_xor_b32 s10, exec_lo, s10
; %bb.2973:                             ;   in Loop: Header=BB12_1634 Depth=1
	v_bfe_u32 v7, v6, 16, 1
	s_delay_alu instid0(VALU_DEP_1)
	v_add3_u32 v37, v6, v7, 0x7fff
                                        ; implicit-def: $vgpr6
; %bb.2974:                             ;   in Loop: Header=BB12_1634 Depth=1
	s_and_not1_saveexec_b32 s10, s10
; %bb.2975:                             ;   in Loop: Header=BB12_1634 Depth=1
	v_and_b32_e32 v7, 0xffff, v6
	v_or_b32_e32 v8, 0x10000, v6
	s_delay_alu instid0(VALU_DEP_2) | instskip(NEXT) | instid1(VALU_DEP_2)
	v_cmp_eq_u32_e32 vcc_lo, 0, v7
	v_cndmask_b32_e32 v37, v8, v6, vcc_lo
; %bb.2976:                             ;   in Loop: Header=BB12_1634 Depth=1
	s_or_b32 exec_lo, exec_lo, s10
	v_mul_f32_e32 v6, v83, v55
	s_mov_b32 s10, exec_lo
                                        ; implicit-def: $vgpr36
	s_delay_alu instid0(VALU_DEP_1) | instskip(NEXT) | instid1(VALU_DEP_1)
	v_and_b32_e32 v7, 0x7f800000, v6
	v_cmpx_ne_u32_e32 0x7f800000, v7
	s_xor_b32 s10, exec_lo, s10
; %bb.2977:                             ;   in Loop: Header=BB12_1634 Depth=1
	v_bfe_u32 v7, v6, 16, 1
	s_delay_alu instid0(VALU_DEP_1)
	v_add3_u32 v36, v6, v7, 0x7fff
                                        ; implicit-def: $vgpr6
; %bb.2978:                             ;   in Loop: Header=BB12_1634 Depth=1
	s_and_not1_saveexec_b32 s10, s10
; %bb.2979:                             ;   in Loop: Header=BB12_1634 Depth=1
	v_and_b32_e32 v7, 0xffff, v6
	v_or_b32_e32 v8, 0x10000, v6
	s_delay_alu instid0(VALU_DEP_2) | instskip(NEXT) | instid1(VALU_DEP_2)
	v_cmp_eq_u32_e32 vcc_lo, 0, v7
	v_cndmask_b32_e32 v36, v8, v6, vcc_lo
; %bb.2980:                             ;   in Loop: Header=BB12_1634 Depth=1
	s_or_b32 exec_lo, exec_lo, s10
	v_mul_f32_e32 v6, v81, v55
	s_mov_b32 s10, exec_lo
                                        ; implicit-def: $vgpr35
	s_delay_alu instid0(VALU_DEP_1) | instskip(NEXT) | instid1(VALU_DEP_1)
	v_and_b32_e32 v7, 0x7f800000, v6
	v_cmpx_ne_u32_e32 0x7f800000, v7
	s_xor_b32 s10, exec_lo, s10
; %bb.2981:                             ;   in Loop: Header=BB12_1634 Depth=1
	v_bfe_u32 v7, v6, 16, 1
	s_delay_alu instid0(VALU_DEP_1)
	v_add3_u32 v35, v6, v7, 0x7fff
                                        ; implicit-def: $vgpr6
; %bb.2982:                             ;   in Loop: Header=BB12_1634 Depth=1
	s_and_not1_saveexec_b32 s10, s10
; %bb.2983:                             ;   in Loop: Header=BB12_1634 Depth=1
	v_and_b32_e32 v7, 0xffff, v6
	v_or_b32_e32 v8, 0x10000, v6
	s_delay_alu instid0(VALU_DEP_2) | instskip(NEXT) | instid1(VALU_DEP_2)
	v_cmp_eq_u32_e32 vcc_lo, 0, v7
	v_cndmask_b32_e32 v35, v8, v6, vcc_lo
; %bb.2984:                             ;   in Loop: Header=BB12_1634 Depth=1
	s_or_b32 exec_lo, exec_lo, s10
	v_mul_f32_e32 v6, v71, v55
	s_mov_b32 s10, exec_lo
                                        ; implicit-def: $vgpr34
	s_delay_alu instid0(VALU_DEP_1) | instskip(NEXT) | instid1(VALU_DEP_1)
	v_and_b32_e32 v7, 0x7f800000, v6
	v_cmpx_ne_u32_e32 0x7f800000, v7
	s_xor_b32 s10, exec_lo, s10
; %bb.2985:                             ;   in Loop: Header=BB12_1634 Depth=1
	v_bfe_u32 v7, v6, 16, 1
	s_delay_alu instid0(VALU_DEP_1)
	v_add3_u32 v34, v6, v7, 0x7fff
                                        ; implicit-def: $vgpr6
; %bb.2986:                             ;   in Loop: Header=BB12_1634 Depth=1
	s_and_not1_saveexec_b32 s10, s10
; %bb.2987:                             ;   in Loop: Header=BB12_1634 Depth=1
	v_and_b32_e32 v7, 0xffff, v6
	v_or_b32_e32 v8, 0x10000, v6
	s_delay_alu instid0(VALU_DEP_2) | instskip(NEXT) | instid1(VALU_DEP_2)
	v_cmp_eq_u32_e32 vcc_lo, 0, v7
	v_cndmask_b32_e32 v34, v8, v6, vcc_lo
; %bb.2988:                             ;   in Loop: Header=BB12_1634 Depth=1
	s_or_b32 exec_lo, exec_lo, s10
	v_mul_f32_e32 v6, v68, v55
	s_mov_b32 s10, exec_lo
                                        ; implicit-def: $vgpr33
	s_delay_alu instid0(VALU_DEP_1) | instskip(NEXT) | instid1(VALU_DEP_1)
	v_and_b32_e32 v7, 0x7f800000, v6
	v_cmpx_ne_u32_e32 0x7f800000, v7
	s_xor_b32 s10, exec_lo, s10
; %bb.2989:                             ;   in Loop: Header=BB12_1634 Depth=1
	v_bfe_u32 v7, v6, 16, 1
	s_delay_alu instid0(VALU_DEP_1)
	v_add3_u32 v33, v6, v7, 0x7fff
                                        ; implicit-def: $vgpr6
; %bb.2990:                             ;   in Loop: Header=BB12_1634 Depth=1
	s_and_not1_saveexec_b32 s10, s10
; %bb.2991:                             ;   in Loop: Header=BB12_1634 Depth=1
	v_and_b32_e32 v7, 0xffff, v6
	v_or_b32_e32 v8, 0x10000, v6
	s_delay_alu instid0(VALU_DEP_2) | instskip(NEXT) | instid1(VALU_DEP_2)
	v_cmp_eq_u32_e32 vcc_lo, 0, v7
	v_cndmask_b32_e32 v33, v8, v6, vcc_lo
; %bb.2992:                             ;   in Loop: Header=BB12_1634 Depth=1
	s_or_b32 exec_lo, exec_lo, s10
	v_mul_f32_e32 v6, v67, v55
	s_mov_b32 s10, exec_lo
                                        ; implicit-def: $vgpr32
	s_delay_alu instid0(VALU_DEP_1) | instskip(NEXT) | instid1(VALU_DEP_1)
	v_and_b32_e32 v7, 0x7f800000, v6
	v_cmpx_ne_u32_e32 0x7f800000, v7
	s_xor_b32 s10, exec_lo, s10
; %bb.2993:                             ;   in Loop: Header=BB12_1634 Depth=1
	v_bfe_u32 v7, v6, 16, 1
	s_delay_alu instid0(VALU_DEP_1)
	v_add3_u32 v32, v6, v7, 0x7fff
                                        ; implicit-def: $vgpr6
; %bb.2994:                             ;   in Loop: Header=BB12_1634 Depth=1
	s_and_not1_saveexec_b32 s10, s10
; %bb.2995:                             ;   in Loop: Header=BB12_1634 Depth=1
	v_and_b32_e32 v7, 0xffff, v6
	v_or_b32_e32 v8, 0x10000, v6
	s_delay_alu instid0(VALU_DEP_2) | instskip(NEXT) | instid1(VALU_DEP_2)
	v_cmp_eq_u32_e32 vcc_lo, 0, v7
	v_cndmask_b32_e32 v32, v8, v6, vcc_lo
; %bb.2996:                             ;   in Loop: Header=BB12_1634 Depth=1
	s_or_b32 exec_lo, exec_lo, s10
	v_mul_f32_e32 v6, v66, v55
	s_mov_b32 s10, exec_lo
                                        ; implicit-def: $vgpr29
	s_delay_alu instid0(VALU_DEP_1) | instskip(NEXT) | instid1(VALU_DEP_1)
	v_and_b32_e32 v7, 0x7f800000, v6
	v_cmpx_ne_u32_e32 0x7f800000, v7
	s_xor_b32 s10, exec_lo, s10
; %bb.2997:                             ;   in Loop: Header=BB12_1634 Depth=1
	v_bfe_u32 v7, v6, 16, 1
	s_delay_alu instid0(VALU_DEP_1)
	v_add3_u32 v29, v6, v7, 0x7fff
                                        ; implicit-def: $vgpr6
; %bb.2998:                             ;   in Loop: Header=BB12_1634 Depth=1
	s_and_not1_saveexec_b32 s10, s10
; %bb.2999:                             ;   in Loop: Header=BB12_1634 Depth=1
	v_and_b32_e32 v7, 0xffff, v6
	v_or_b32_e32 v8, 0x10000, v6
	s_delay_alu instid0(VALU_DEP_2) | instskip(NEXT) | instid1(VALU_DEP_2)
	v_cmp_eq_u32_e32 vcc_lo, 0, v7
	v_cndmask_b32_e32 v29, v8, v6, vcc_lo
; %bb.3000:                             ;   in Loop: Header=BB12_1634 Depth=1
	s_or_b32 exec_lo, exec_lo, s10
	v_mul_f32_e32 v6, v65, v55
	s_mov_b32 s10, exec_lo
                                        ; implicit-def: $vgpr28
	s_delay_alu instid0(VALU_DEP_1) | instskip(NEXT) | instid1(VALU_DEP_1)
	v_and_b32_e32 v7, 0x7f800000, v6
	v_cmpx_ne_u32_e32 0x7f800000, v7
	s_xor_b32 s10, exec_lo, s10
; %bb.3001:                             ;   in Loop: Header=BB12_1634 Depth=1
	v_bfe_u32 v7, v6, 16, 1
	s_delay_alu instid0(VALU_DEP_1)
	v_add3_u32 v28, v6, v7, 0x7fff
                                        ; implicit-def: $vgpr6
; %bb.3002:                             ;   in Loop: Header=BB12_1634 Depth=1
	s_and_not1_saveexec_b32 s10, s10
; %bb.3003:                             ;   in Loop: Header=BB12_1634 Depth=1
	v_and_b32_e32 v7, 0xffff, v6
	v_or_b32_e32 v8, 0x10000, v6
	s_delay_alu instid0(VALU_DEP_2) | instskip(NEXT) | instid1(VALU_DEP_2)
	v_cmp_eq_u32_e32 vcc_lo, 0, v7
	v_cndmask_b32_e32 v28, v8, v6, vcc_lo
; %bb.3004:                             ;   in Loop: Header=BB12_1634 Depth=1
	s_or_b32 exec_lo, exec_lo, s10
	v_mul_f32_e32 v6, v64, v55
	s_mov_b32 s10, exec_lo
                                        ; implicit-def: $vgpr27
	s_delay_alu instid0(VALU_DEP_1) | instskip(NEXT) | instid1(VALU_DEP_1)
	v_and_b32_e32 v7, 0x7f800000, v6
	v_cmpx_ne_u32_e32 0x7f800000, v7
	s_xor_b32 s10, exec_lo, s10
; %bb.3005:                             ;   in Loop: Header=BB12_1634 Depth=1
	v_bfe_u32 v7, v6, 16, 1
	s_delay_alu instid0(VALU_DEP_1)
	v_add3_u32 v27, v6, v7, 0x7fff
                                        ; implicit-def: $vgpr6
; %bb.3006:                             ;   in Loop: Header=BB12_1634 Depth=1
	s_and_not1_saveexec_b32 s10, s10
; %bb.3007:                             ;   in Loop: Header=BB12_1634 Depth=1
	v_and_b32_e32 v7, 0xffff, v6
	v_or_b32_e32 v8, 0x10000, v6
	s_delay_alu instid0(VALU_DEP_2) | instskip(NEXT) | instid1(VALU_DEP_2)
	v_cmp_eq_u32_e32 vcc_lo, 0, v7
	v_cndmask_b32_e32 v27, v8, v6, vcc_lo
; %bb.3008:                             ;   in Loop: Header=BB12_1634 Depth=1
	s_or_b32 exec_lo, exec_lo, s10
	v_mul_f32_e32 v6, v54, v55
	s_mov_b32 s10, exec_lo
                                        ; implicit-def: $vgpr26
	s_delay_alu instid0(VALU_DEP_1) | instskip(NEXT) | instid1(VALU_DEP_1)
	v_and_b32_e32 v7, 0x7f800000, v6
	v_cmpx_ne_u32_e32 0x7f800000, v7
	s_xor_b32 s10, exec_lo, s10
; %bb.3009:                             ;   in Loop: Header=BB12_1634 Depth=1
	v_bfe_u32 v7, v6, 16, 1
	s_delay_alu instid0(VALU_DEP_1)
	v_add3_u32 v26, v6, v7, 0x7fff
                                        ; implicit-def: $vgpr6
; %bb.3010:                             ;   in Loop: Header=BB12_1634 Depth=1
	s_and_not1_saveexec_b32 s10, s10
; %bb.3011:                             ;   in Loop: Header=BB12_1634 Depth=1
	v_and_b32_e32 v7, 0xffff, v6
	v_or_b32_e32 v8, 0x10000, v6
	s_delay_alu instid0(VALU_DEP_2) | instskip(NEXT) | instid1(VALU_DEP_2)
	v_cmp_eq_u32_e32 vcc_lo, 0, v7
	v_cndmask_b32_e32 v26, v8, v6, vcc_lo
; %bb.3012:                             ;   in Loop: Header=BB12_1634 Depth=1
	s_or_b32 exec_lo, exec_lo, s10
	v_mul_f32_e32 v6, v52, v55
	s_mov_b32 s10, exec_lo
                                        ; implicit-def: $vgpr25
	s_delay_alu instid0(VALU_DEP_1) | instskip(NEXT) | instid1(VALU_DEP_1)
	v_and_b32_e32 v7, 0x7f800000, v6
	v_cmpx_ne_u32_e32 0x7f800000, v7
	s_xor_b32 s10, exec_lo, s10
; %bb.3013:                             ;   in Loop: Header=BB12_1634 Depth=1
	v_bfe_u32 v7, v6, 16, 1
	s_delay_alu instid0(VALU_DEP_1)
	v_add3_u32 v25, v6, v7, 0x7fff
                                        ; implicit-def: $vgpr6
; %bb.3014:                             ;   in Loop: Header=BB12_1634 Depth=1
	s_and_not1_saveexec_b32 s10, s10
; %bb.3015:                             ;   in Loop: Header=BB12_1634 Depth=1
	v_and_b32_e32 v7, 0xffff, v6
	v_or_b32_e32 v8, 0x10000, v6
	s_delay_alu instid0(VALU_DEP_2) | instskip(NEXT) | instid1(VALU_DEP_2)
	v_cmp_eq_u32_e32 vcc_lo, 0, v7
	v_cndmask_b32_e32 v25, v8, v6, vcc_lo
; %bb.3016:                             ;   in Loop: Header=BB12_1634 Depth=1
	s_or_b32 exec_lo, exec_lo, s10
	v_mul_f32_e32 v6, v51, v55
	s_mov_b32 s10, exec_lo
                                        ; implicit-def: $vgpr13
	s_delay_alu instid0(VALU_DEP_1) | instskip(NEXT) | instid1(VALU_DEP_1)
	v_and_b32_e32 v7, 0x7f800000, v6
	v_cmpx_ne_u32_e32 0x7f800000, v7
	s_xor_b32 s10, exec_lo, s10
; %bb.3017:                             ;   in Loop: Header=BB12_1634 Depth=1
	v_bfe_u32 v7, v6, 16, 1
	s_delay_alu instid0(VALU_DEP_1)
	v_add3_u32 v13, v6, v7, 0x7fff
                                        ; implicit-def: $vgpr6
; %bb.3018:                             ;   in Loop: Header=BB12_1634 Depth=1
	s_and_not1_saveexec_b32 s10, s10
; %bb.3019:                             ;   in Loop: Header=BB12_1634 Depth=1
	v_and_b32_e32 v7, 0xffff, v6
	v_or_b32_e32 v8, 0x10000, v6
	s_delay_alu instid0(VALU_DEP_2) | instskip(NEXT) | instid1(VALU_DEP_2)
	v_cmp_eq_u32_e32 vcc_lo, 0, v7
	v_cndmask_b32_e32 v13, v8, v6, vcc_lo
; %bb.3020:                             ;   in Loop: Header=BB12_1634 Depth=1
	s_or_b32 exec_lo, exec_lo, s10
	v_mul_f32_e32 v5, v5, v55
	s_mov_b32 s10, exec_lo
                                        ; implicit-def: $vgpr12
	s_delay_alu instid0(VALU_DEP_1) | instskip(NEXT) | instid1(VALU_DEP_1)
	v_and_b32_e32 v6, 0x7f800000, v5
	v_cmpx_ne_u32_e32 0x7f800000, v6
	s_xor_b32 s10, exec_lo, s10
; %bb.3021:                             ;   in Loop: Header=BB12_1634 Depth=1
	v_bfe_u32 v6, v5, 16, 1
	s_delay_alu instid0(VALU_DEP_1)
	v_add3_u32 v12, v5, v6, 0x7fff
                                        ; implicit-def: $vgpr5
; %bb.3022:                             ;   in Loop: Header=BB12_1634 Depth=1
	s_and_not1_saveexec_b32 s10, s10
; %bb.3023:                             ;   in Loop: Header=BB12_1634 Depth=1
	v_and_b32_e32 v6, 0xffff, v5
	v_or_b32_e32 v7, 0x10000, v5
	s_delay_alu instid0(VALU_DEP_2) | instskip(NEXT) | instid1(VALU_DEP_2)
	v_cmp_eq_u32_e32 vcc_lo, 0, v6
	v_cndmask_b32_e32 v12, v7, v5, vcc_lo
; %bb.3024:                             ;   in Loop: Header=BB12_1634 Depth=1
	s_or_b32 exec_lo, exec_lo, s10
	v_mul_f32_e32 v5, v4, v55
	s_delay_alu instid0(VALU_DEP_1) | instskip(NEXT) | instid1(VALU_DEP_1)
	v_and_b32_e32 v4, 0x7f800000, v5
	v_cmp_ne_u32_e32 vcc_lo, 0x7f800000, v4
                                        ; implicit-def: $vgpr4
	s_and_saveexec_b32 s10, vcc_lo
	s_delay_alu instid0(SALU_CYCLE_1)
	s_xor_b32 s10, exec_lo, s10
; %bb.3025:                             ;   in Loop: Header=BB12_1634 Depth=1
	v_bfe_u32 v4, v5, 16, 1
	s_delay_alu instid0(VALU_DEP_1)
	v_add3_u32 v4, v5, v4, 0x7fff
                                        ; implicit-def: $vgpr5
; %bb.3026:                             ;   in Loop: Header=BB12_1634 Depth=1
	s_and_not1_saveexec_b32 s10, s10
; %bb.3027:                             ;   in Loop: Header=BB12_1634 Depth=1
	v_and_b32_e32 v4, 0xffff, v5
	v_or_b32_e32 v6, 0x10000, v5
	s_delay_alu instid0(VALU_DEP_2) | instskip(NEXT) | instid1(VALU_DEP_2)
	v_cmp_eq_u32_e32 vcc_lo, 0, v4
	v_cndmask_b32_e32 v4, v6, v5, vcc_lo
; %bb.3028:                             ;   in Loop: Header=BB12_1634 Depth=1
	s_or_b32 exec_lo, exec_lo, s10
	v_and_b32_e32 v5, 0xffff0000, v38
	s_delay_alu instid0(VALU_DEP_1) | instskip(NEXT) | instid1(VALU_DEP_1)
	v_add_f32_e32 v6, v50, v5
	v_and_b32_e32 v5, 0x7f800000, v6
	s_delay_alu instid0(VALU_DEP_1) | instskip(SKIP_1) | instid1(SALU_CYCLE_1)
	v_cmp_ne_u32_e32 vcc_lo, 0x7f800000, v5
                                        ; implicit-def: $vgpr5
	s_and_saveexec_b32 s10, vcc_lo
	s_xor_b32 s10, exec_lo, s10
; %bb.3029:                             ;   in Loop: Header=BB12_1634 Depth=1
	v_bfe_u32 v5, v6, 16, 1
	s_delay_alu instid0(VALU_DEP_1)
	v_add3_u32 v5, v6, v5, 0x7fff
                                        ; implicit-def: $vgpr6
; %bb.3030:                             ;   in Loop: Header=BB12_1634 Depth=1
	s_and_not1_saveexec_b32 s10, s10
; %bb.3031:                             ;   in Loop: Header=BB12_1634 Depth=1
	v_and_b32_e32 v5, 0xffff, v6
	v_or_b32_e32 v7, 0x10000, v6
	s_delay_alu instid0(VALU_DEP_2) | instskip(NEXT) | instid1(VALU_DEP_2)
	v_cmp_eq_u32_e32 vcc_lo, 0, v5
	v_cndmask_b32_e32 v5, v7, v6, vcc_lo
; %bb.3032:                             ;   in Loop: Header=BB12_1634 Depth=1
	s_or_b32 exec_lo, exec_lo, s10
	v_and_b32_e32 v6, 0xffff0000, v53
	s_mov_b32 s10, exec_lo
                                        ; implicit-def: $vgpr38
	s_delay_alu instid0(VALU_DEP_1) | instskip(NEXT) | instid1(VALU_DEP_1)
	v_add_f32_e32 v6, v49, v6
	v_and_b32_e32 v7, 0x7f800000, v6
	s_delay_alu instid0(VALU_DEP_1)
	v_cmpx_ne_u32_e32 0x7f800000, v7
	s_xor_b32 s10, exec_lo, s10
; %bb.3033:                             ;   in Loop: Header=BB12_1634 Depth=1
	v_bfe_u32 v7, v6, 16, 1
	s_delay_alu instid0(VALU_DEP_1)
	v_add3_u32 v38, v6, v7, 0x7fff
                                        ; implicit-def: $vgpr6
; %bb.3034:                             ;   in Loop: Header=BB12_1634 Depth=1
	s_and_not1_saveexec_b32 s10, s10
; %bb.3035:                             ;   in Loop: Header=BB12_1634 Depth=1
	v_and_b32_e32 v7, 0xffff, v6
	v_or_b32_e32 v8, 0x10000, v6
	s_delay_alu instid0(VALU_DEP_2) | instskip(NEXT) | instid1(VALU_DEP_2)
	v_cmp_eq_u32_e32 vcc_lo, 0, v7
	v_cndmask_b32_e32 v38, v8, v6, vcc_lo
; %bb.3036:                             ;   in Loop: Header=BB12_1634 Depth=1
	s_or_b32 exec_lo, exec_lo, s10
	v_and_b32_e32 v6, 0xffff0000, v37
	s_mov_b32 s10, exec_lo
                                        ; implicit-def: $vgpr37
	s_delay_alu instid0(VALU_DEP_1) | instskip(NEXT) | instid1(VALU_DEP_1)
	v_add_f32_e32 v6, v48, v6
	v_and_b32_e32 v7, 0x7f800000, v6
	s_delay_alu instid0(VALU_DEP_1)
	v_cmpx_ne_u32_e32 0x7f800000, v7
	s_xor_b32 s10, exec_lo, s10
; %bb.3037:                             ;   in Loop: Header=BB12_1634 Depth=1
	v_bfe_u32 v7, v6, 16, 1
	s_delay_alu instid0(VALU_DEP_1)
	v_add3_u32 v37, v6, v7, 0x7fff
                                        ; implicit-def: $vgpr6
; %bb.3038:                             ;   in Loop: Header=BB12_1634 Depth=1
	s_and_not1_saveexec_b32 s10, s10
; %bb.3039:                             ;   in Loop: Header=BB12_1634 Depth=1
	v_and_b32_e32 v7, 0xffff, v6
	v_or_b32_e32 v8, 0x10000, v6
	s_delay_alu instid0(VALU_DEP_2) | instskip(NEXT) | instid1(VALU_DEP_2)
	v_cmp_eq_u32_e32 vcc_lo, 0, v7
	v_cndmask_b32_e32 v37, v8, v6, vcc_lo
; %bb.3040:                             ;   in Loop: Header=BB12_1634 Depth=1
	s_or_b32 exec_lo, exec_lo, s10
	v_and_b32_e32 v6, 0xffff0000, v36
	s_mov_b32 s10, exec_lo
	s_delay_alu instid0(VALU_DEP_1) | instskip(NEXT) | instid1(VALU_DEP_1)
	v_add_f32_e32 v6, v31, v6
                                        ; implicit-def: $vgpr31
	v_and_b32_e32 v7, 0x7f800000, v6
	s_delay_alu instid0(VALU_DEP_1)
	v_cmpx_ne_u32_e32 0x7f800000, v7
	s_xor_b32 s10, exec_lo, s10
; %bb.3041:                             ;   in Loop: Header=BB12_1634 Depth=1
	v_bfe_u32 v7, v6, 16, 1
	s_delay_alu instid0(VALU_DEP_1)
	v_add3_u32 v31, v6, v7, 0x7fff
                                        ; implicit-def: $vgpr6
; %bb.3042:                             ;   in Loop: Header=BB12_1634 Depth=1
	s_and_not1_saveexec_b32 s10, s10
; %bb.3043:                             ;   in Loop: Header=BB12_1634 Depth=1
	v_and_b32_e32 v7, 0xffff, v6
	v_or_b32_e32 v8, 0x10000, v6
	s_delay_alu instid0(VALU_DEP_2) | instskip(NEXT) | instid1(VALU_DEP_2)
	v_cmp_eq_u32_e32 vcc_lo, 0, v7
	v_cndmask_b32_e32 v31, v8, v6, vcc_lo
; %bb.3044:                             ;   in Loop: Header=BB12_1634 Depth=1
	s_or_b32 exec_lo, exec_lo, s10
	v_and_b32_e32 v6, 0xffff0000, v35
	s_mov_b32 s10, exec_lo
	s_delay_alu instid0(VALU_DEP_1) | instskip(NEXT) | instid1(VALU_DEP_1)
	v_add_f32_e32 v6, v24, v6
                                        ; implicit-def: $vgpr24
	v_and_b32_e32 v7, 0x7f800000, v6
	s_delay_alu instid0(VALU_DEP_1)
	v_cmpx_ne_u32_e32 0x7f800000, v7
	s_xor_b32 s10, exec_lo, s10
; %bb.3045:                             ;   in Loop: Header=BB12_1634 Depth=1
	v_bfe_u32 v7, v6, 16, 1
	s_delay_alu instid0(VALU_DEP_1)
	v_add3_u32 v24, v6, v7, 0x7fff
                                        ; implicit-def: $vgpr6
; %bb.3046:                             ;   in Loop: Header=BB12_1634 Depth=1
	s_and_not1_saveexec_b32 s10, s10
; %bb.3047:                             ;   in Loop: Header=BB12_1634 Depth=1
	v_and_b32_e32 v7, 0xffff, v6
	v_or_b32_e32 v8, 0x10000, v6
	s_delay_alu instid0(VALU_DEP_2) | instskip(NEXT) | instid1(VALU_DEP_2)
	v_cmp_eq_u32_e32 vcc_lo, 0, v7
	v_cndmask_b32_e32 v24, v8, v6, vcc_lo
; %bb.3048:                             ;   in Loop: Header=BB12_1634 Depth=1
	s_or_b32 exec_lo, exec_lo, s10
	v_and_b32_e32 v6, 0xffff0000, v34
	s_mov_b32 s10, exec_lo
	s_delay_alu instid0(VALU_DEP_1) | instskip(NEXT) | instid1(VALU_DEP_1)
	v_add_f32_e32 v6, v23, v6
                                        ; implicit-def: $vgpr23
	v_and_b32_e32 v7, 0x7f800000, v6
	s_delay_alu instid0(VALU_DEP_1)
	v_cmpx_ne_u32_e32 0x7f800000, v7
	s_xor_b32 s10, exec_lo, s10
; %bb.3049:                             ;   in Loop: Header=BB12_1634 Depth=1
	v_bfe_u32 v7, v6, 16, 1
	s_delay_alu instid0(VALU_DEP_1)
	v_add3_u32 v23, v6, v7, 0x7fff
                                        ; implicit-def: $vgpr6
; %bb.3050:                             ;   in Loop: Header=BB12_1634 Depth=1
	s_and_not1_saveexec_b32 s10, s10
; %bb.3051:                             ;   in Loop: Header=BB12_1634 Depth=1
	v_and_b32_e32 v7, 0xffff, v6
	v_or_b32_e32 v8, 0x10000, v6
	s_delay_alu instid0(VALU_DEP_2) | instskip(NEXT) | instid1(VALU_DEP_2)
	v_cmp_eq_u32_e32 vcc_lo, 0, v7
	v_cndmask_b32_e32 v23, v8, v6, vcc_lo
; %bb.3052:                             ;   in Loop: Header=BB12_1634 Depth=1
	s_or_b32 exec_lo, exec_lo, s10
	v_and_b32_e32 v6, 0xffff0000, v33
	s_mov_b32 s10, exec_lo
	s_delay_alu instid0(VALU_DEP_1) | instskip(NEXT) | instid1(VALU_DEP_1)
	v_add_f32_e32 v6, v22, v6
                                        ; implicit-def: $vgpr22
	v_and_b32_e32 v7, 0x7f800000, v6
	s_delay_alu instid0(VALU_DEP_1)
	v_cmpx_ne_u32_e32 0x7f800000, v7
	s_xor_b32 s10, exec_lo, s10
; %bb.3053:                             ;   in Loop: Header=BB12_1634 Depth=1
	v_bfe_u32 v7, v6, 16, 1
	s_delay_alu instid0(VALU_DEP_1)
	v_add3_u32 v22, v6, v7, 0x7fff
                                        ; implicit-def: $vgpr6
; %bb.3054:                             ;   in Loop: Header=BB12_1634 Depth=1
	s_and_not1_saveexec_b32 s10, s10
; %bb.3055:                             ;   in Loop: Header=BB12_1634 Depth=1
	v_and_b32_e32 v7, 0xffff, v6
	v_or_b32_e32 v8, 0x10000, v6
	s_delay_alu instid0(VALU_DEP_2) | instskip(NEXT) | instid1(VALU_DEP_2)
	v_cmp_eq_u32_e32 vcc_lo, 0, v7
	v_cndmask_b32_e32 v22, v8, v6, vcc_lo
; %bb.3056:                             ;   in Loop: Header=BB12_1634 Depth=1
	s_or_b32 exec_lo, exec_lo, s10
	v_and_b32_e32 v6, 0xffff0000, v32
	s_mov_b32 s10, exec_lo
	s_delay_alu instid0(VALU_DEP_1) | instskip(NEXT) | instid1(VALU_DEP_1)
	v_add_f32_e32 v6, v21, v6
                                        ; implicit-def: $vgpr21
	v_and_b32_e32 v7, 0x7f800000, v6
	s_delay_alu instid0(VALU_DEP_1)
	v_cmpx_ne_u32_e32 0x7f800000, v7
	s_xor_b32 s10, exec_lo, s10
; %bb.3057:                             ;   in Loop: Header=BB12_1634 Depth=1
	v_bfe_u32 v7, v6, 16, 1
	s_delay_alu instid0(VALU_DEP_1)
	v_add3_u32 v21, v6, v7, 0x7fff
                                        ; implicit-def: $vgpr6
; %bb.3058:                             ;   in Loop: Header=BB12_1634 Depth=1
	s_and_not1_saveexec_b32 s10, s10
; %bb.3059:                             ;   in Loop: Header=BB12_1634 Depth=1
	v_and_b32_e32 v7, 0xffff, v6
	v_or_b32_e32 v8, 0x10000, v6
	s_delay_alu instid0(VALU_DEP_2) | instskip(NEXT) | instid1(VALU_DEP_2)
	v_cmp_eq_u32_e32 vcc_lo, 0, v7
	v_cndmask_b32_e32 v21, v8, v6, vcc_lo
; %bb.3060:                             ;   in Loop: Header=BB12_1634 Depth=1
	s_or_b32 exec_lo, exec_lo, s10
	v_and_b32_e32 v6, 0xffff0000, v29
	s_mov_b32 s10, exec_lo
	s_delay_alu instid0(VALU_DEP_1) | instskip(NEXT) | instid1(VALU_DEP_1)
	v_add_f32_e32 v6, v17, v6
                                        ; implicit-def: $vgpr17
	v_and_b32_e32 v7, 0x7f800000, v6
	s_delay_alu instid0(VALU_DEP_1)
	v_cmpx_ne_u32_e32 0x7f800000, v7
	s_xor_b32 s10, exec_lo, s10
; %bb.3061:                             ;   in Loop: Header=BB12_1634 Depth=1
	v_bfe_u32 v7, v6, 16, 1
	s_delay_alu instid0(VALU_DEP_1)
	v_add3_u32 v17, v6, v7, 0x7fff
                                        ; implicit-def: $vgpr6
; %bb.3062:                             ;   in Loop: Header=BB12_1634 Depth=1
	s_and_not1_saveexec_b32 s10, s10
; %bb.3063:                             ;   in Loop: Header=BB12_1634 Depth=1
	v_and_b32_e32 v7, 0xffff, v6
	v_or_b32_e32 v8, 0x10000, v6
	s_delay_alu instid0(VALU_DEP_2) | instskip(NEXT) | instid1(VALU_DEP_2)
	v_cmp_eq_u32_e32 vcc_lo, 0, v7
	v_cndmask_b32_e32 v17, v8, v6, vcc_lo
; %bb.3064:                             ;   in Loop: Header=BB12_1634 Depth=1
	s_or_b32 exec_lo, exec_lo, s10
	v_and_b32_e32 v6, 0xffff0000, v28
	s_mov_b32 s10, exec_lo
	s_delay_alu instid0(VALU_DEP_1) | instskip(NEXT) | instid1(VALU_DEP_1)
	v_add_f32_e32 v6, v16, v6
                                        ; implicit-def: $vgpr16
	v_and_b32_e32 v7, 0x7f800000, v6
	s_delay_alu instid0(VALU_DEP_1)
	v_cmpx_ne_u32_e32 0x7f800000, v7
	s_xor_b32 s10, exec_lo, s10
; %bb.3065:                             ;   in Loop: Header=BB12_1634 Depth=1
	v_bfe_u32 v7, v6, 16, 1
	s_delay_alu instid0(VALU_DEP_1)
	v_add3_u32 v16, v6, v7, 0x7fff
                                        ; implicit-def: $vgpr6
; %bb.3066:                             ;   in Loop: Header=BB12_1634 Depth=1
	s_and_not1_saveexec_b32 s10, s10
; %bb.3067:                             ;   in Loop: Header=BB12_1634 Depth=1
	v_and_b32_e32 v7, 0xffff, v6
	v_or_b32_e32 v8, 0x10000, v6
	s_delay_alu instid0(VALU_DEP_2) | instskip(NEXT) | instid1(VALU_DEP_2)
	v_cmp_eq_u32_e32 vcc_lo, 0, v7
	v_cndmask_b32_e32 v16, v8, v6, vcc_lo
; %bb.3068:                             ;   in Loop: Header=BB12_1634 Depth=1
	s_or_b32 exec_lo, exec_lo, s10
	v_and_b32_e32 v6, 0xffff0000, v27
	s_mov_b32 s10, exec_lo
	s_delay_alu instid0(VALU_DEP_1) | instskip(NEXT) | instid1(VALU_DEP_1)
	v_add_f32_e32 v6, v15, v6
                                        ; implicit-def: $vgpr15
	v_and_b32_e32 v7, 0x7f800000, v6
	s_delay_alu instid0(VALU_DEP_1)
	v_cmpx_ne_u32_e32 0x7f800000, v7
	s_xor_b32 s10, exec_lo, s10
; %bb.3069:                             ;   in Loop: Header=BB12_1634 Depth=1
	v_bfe_u32 v7, v6, 16, 1
	s_delay_alu instid0(VALU_DEP_1)
	v_add3_u32 v15, v6, v7, 0x7fff
                                        ; implicit-def: $vgpr6
; %bb.3070:                             ;   in Loop: Header=BB12_1634 Depth=1
	s_and_not1_saveexec_b32 s10, s10
; %bb.3071:                             ;   in Loop: Header=BB12_1634 Depth=1
	v_and_b32_e32 v7, 0xffff, v6
	v_or_b32_e32 v8, 0x10000, v6
	s_delay_alu instid0(VALU_DEP_2) | instskip(NEXT) | instid1(VALU_DEP_2)
	v_cmp_eq_u32_e32 vcc_lo, 0, v7
	v_cndmask_b32_e32 v15, v8, v6, vcc_lo
; %bb.3072:                             ;   in Loop: Header=BB12_1634 Depth=1
	s_or_b32 exec_lo, exec_lo, s10
	v_and_b32_e32 v6, 0xffff0000, v26
	s_mov_b32 s10, exec_lo
	s_delay_alu instid0(VALU_DEP_1) | instskip(NEXT) | instid1(VALU_DEP_1)
	v_add_f32_e32 v6, v14, v6
                                        ; implicit-def: $vgpr14
	v_and_b32_e32 v7, 0x7f800000, v6
	s_delay_alu instid0(VALU_DEP_1)
	v_cmpx_ne_u32_e32 0x7f800000, v7
	s_xor_b32 s10, exec_lo, s10
; %bb.3073:                             ;   in Loop: Header=BB12_1634 Depth=1
	v_bfe_u32 v7, v6, 16, 1
	s_delay_alu instid0(VALU_DEP_1)
	v_add3_u32 v14, v6, v7, 0x7fff
                                        ; implicit-def: $vgpr6
; %bb.3074:                             ;   in Loop: Header=BB12_1634 Depth=1
	s_and_not1_saveexec_b32 s10, s10
; %bb.3075:                             ;   in Loop: Header=BB12_1634 Depth=1
	v_and_b32_e32 v7, 0xffff, v6
	v_or_b32_e32 v8, 0x10000, v6
	s_delay_alu instid0(VALU_DEP_2) | instskip(NEXT) | instid1(VALU_DEP_2)
	v_cmp_eq_u32_e32 vcc_lo, 0, v7
	v_cndmask_b32_e32 v14, v8, v6, vcc_lo
; %bb.3076:                             ;   in Loop: Header=BB12_1634 Depth=1
	s_or_b32 exec_lo, exec_lo, s10
	v_and_b32_e32 v6, 0xffff0000, v25
	s_delay_alu instid0(VALU_DEP_1) | instskip(NEXT) | instid1(VALU_DEP_1)
	v_add_f32_e32 v6, v3, v6
	v_and_b32_e32 v3, 0x7f800000, v6
	s_delay_alu instid0(VALU_DEP_1) | instskip(SKIP_1) | instid1(SALU_CYCLE_1)
	v_cmp_ne_u32_e32 vcc_lo, 0x7f800000, v3
                                        ; implicit-def: $vgpr3
	s_and_saveexec_b32 s10, vcc_lo
	s_xor_b32 s10, exec_lo, s10
; %bb.3077:                             ;   in Loop: Header=BB12_1634 Depth=1
	v_bfe_u32 v3, v6, 16, 1
	s_delay_alu instid0(VALU_DEP_1)
	v_add3_u32 v3, v6, v3, 0x7fff
                                        ; implicit-def: $vgpr6
; %bb.3078:                             ;   in Loop: Header=BB12_1634 Depth=1
	s_and_not1_saveexec_b32 s10, s10
; %bb.3079:                             ;   in Loop: Header=BB12_1634 Depth=1
	v_and_b32_e32 v3, 0xffff, v6
	v_or_b32_e32 v7, 0x10000, v6
	s_delay_alu instid0(VALU_DEP_2) | instskip(NEXT) | instid1(VALU_DEP_2)
	v_cmp_eq_u32_e32 vcc_lo, 0, v3
	v_cndmask_b32_e32 v3, v7, v6, vcc_lo
; %bb.3080:                             ;   in Loop: Header=BB12_1634 Depth=1
	s_or_b32 exec_lo, exec_lo, s10
	v_and_b32_e32 v6, 0xffff0000, v13
	s_delay_alu instid0(VALU_DEP_1) | instskip(NEXT) | instid1(VALU_DEP_1)
	v_add_f32_e32 v6, v2, v6
	v_and_b32_e32 v2, 0x7f800000, v6
	s_delay_alu instid0(VALU_DEP_1) | instskip(SKIP_1) | instid1(SALU_CYCLE_1)
	v_cmp_ne_u32_e32 vcc_lo, 0x7f800000, v2
                                        ; implicit-def: $vgpr2
	s_and_saveexec_b32 s10, vcc_lo
	s_xor_b32 s10, exec_lo, s10
; %bb.3081:                             ;   in Loop: Header=BB12_1634 Depth=1
	v_bfe_u32 v2, v6, 16, 1
	s_delay_alu instid0(VALU_DEP_1)
	v_add3_u32 v2, v6, v2, 0x7fff
                                        ; implicit-def: $vgpr6
; %bb.3082:                             ;   in Loop: Header=BB12_1634 Depth=1
	s_and_not1_saveexec_b32 s10, s10
; %bb.3083:                             ;   in Loop: Header=BB12_1634 Depth=1
	v_and_b32_e32 v2, 0xffff, v6
	v_or_b32_e32 v7, 0x10000, v6
	s_delay_alu instid0(VALU_DEP_2) | instskip(NEXT) | instid1(VALU_DEP_2)
	v_cmp_eq_u32_e32 vcc_lo, 0, v2
	v_cndmask_b32_e32 v2, v7, v6, vcc_lo
; %bb.3084:                             ;   in Loop: Header=BB12_1634 Depth=1
	s_or_b32 exec_lo, exec_lo, s10
	v_and_b32_e32 v6, 0xffff0000, v12
	s_delay_alu instid0(VALU_DEP_1) | instskip(NEXT) | instid1(VALU_DEP_1)
	v_add_f32_e32 v6, v1, v6
	v_and_b32_e32 v1, 0x7f800000, v6
	s_delay_alu instid0(VALU_DEP_1) | instskip(SKIP_1) | instid1(SALU_CYCLE_1)
	v_cmp_ne_u32_e32 vcc_lo, 0x7f800000, v1
                                        ; implicit-def: $vgpr1
	s_and_saveexec_b32 s10, vcc_lo
	s_xor_b32 s10, exec_lo, s10
; %bb.3085:                             ;   in Loop: Header=BB12_1634 Depth=1
	v_bfe_u32 v1, v6, 16, 1
	s_delay_alu instid0(VALU_DEP_1)
	v_add3_u32 v1, v6, v1, 0x7fff
                                        ; implicit-def: $vgpr6
; %bb.3086:                             ;   in Loop: Header=BB12_1634 Depth=1
	s_and_not1_saveexec_b32 s10, s10
; %bb.3087:                             ;   in Loop: Header=BB12_1634 Depth=1
	v_and_b32_e32 v1, 0xffff, v6
	v_or_b32_e32 v7, 0x10000, v6
	s_delay_alu instid0(VALU_DEP_2) | instskip(NEXT) | instid1(VALU_DEP_2)
	v_cmp_eq_u32_e32 vcc_lo, 0, v1
	v_cndmask_b32_e32 v1, v7, v6, vcc_lo
; %bb.3088:                             ;   in Loop: Header=BB12_1634 Depth=1
	s_or_b32 exec_lo, exec_lo, s10
	v_and_b32_e32 v4, 0xffff0000, v4
	s_delay_alu instid0(VALU_DEP_1) | instskip(NEXT) | instid1(VALU_DEP_1)
	v_add_f32_e32 v4, v0, v4
	v_and_b32_e32 v0, 0x7f800000, v4
	s_delay_alu instid0(VALU_DEP_1) | instskip(SKIP_1) | instid1(SALU_CYCLE_1)
	v_cmp_ne_u32_e32 vcc_lo, 0x7f800000, v0
                                        ; implicit-def: $vgpr0
	s_and_saveexec_b32 s10, vcc_lo
	s_xor_b32 s10, exec_lo, s10
; %bb.3089:                             ;   in Loop: Header=BB12_1634 Depth=1
	v_bfe_u32 v0, v4, 16, 1
	s_delay_alu instid0(VALU_DEP_1)
	v_add3_u32 v0, v4, v0, 0x7fff
                                        ; implicit-def: $vgpr4
; %bb.3090:                             ;   in Loop: Header=BB12_1634 Depth=1
	s_and_not1_saveexec_b32 s10, s10
; %bb.3091:                             ;   in Loop: Header=BB12_1634 Depth=1
	v_and_b32_e32 v0, 0xffff, v4
	v_or_b32_e32 v6, 0x10000, v4
	s_delay_alu instid0(VALU_DEP_2) | instskip(NEXT) | instid1(VALU_DEP_2)
	v_cmp_eq_u32_e32 vcc_lo, 0, v0
	v_cndmask_b32_e32 v0, v6, v4, vcc_lo
; %bb.3092:                             ;   in Loop: Header=BB12_1634 Depth=1
	s_or_b32 exec_lo, exec_lo, s10
	s_clause 0xf
	flat_store_d16_hi_b16 v[10:11], v5 th:TH_STORE_NT
	flat_store_d16_hi_b16 v[10:11], v38 offset:64 th:TH_STORE_NT
	flat_store_d16_hi_b16 v[10:11], v37 offset:128 th:TH_STORE_NT
	;; [unrolled: 1-line block ×15, first 2 shown]
.LBB12_3093:                            ;   in Loop: Header=BB12_1634 Depth=1
	s_wait_xcnt 0x0
	s_or_b32 exec_lo, exec_lo, s7
	v_lshlrev_b32_e32 v0, 10, v20
	s_delay_alu instid0(VALU_DEP_1)
	v_cmp_ne_u32_e32 vcc_lo, v102, v0
	s_and_b32 exec_lo, exec_lo, vcc_lo
	s_cbranch_execz .LBB12_3130
; %bb.3094:                             ;   in Loop: Header=BB12_1634 Depth=1
	v_lshlrev_b32_e32 v1, 5, v39
	s_delay_alu instid0(VALU_DEP_1) | instskip(NEXT) | instid1(VALU_DEP_1)
	v_sub_nc_u32_e32 v1, v19, v1
	v_ashrrev_i32_e32 v2, 31, v1
	s_delay_alu instid0(VALU_DEP_1) | instskip(NEXT) | instid1(VALU_DEP_1)
	v_lshrrev_b32_e32 v2, 27, v2
	v_add_nc_u32_e32 v2, v1, v2
	s_delay_alu instid0(VALU_DEP_1) | instskip(NEXT) | instid1(VALU_DEP_1)
	v_and_b32_e32 v3, 0x7fffffe0, v2
	v_dual_lshlrev_b32 v2, 1, v2 :: v_dual_sub_nc_u32 v1, v1, v3
	s_delay_alu instid0(VALU_DEP_1) | instskip(NEXT) | instid1(VALU_DEP_2)
	v_and_b32_e32 v2, 0xffffffc0, v2
	v_lshlrev_b32_e32 v1, 1, v1
	s_delay_alu instid0(VALU_DEP_1) | instskip(NEXT) | instid1(VALU_DEP_1)
	v_add3_u32 v1, v2, v1, v0
	v_sub_nc_u32_e32 v0, v102, v1
	s_delay_alu instid0(VALU_DEP_1)
	v_cmp_lt_i32_e32 vcc_lo, 1, v0
	s_and_b32 exec_lo, exec_lo, vcc_lo
	s_cbranch_execz .LBB12_3130
; %bb.3095:                             ;   in Loop: Header=BB12_1634 Depth=1
	s_trap 2
	s_clause 0x1
	scratch_load_b64 v[2:3], off, s33 offset:328 th:TH_LOAD_LU
	scratch_load_b64 v[8:9], off, s33 offset:264 th:TH_LOAD_LU
	ds_load_b64 v[4:5], v0
	v_add_nc_u32_e32 v6, v1, v18
	s_mov_b32 s28, 0
	s_mov_b32 s26, 0
                                        ; implicit-def: $sgpr27
	s_delay_alu instid0(VALU_DEP_1) | instskip(SKIP_1) | instid1(VALU_DEP_1)
	v_ashrrev_i32_e32 v7, 31, v6
	s_wait_dscnt 0x0
	v_add_nc_u64_e32 v[10:11], v[4:5], v[6:7]
	s_wait_loadcnt 0x1
	v_add_nc_u64_e32 v[2:3], v[2:3], v[6:7]
	s_wait_loadcnt 0x0
	v_add_nc_u64_e32 v[12:13], v[6:7], v[8:9]
	s_branch .LBB12_3097
.LBB12_3096:                            ;   in Loop: Header=BB12_3097 Depth=2
	s_or_b32 exec_lo, exec_lo, s7
	s_delay_alu instid0(VALU_DEP_1) | instskip(SKIP_2) | instid1(VALU_DEP_3)
	v_dual_cndmask_b32 v8, 0, v59, s28 :: v_dual_lshrrev_b32 v1, 16, v1
	v_add_nc_u64_e32 v[4:5], v[10:11], v[76:77]
	v_dual_cndmask_b32 v7, 0, v123, s28 :: v_dual_cndmask_b32 v6, 64, v122, s28
	v_sub_nc_u32_e32 v0, v0, v8
	v_add_nc_u64_e32 v[8:9], v[12:13], v[76:77]
	flat_store_b16 v[2:3], v1 th:TH_STORE_NT
	scratch_store_b16 off, v1, s33 offset:192
	v_cndmask_b32_e64 v11, v11, v5, s28
	v_cmp_gt_i32_e32 vcc_lo, 2, v0
	s_wait_xcnt 0x1
	v_add_nc_u64_e32 v[2:3], v[2:3], v[6:7]
	v_dual_cndmask_b32 v10, v10, v4, s28 :: v_dual_cndmask_b32 v13, v13, v9, s28
	v_cndmask_b32_e64 v12, v12, v8, s28
	s_or_b32 s26, vcc_lo, s26
	s_and_not1_b32 s7, s27, exec_lo
	s_and_b32 s10, s28, exec_lo
	s_delay_alu instid0(SALU_CYCLE_1)
	s_or_b32 s27, s7, s10
	s_wait_xcnt 0x0
	s_and_not1_b32 exec_lo, exec_lo, s26
	s_cbranch_execz .LBB12_3120
.LBB12_3097:                            ;   Parent Loop BB12_1634 Depth=1
                                        ; =>  This Loop Header: Depth=2
                                        ;       Child Loop BB12_3098 Depth 3
                                        ;       Child Loop BB12_3111 Depth 3
	s_add_co_i32 s7, s33, 0xc0
	s_mov_b64 s[12:13], 0
	s_mov_b32 s29, s7
	s_mov_b32 s40, -1
.LBB12_3098:                            ;   Parent Loop BB12_1634 Depth=1
                                        ;     Parent Loop BB12_3097 Depth=2
                                        ; =>    This Inner Loop Header: Depth=3
	s_cmp_eq_u32 s12, 1
	s_cselect_b32 vcc_lo, -1, 0
	s_cmp_eq_u32 s12, 0
	v_dual_cndmask_b32 v5, v13, v11 :: v_dual_cndmask_b32 v4, v12, v10
	s_cselect_b32 s7, -1, 0
	s_and_b32 s10, exec_lo, s40
	s_mov_b64 s[12:13], 1
	s_mov_b32 s40, 0
	flat_load_u16 v1, v[4:5] th:TH_LOAD_NT
	s_wait_xcnt 0x0
	v_add_nc_u64_e32 v[4:5], 64, v[4:5]
	s_delay_alu instid0(VALU_DEP_1)
	v_dual_cndmask_b32 v11, v11, v5 :: v_dual_cndmask_b32 v10, v10, v4
	v_dual_cndmask_b32 v13, v13, v5, s7 :: v_dual_cndmask_b32 v12, v12, v4, s7
	s_add_co_i32 s7, s33, 0xe0
	s_mov_b32 vcc_lo, s10
	s_wait_loadcnt_dscnt 0x0
	scratch_store_b16 off, v1, s29
	s_wait_xcnt 0x0
	s_mov_b32 s29, s7
	s_cbranch_vccnz .LBB12_3098
; %bb.3099:                             ;   in Loop: Header=BB12_3097 Depth=2
	s_and_saveexec_b32 s7, s28
	s_cbranch_execz .LBB12_3109
; %bb.3100:                             ;   in Loop: Header=BB12_3097 Depth=2
	s_trap 2
	scratch_load_u16 v1, off, s33 offset:188
	ds_load_b32 v4, v0
	s_wait_loadcnt_dscnt 0x0
	v_dual_lshlrev_b32 v4, 16, v4 :: v_dual_lshlrev_b32 v1, 16, v1
	s_delay_alu instid0(VALU_DEP_1) | instskip(NEXT) | instid1(VALU_DEP_1)
	v_mul_f32_e32 v1, v4, v1
	v_and_b32_e32 v4, 0x7f800000, v1
	s_delay_alu instid0(VALU_DEP_1) | instskip(SKIP_2) | instid1(SALU_CYCLE_1)
	v_cmp_ne_u32_e32 vcc_lo, 0x7f800000, v4
                                        ; implicit-def: $vgpr4
	s_wait_xcnt 0x0
	s_and_saveexec_b32 s10, vcc_lo
	s_xor_b32 s10, exec_lo, s10
; %bb.3101:                             ;   in Loop: Header=BB12_3097 Depth=2
	v_bfe_u32 v4, v1, 16, 1
	s_delay_alu instid0(VALU_DEP_1)
	v_add3_u32 v4, v1, v4, 0x7fff
                                        ; implicit-def: $vgpr1
; %bb.3102:                             ;   in Loop: Header=BB12_3097 Depth=2
	s_and_not1_saveexec_b32 s10, s10
; %bb.3103:                             ;   in Loop: Header=BB12_3097 Depth=2
	v_and_b32_e32 v4, 0xffff, v1
	v_or_b32_e32 v5, 0x10000, v1
	s_delay_alu instid0(VALU_DEP_2) | instskip(NEXT) | instid1(VALU_DEP_2)
	v_cmp_eq_u32_e32 vcc_lo, 0, v4
	v_cndmask_b32_e32 v4, v5, v1, vcc_lo
; %bb.3104:                             ;   in Loop: Header=BB12_3097 Depth=2
	s_or_b32 exec_lo, exec_lo, s10
	scratch_load_u16 v1, off, s33 offset:190
	v_and_b32_e32 v4, 0xffff0000, v4
	s_wait_loadcnt 0x0
	v_lshlrev_b32_e32 v1, 16, v1
	s_delay_alu instid0(VALU_DEP_1) | instskip(NEXT) | instid1(VALU_DEP_1)
	v_add_f32_e32 v1, v4, v1
	v_and_b32_e32 v4, 0x7f800000, v1
	s_delay_alu instid0(VALU_DEP_1) | instskip(SKIP_2) | instid1(SALU_CYCLE_1)
	v_cmp_ne_u32_e32 vcc_lo, 0x7f800000, v4
                                        ; implicit-def: $vgpr4
	s_wait_xcnt 0x0
	s_and_saveexec_b32 s10, vcc_lo
	s_xor_b32 s10, exec_lo, s10
; %bb.3105:                             ;   in Loop: Header=BB12_3097 Depth=2
	v_bfe_u32 v4, v1, 16, 1
	s_delay_alu instid0(VALU_DEP_1)
	v_add3_u32 v4, v1, v4, 0x7fff
                                        ; implicit-def: $vgpr1
; %bb.3106:                             ;   in Loop: Header=BB12_3097 Depth=2
	s_and_not1_saveexec_b32 s10, s10
; %bb.3107:                             ;   in Loop: Header=BB12_3097 Depth=2
	v_and_b32_e32 v4, 0xffff, v1
	v_or_b32_e32 v5, 0x10000, v1
	s_delay_alu instid0(VALU_DEP_2) | instskip(NEXT) | instid1(VALU_DEP_2)
	v_cmp_eq_u32_e32 vcc_lo, 0, v4
	v_cndmask_b32_e32 v4, v5, v1, vcc_lo
; %bb.3108:                             ;   in Loop: Header=BB12_3097 Depth=2
	s_or_b32 exec_lo, exec_lo, s10
	s_delay_alu instid0(VALU_DEP_1)
	v_lshrrev_b32_e32 v1, 16, v4
	flat_store_b16 v[2:3], v1 th:TH_STORE_NT
	s_wait_xcnt 0x0
	v_add_nc_u64_e32 v[2:3], v[2:3], v[122:123]
	scratch_store_b16 off, v1, s33 offset:188
.LBB12_3109:                            ;   in Loop: Header=BB12_3097 Depth=2
	s_wait_xcnt 0x0
	s_or_b32 exec_lo, exec_lo, s7
	v_sub_nc_u32_e32 v0, v0, v59
	v_add_nc_u64_e32 v[12:13], v[12:13], v[76:77]
	v_add_nc_u64_e32 v[10:11], v[10:11], v[76:77]
	s_delay_alu instid0(VALU_DEP_3)
	v_cmp_lt_i32_e64 s28, 1, v0
	s_and_saveexec_b32 s29, s28
	s_cbranch_execz .LBB12_3112
; %bb.3110:                             ;   in Loop: Header=BB12_3097 Depth=2
	s_add_co_i32 s7, s33, 0xbc
	s_mov_b64 s[12:13], 0
	s_mov_b32 s40, s7
	s_mov_b32 s41, -1
.LBB12_3111:                            ;   Parent Loop BB12_1634 Depth=1
                                        ;     Parent Loop BB12_3097 Depth=2
                                        ; =>    This Inner Loop Header: Depth=3
	s_cmp_eq_u32 s12, 1
	s_cselect_b32 vcc_lo, -1, 0
	s_cmp_eq_u32 s12, 0
	v_dual_cndmask_b32 v5, v13, v11 :: v_dual_cndmask_b32 v4, v12, v10
	s_cselect_b32 s7, -1, 0
	s_and_b32 s10, exec_lo, s41
	s_mov_b64 s[12:13], 1
	s_mov_b32 s41, 0
	flat_load_u16 v1, v[4:5] th:TH_LOAD_NT
	s_wait_xcnt 0x0
	v_add_nc_u64_e32 v[4:5], 64, v[4:5]
	s_delay_alu instid0(VALU_DEP_1)
	v_dual_cndmask_b32 v13, v13, v5, s7 :: v_dual_cndmask_b32 v12, v12, v4, s7
	v_dual_cndmask_b32 v11, v11, v5 :: v_dual_cndmask_b32 v10, v10, v4
	s_add_co_i32 s7, s33, 0xbe
	s_mov_b32 vcc_lo, s10
	s_wait_loadcnt_dscnt 0x0
	scratch_store_b16 off, v1, s40
	s_wait_xcnt 0x0
	s_mov_b32 s40, s7
	s_cbranch_vccnz .LBB12_3111
.LBB12_3112:                            ;   in Loop: Header=BB12_3097 Depth=2
	s_or_b32 exec_lo, exec_lo, s29
	s_trap 2
	scratch_load_u16 v1, off, s33 offset:192
	ds_load_b32 v4, v0
	s_wait_loadcnt_dscnt 0x0
	v_dual_lshlrev_b32 v4, 16, v4 :: v_dual_lshlrev_b32 v1, 16, v1
	s_delay_alu instid0(VALU_DEP_1) | instskip(NEXT) | instid1(VALU_DEP_1)
	v_mul_f32_e32 v1, v4, v1
	v_and_b32_e32 v4, 0x7f800000, v1
	s_delay_alu instid0(VALU_DEP_1) | instskip(SKIP_2) | instid1(SALU_CYCLE_1)
	v_cmp_ne_u32_e32 vcc_lo, 0x7f800000, v4
                                        ; implicit-def: $vgpr4
	s_wait_xcnt 0x0
	s_and_saveexec_b32 s7, vcc_lo
	s_xor_b32 s7, exec_lo, s7
; %bb.3113:                             ;   in Loop: Header=BB12_3097 Depth=2
	v_bfe_u32 v4, v1, 16, 1
	s_delay_alu instid0(VALU_DEP_1)
	v_add3_u32 v4, v1, v4, 0x7fff
                                        ; implicit-def: $vgpr1
; %bb.3114:                             ;   in Loop: Header=BB12_3097 Depth=2
	s_and_not1_saveexec_b32 s7, s7
; %bb.3115:                             ;   in Loop: Header=BB12_3097 Depth=2
	v_and_b32_e32 v4, 0xffff, v1
	v_or_b32_e32 v5, 0x10000, v1
	s_delay_alu instid0(VALU_DEP_2) | instskip(NEXT) | instid1(VALU_DEP_2)
	v_cmp_eq_u32_e32 vcc_lo, 0, v4
	v_cndmask_b32_e32 v4, v5, v1, vcc_lo
; %bb.3116:                             ;   in Loop: Header=BB12_3097 Depth=2
	s_or_b32 exec_lo, exec_lo, s7
	scratch_load_u16 v1, off, s33 offset:224
	v_and_b32_e32 v4, 0xffff0000, v4
	s_wait_loadcnt 0x0
	v_lshlrev_b32_e32 v1, 16, v1
	s_delay_alu instid0(VALU_DEP_1) | instskip(NEXT) | instid1(VALU_DEP_1)
	v_add_f32_e32 v4, v4, v1
	v_and_b32_e32 v1, 0x7f800000, v4
	s_delay_alu instid0(VALU_DEP_1) | instskip(SKIP_2) | instid1(SALU_CYCLE_1)
	v_cmp_ne_u32_e32 vcc_lo, 0x7f800000, v1
                                        ; implicit-def: $vgpr1
	s_wait_xcnt 0x0
	s_and_saveexec_b32 s7, vcc_lo
	s_xor_b32 s7, exec_lo, s7
; %bb.3117:                             ;   in Loop: Header=BB12_3097 Depth=2
	v_bfe_u32 v1, v4, 16, 1
	s_delay_alu instid0(VALU_DEP_1)
	v_add3_u32 v1, v4, v1, 0x7fff
                                        ; implicit-def: $vgpr4
; %bb.3118:                             ;   in Loop: Header=BB12_3097 Depth=2
	s_and_not1_saveexec_b32 s7, s7
	s_cbranch_execz .LBB12_3096
; %bb.3119:                             ;   in Loop: Header=BB12_3097 Depth=2
	v_and_b32_e32 v1, 0xffff, v4
	v_or_b32_e32 v5, 0x10000, v4
	s_delay_alu instid0(VALU_DEP_2) | instskip(NEXT) | instid1(VALU_DEP_2)
	v_cmp_eq_u32_e32 vcc_lo, 0, v1
	v_cndmask_b32_e32 v1, v5, v4, vcc_lo
	s_branch .LBB12_3096
.LBB12_3120:                            ;   in Loop: Header=BB12_1634 Depth=1
	s_or_b32 exec_lo, exec_lo, s26
	s_delay_alu instid0(SALU_CYCLE_1)
	s_and_b32 exec_lo, exec_lo, s27
	s_cbranch_execz .LBB12_3130
; %bb.3121:                             ;   in Loop: Header=BB12_1634 Depth=1
	s_trap 2
	scratch_load_u16 v0, off, s33 offset:188
	s_wait_loadcnt 0x0
	ds_load_b32 v1, v0
	s_wait_dscnt 0x0
	v_dual_lshlrev_b32 v0, 16, v0 :: v_dual_lshlrev_b32 v1, 16, v1
	s_delay_alu instid0(VALU_DEP_1) | instskip(NEXT) | instid1(VALU_DEP_1)
	v_mul_f32_e32 v0, v1, v0
	v_and_b32_e32 v1, 0x7f800000, v0
	s_delay_alu instid0(VALU_DEP_1) | instskip(SKIP_2) | instid1(SALU_CYCLE_1)
	v_cmp_ne_u32_e32 vcc_lo, 0x7f800000, v1
                                        ; implicit-def: $vgpr1
	s_wait_xcnt 0x0
	s_and_saveexec_b32 s7, vcc_lo
	s_xor_b32 s7, exec_lo, s7
; %bb.3122:                             ;   in Loop: Header=BB12_1634 Depth=1
	v_bfe_u32 v1, v0, 16, 1
	s_delay_alu instid0(VALU_DEP_1)
	v_add3_u32 v1, v0, v1, 0x7fff
                                        ; implicit-def: $vgpr0
; %bb.3123:                             ;   in Loop: Header=BB12_1634 Depth=1
	s_and_not1_saveexec_b32 s7, s7
; %bb.3124:                             ;   in Loop: Header=BB12_1634 Depth=1
	v_and_b32_e32 v1, 0xffff, v0
	v_or_b32_e32 v4, 0x10000, v0
	s_delay_alu instid0(VALU_DEP_2) | instskip(NEXT) | instid1(VALU_DEP_2)
	v_cmp_eq_u32_e32 vcc_lo, 0, v1
	v_cndmask_b32_e32 v1, v4, v0, vcc_lo
; %bb.3125:                             ;   in Loop: Header=BB12_1634 Depth=1
	s_or_b32 exec_lo, exec_lo, s7
	scratch_load_u16 v0, off, s33 offset:190
	v_and_b32_e32 v1, 0xffff0000, v1
	s_wait_loadcnt 0x0
	v_lshlrev_b32_e32 v0, 16, v0
	s_delay_alu instid0(VALU_DEP_1) | instskip(NEXT) | instid1(VALU_DEP_1)
	v_add_f32_e32 v0, v1, v0
	v_and_b32_e32 v1, 0x7f800000, v0
	s_delay_alu instid0(VALU_DEP_1) | instskip(SKIP_2) | instid1(SALU_CYCLE_1)
	v_cmp_ne_u32_e32 vcc_lo, 0x7f800000, v1
                                        ; implicit-def: $vgpr1
	s_wait_xcnt 0x0
	s_and_saveexec_b32 s7, vcc_lo
	s_xor_b32 s7, exec_lo, s7
; %bb.3126:                             ;   in Loop: Header=BB12_1634 Depth=1
	v_bfe_u32 v1, v0, 16, 1
	s_delay_alu instid0(VALU_DEP_1)
	v_add3_u32 v1, v0, v1, 0x7fff
                                        ; implicit-def: $vgpr0
; %bb.3127:                             ;   in Loop: Header=BB12_1634 Depth=1
	s_and_not1_saveexec_b32 s7, s7
; %bb.3128:                             ;   in Loop: Header=BB12_1634 Depth=1
	v_and_b32_e32 v1, 0xffff, v0
	v_or_b32_e32 v4, 0x10000, v0
	s_delay_alu instid0(VALU_DEP_2) | instskip(NEXT) | instid1(VALU_DEP_2)
	v_cmp_eq_u32_e32 vcc_lo, 0, v1
	v_cndmask_b32_e32 v1, v4, v0, vcc_lo
; %bb.3129:                             ;   in Loop: Header=BB12_1634 Depth=1
	s_or_b32 exec_lo, exec_lo, s7
	flat_store_d16_hi_b16 v[2:3], v1 th:TH_STORE_NT
.LBB12_3130:                            ;   in Loop: Header=BB12_1634 Depth=1
	s_wait_xcnt 0x0
	s_or_b32 exec_lo, exec_lo, s11
	v_cmp_ne_u32_e64 s7, 0, v101
	s_and_saveexec_b32 s10, s2
	s_cbranch_execz .LBB12_3149
.LBB12_3131:                            ;   in Loop: Header=BB12_1634 Depth=1
	s_and_saveexec_b32 s11, s3
	s_delay_alu instid0(SALU_CYCLE_1)
	s_xor_b32 s11, exec_lo, s11
	s_cbranch_execz .LBB12_3146
; %bb.3132:                             ;   in Loop: Header=BB12_1634 Depth=1
	s_and_saveexec_b32 s12, s4
	s_cbranch_execz .LBB12_3145
; %bb.3133:                             ;   in Loop: Header=BB12_1634 Depth=1
	s_mov_b32 s26, exec_lo
	s_mov_b32 s13, exec_lo
	v_mbcnt_lo_u32_b32 v0, s26, 0
	global_wb scope:SCOPE_DEV
	s_wait_storecnt 0x0
	s_wait_loadcnt_dscnt 0x0
	global_inv scope:SCOPE_DEV
	v_cmpx_eq_u32_e32 0, v0
	s_cbranch_execz .LBB12_3135
; %bb.3134:                             ;   in Loop: Header=BB12_1634 Depth=1
	s_bcnt1_i32_b32 s26, s26
	s_delay_alu instid0(SALU_CYCLE_1)
	v_mov_b32_e32 v60, s26
	s_wait_loadcnt 0x0
	ds_add_u64 v0, v[60:61]
	s_trap 2
.LBB12_3135:                            ;   in Loop: Header=BB12_1634 Depth=1
	s_or_b32 exec_lo, exec_lo, s13
	s_trap 2
	ds_load_b64 v[0:1], v0
	s_wait_dscnt 0x0
	scratch_load_b64 v[2:3], off, s33 offset:256 th:TH_LOAD_LU ; 8-byte Folded Reload
	s_mov_b32 s13, exec_lo
	s_wait_loadcnt 0x0
	v_add_nc_u64_e32 v[2:3], v[2:3], v[62:63]
	scratch_store_b64 off, v[2:3], s33 offset:256 ; 8-byte Folded Spill
	s_wait_xcnt 0x0
	v_cmpx_lt_u64_e64 v[0:1], v[2:3]
	s_cbranch_execz .LBB12_3144
; %bb.3136:                             ;   in Loop: Header=BB12_1634 Depth=1
	s_mov_b32 s26, 0
	s_mov_b32 s29, 0
                                        ; implicit-def: $sgpr27
                                        ; implicit-def: $sgpr28
	s_branch .LBB12_3138
.LBB12_3137:                            ;   in Loop: Header=BB12_3138 Depth=2
	s_wait_xcnt 0x0
	s_or_b32 exec_lo, exec_lo, s41
	s_delay_alu instid0(SALU_CYCLE_1) | instskip(NEXT) | instid1(SALU_CYCLE_1)
	s_and_b32 s40, exec_lo, s42
	s_or_b32 s26, s40, s26
	s_and_not1_b32 s27, s27, exec_lo
	s_and_b32 s40, s28, exec_lo
	s_delay_alu instid0(SALU_CYCLE_1)
	s_or_b32 s27, s27, s40
	s_and_not1_b32 exec_lo, exec_lo, s26
	s_cbranch_execz .LBB12_3142
.LBB12_3138:                            ;   Parent Loop BB12_1634 Depth=1
                                        ; =>  This Inner Loop Header: Depth=2
	s_add_co_i32 s29, s29, 1
	s_delay_alu instid0(SALU_CYCLE_1) | instskip(SKIP_1) | instid1(SALU_CYCLE_1)
	s_cmp_lg_u32 s29, 0x2710
	s_cselect_b32 s40, -1, 0
	s_and_b32 vcc_lo, exec_lo, s40
	s_cbranch_vccz .LBB12_3140
; %bb.3139:                             ;   in Loop: Header=BB12_3138 Depth=2
	s_mov_b32 s42, -1
	s_or_b32 s28, s28, exec_lo
	s_and_saveexec_b32 s41, s40
	s_cbranch_execz .LBB12_3137
	s_branch .LBB12_3141
.LBB12_3140:                            ;   in Loop: Header=BB12_3138 Depth=2
	s_trap 2
	ds_load_b64 v[0:1], v0
	s_and_not1_b32 s40, s40, exec_lo
	s_mov_b32 s29, 0
	s_wait_storecnt_dscnt 0x0
	flat_load_b32 v0, v[0:1] scope:SCOPE_SYS
	s_wait_loadcnt_dscnt 0x0
	global_inv scope:SCOPE_SYS
	v_cmp_eq_u32_e32 vcc_lo, 0, v0
	s_and_b32 s41, vcc_lo, exec_lo
	s_delay_alu instid0(SALU_CYCLE_1)
	s_or_b32 s40, s40, s41
	s_mov_b32 s42, -1
	s_or_b32 s28, s28, exec_lo
	s_wait_xcnt 0x0
	s_and_saveexec_b32 s41, s40
	s_cbranch_execz .LBB12_3137
.LBB12_3141:                            ;   in Loop: Header=BB12_3138 Depth=2
	s_sleep 1
	s_trap 2
	ds_load_b64 v[0:1], v0
	s_wait_dscnt 0x0
	scratch_load_b64 v[2:3], off, s33 offset:256 ; 8-byte Folded Reload
	s_and_not1_b32 s28, s28, exec_lo
	s_wait_loadcnt 0x0
	v_cmp_ge_u64_e32 vcc_lo, v[0:1], v[2:3]
	s_or_not1_b32 s42, vcc_lo, exec_lo
	s_branch .LBB12_3137
.LBB12_3142:                            ;   in Loop: Header=BB12_1634 Depth=1
	s_or_b32 exec_lo, exec_lo, s26
	s_and_saveexec_b32 s26, s27
	s_delay_alu instid0(SALU_CYCLE_1)
	s_xor_b32 s26, exec_lo, s26
	s_cbranch_execz .LBB12_3144
; %bb.3143:                             ;   in Loop: Header=BB12_1634 Depth=1
	v_mov_b32_e32 v0, 1
	ds_store_b32 v0, v0
	s_trap 2
.LBB12_3144:                            ;   in Loop: Header=BB12_1634 Depth=1
	s_or_b32 exec_lo, exec_lo, s13
	;;#ASMSTART
	s_wakeup
	;;#ASMEND
.LBB12_3145:                            ;   in Loop: Header=BB12_1634 Depth=1
	s_or_b32 exec_lo, exec_lo, s12
.LBB12_3146:                            ;   in Loop: Header=BB12_1634 Depth=1
	s_and_not1_saveexec_b32 s11, s11
	s_cbranch_execz .LBB12_3148
; %bb.3147:                             ;   in Loop: Header=BB12_1634 Depth=1
	global_wb scope:SCOPE_DEV
	s_wait_storecnt 0x0
	s_wait_loadcnt_dscnt 0x0
	global_inv scope:SCOPE_DEV
	s_barrier_signal -1
	s_barrier_wait -1
.LBB12_3148:                            ;   in Loop: Header=BB12_1634 Depth=1
	s_or_b32 exec_lo, exec_lo, s11
.LBB12_3149:                            ;   in Loop: Header=BB12_1634 Depth=1
	s_delay_alu instid0(SALU_CYCLE_1) | instskip(SKIP_1) | instid1(VALU_DEP_1)
	s_or_b32 exec_lo, exec_lo, s10
	v_and_b32_e32 v0, 16, v30
	v_cmp_ne_u32_e32 vcc_lo, 0, v0
	s_and_b32 s10, vcc_lo, s7
	s_delay_alu instid0(SALU_CYCLE_1)
	s_and_saveexec_b32 s7, s10
	s_cbranch_execz .LBB12_3151
; %bb.3150:                             ;   in Loop: Header=BB12_1634 Depth=1
	global_wb scope:SCOPE_SYS
	s_wait_storecnt 0x0
	s_wait_loadcnt_dscnt 0x0
	global_inv scope:SCOPE_SYS
.LBB12_3151:                            ;   in Loop: Header=BB12_1634 Depth=1
	s_or_b32 exec_lo, exec_lo, s7
	v_and_b32_e32 v0, 32, v30
	s_mov_b32 s7, exec_lo
	s_delay_alu instid0(VALU_DEP_1)
	v_cmpx_ne_u32_e32 0, v0
	s_cbranch_execz .LBB12_3153
; %bb.3152:                             ;   in Loop: Header=BB12_1634 Depth=1
	v_mov_b64_e32 v[0:1], v[72:73]
	v_mov_b64_e32 v[2:3], v[74:75]
	s_delay_alu instid0(VALU_DEP_1) | instskip(NEXT) | instid1(VALU_DEP_1)
	v_add_nc_u64_e32 v[2:3], 1, v[2:3]
	v_mov_b64_e32 v[74:75], v[2:3]
	s_delay_alu instid0(VALU_DEP_4)
	v_mov_b64_e32 v[72:73], v[0:1]
	global_wb scope:SCOPE_SYS
	s_wait_storecnt 0x0
	s_wait_loadcnt_dscnt 0x0
	flat_store_b64 v[40:41], v[2:3] scope:SCOPE_SYS
.LBB12_3153:                            ;   in Loop: Header=BB12_1634 Depth=1
	s_wait_xcnt 0x0
	s_or_b32 exec_lo, exec_lo, s7
	v_mov_b32_e32 v0, v107
.LBB12_3154:                            ;   in Loop: Header=BB12_1634 Depth=1
	s_or_b32 exec_lo, exec_lo, s25
	s_and_saveexec_b32 s10, s24
	s_cbranch_execz .LBB12_1633
; %bb.3155:                             ;   in Loop: Header=BB12_1634 Depth=1
	v_and_b32_e32 v1, 4, v30
	s_mov_b32 s11, exec_lo
	s_delay_alu instid0(VALU_DEP_1)
	v_cmpx_ne_u32_e32 0, v1
	s_cbranch_execz .LBB12_3177
; %bb.3156:                             ;   in Loop: Header=BB12_1634 Depth=1
	v_add_nc_u64_e32 v[2:3], 1, v[74:75]
	s_mov_b32 s12, exec_lo
	s_delay_alu instid0(VALU_DEP_1)
	v_cmpx_lt_u64_e64 v[46:47], v[2:3]
	s_cbranch_execz .LBB12_3168
; %bb.3157:                             ;   in Loop: Header=BB12_1634 Depth=1
	v_and_b32_e32 v1, 64, v30
	s_mov_b32 s13, 0
	s_mov_b32 s27, 0
                                        ; implicit-def: $sgpr24
                                        ; implicit-def: $sgpr25
                                        ; implicit-def: $sgpr26
	s_delay_alu instid0(VALU_DEP_1)
	v_cmp_eq_u32_e32 vcc_lo, 0, v1
	s_branch .LBB12_3161
.LBB12_3158:                            ;   in Loop: Header=BB12_3161 Depth=2
	s_wait_loadcnt_dscnt 0x0
	v_cmp_ge_u64_e64 s7, v[46:47], v[2:3]
	s_or_b32 s40, s40, exec_lo
	s_or_not1_b32 s29, s7, exec_lo
.LBB12_3159:                            ;   in Loop: Header=BB12_3161 Depth=2
	s_or_b32 exec_lo, exec_lo, s42
	s_delay_alu instid0(SALU_CYCLE_1)
	s_and_not1_b32 s7, s26, exec_lo
	s_and_b32 s26, s40, exec_lo
	s_and_not1_b32 s25, s25, exec_lo
	s_and_b32 s29, s29, exec_lo
	s_or_b32 s26, s7, s26
	s_or_b32 s25, s25, s29
.LBB12_3160:                            ;   in Loop: Header=BB12_3161 Depth=2
	s_or_b32 exec_lo, exec_lo, s28
	s_delay_alu instid0(SALU_CYCLE_1) | instskip(NEXT) | instid1(SALU_CYCLE_1)
	s_and_b32 s7, exec_lo, s25
	s_or_b32 s13, s7, s13
	s_and_not1_b32 s7, s24, exec_lo
	s_and_b32 s24, s26, exec_lo
	s_delay_alu instid0(SALU_CYCLE_1)
	s_or_b32 s24, s7, s24
	s_and_not1_b32 exec_lo, exec_lo, s13
	s_cbranch_execz .LBB12_3165
.LBB12_3161:                            ;   Parent Loop BB12_1634 Depth=1
                                        ; =>  This Inner Loop Header: Depth=2
	s_sleep 1
	s_wait_loadcnt_dscnt 0x0
	flat_load_b64 v[46:47], v[40:41] scope:SCOPE_SYS
	s_or_b32 s26, s26, exec_lo
	s_or_b32 s25, s25, exec_lo
                                        ; implicit-def: $vgpr1
	s_wait_xcnt 0x0
	s_and_saveexec_b32 s28, vcc_lo
	s_cbranch_execz .LBB12_3160
; %bb.3162:                             ;   in Loop: Header=BB12_3161 Depth=2
	s_cmp_lt_i32 s27, 0x270f
	s_mov_b32 s29, -1
	s_cselect_b32 s41, -1, 0
	s_cmp_gt_i32 s27, 0x270e
	s_cbranch_scc0 .LBB12_3164
; %bb.3163:                             ;   in Loop: Header=BB12_3161 Depth=2
	s_trap 2
	ds_load_b64 v[4:5], v0
	s_and_not1_b32 s27, s41, exec_lo
	s_mov_b32 s40, 0
	s_wait_storecnt 0x0
	s_wait_loadcnt_dscnt 0x0
	flat_load_b32 v1, v[4:5] scope:SCOPE_SYS
	s_wait_loadcnt_dscnt 0x0
	global_inv scope:SCOPE_SYS
	v_cmp_eq_u32_e64 s7, 0, v1
	s_and_b32 s7, s7, exec_lo
	s_delay_alu instid0(SALU_CYCLE_1)
	s_or_b32 s41, s27, s7
	s_mov_b32 s27, 0
	s_and_saveexec_b32 s42, s41
	s_cbranch_execz .LBB12_3159
	s_branch .LBB12_3158
.LBB12_3164:                            ;   in Loop: Header=BB12_3161 Depth=2
	s_add_co_i32 s27, s27, 1
	s_mov_b32 s40, -1
                                        ; implicit-def: $vgpr1
	s_and_saveexec_b32 s42, s41
	s_cbranch_execz .LBB12_3159
	s_branch .LBB12_3158
.LBB12_3165:                            ;   in Loop: Header=BB12_1634 Depth=1
	s_or_b32 exec_lo, exec_lo, s13
	s_xor_b32 s7, s24, -1
	s_delay_alu instid0(SALU_CYCLE_1) | instskip(NEXT) | instid1(SALU_CYCLE_1)
	s_and_saveexec_b32 s13, s7
	s_xor_b32 s7, exec_lo, s13
	s_cbranch_execz .LBB12_3167
; %bb.3166:                             ;   in Loop: Header=BB12_1634 Depth=1
	v_or_b32_e32 v30, 64, v30
	s_wait_storecnt 0x0
	s_wait_loadcnt_dscnt 0x0
	ds_store_b32 v0, v1
	s_trap 2
.LBB12_3167:                            ;   in Loop: Header=BB12_1634 Depth=1
	s_or_b32 exec_lo, exec_lo, s7
.LBB12_3168:                            ;   in Loop: Header=BB12_1634 Depth=1
	s_delay_alu instid0(SALU_CYCLE_1)
	s_or_b32 exec_lo, exec_lo, s12
	v_and_b32_e32 v1, 0x100, v30
	v_and_b32_e32 v60, 7, v74
	s_mov_b32 s7, -1
	s_mov_b32 s12, exec_lo
	;;#ASMSTART
	s_wakeup
	;;#ASMEND
                                        ; implicit-def: $vgpr8_vgpr9
	v_cmpx_ne_u32_e32 0, v1
	s_cbranch_execz .LBB12_3172
; %bb.3169:                             ;   in Loop: Header=BB12_1634 Depth=1
	v_mad_nc_u64_u32 v[10:11], v60, 24, v[72:73]
	s_mov_b32 s13, exec_lo
                                        ; implicit-def: $vgpr8_vgpr9
	flat_load_b32 v1, v[10:11]
	s_wait_loadcnt_dscnt 0x0
	v_cmp_ne_u32_e32 vcc_lo, 1, v1
	s_wait_xcnt 0x0
	v_cmpx_eq_u32_e32 1, v1
	s_cbranch_execz .LBB12_3171
; %bb.3170:                             ;   in Loop: Header=BB12_1634 Depth=1
	flat_load_b32 v4, v[10:11] offset:4 scope:SCOPE_SYS
	s_wait_loadcnt_dscnt 0x0
	v_ashrrev_i32_e32 v5, 31, v4
	s_delay_alu instid0(VALU_DEP_1)
	v_lshrrev_b64 v[8:9], 1, v[4:5]
.LBB12_3171:                            ;   in Loop: Header=BB12_1634 Depth=1
	s_wait_xcnt 0x0
	s_or_b32 exec_lo, exec_lo, s13
	s_delay_alu instid0(SALU_CYCLE_1)
	s_or_not1_b32 s7, vcc_lo, exec_lo
.LBB12_3172:                            ;   in Loop: Header=BB12_1634 Depth=1
	s_or_b32 exec_lo, exec_lo, s12
	s_and_saveexec_b32 s12, s7
	s_cbranch_execz .LBB12_3174
; %bb.3173:                             ;   in Loop: Header=BB12_1634 Depth=1
	scratch_load_b64 v[4:5], off, s33 offset:312 ; 8-byte Folded Reload
	s_wait_loadcnt 0x0
	v_mul_u64_e32 v[8:9], v[60:61], v[4:5]
.LBB12_3174:                            ;   in Loop: Header=BB12_1634 Depth=1
	s_wait_xcnt 0x0
	s_or_b32 exec_lo, exec_lo, s12
	scratch_load_b64 v[4:5], off, s33 offset:304 ; 8-byte Folded Reload
	v_and_b32_e32 v1, 0x2000, v30
	s_mov_b32 s7, exec_lo
	s_wait_loadcnt 0x0
	v_lshl_add_u64 v[4:5], v[8:9], 1, v[4:5]
	ds_store_b64 v0, v[4:5] offset:728
	s_wait_xcnt 0x0
	v_cmpx_ne_u32_e32 0, v1
	s_cbranch_execz .LBB12_3176
; %bb.3175:                             ;   in Loop: Header=BB12_1634 Depth=1
	ds_load_b64 v[4:5], v0 offset:872
	s_wait_dscnt 0x0
	v_add_nc_u64_e32 v[4:5], 1, v[4:5]
	ds_store_b64 v0, v[4:5] offset:872
.LBB12_3176:                            ;   in Loop: Header=BB12_1634 Depth=1
	s_or_b32 exec_lo, exec_lo, s7
	v_mov_b64_e32 v[74:75], v[2:3]
.LBB12_3177:                            ;   in Loop: Header=BB12_1634 Depth=1
	s_or_b32 exec_lo, exec_lo, s11
	s_and_saveexec_b32 s7, s2
	s_cbranch_execz .LBB12_3196
; %bb.3178:                             ;   in Loop: Header=BB12_1634 Depth=1
	s_and_saveexec_b32 s11, s3
	s_delay_alu instid0(SALU_CYCLE_1)
	s_xor_b32 s11, exec_lo, s11
	s_cbranch_execz .LBB12_3193
; %bb.3179:                             ;   in Loop: Header=BB12_1634 Depth=1
	s_and_saveexec_b32 s12, s4
	s_cbranch_execz .LBB12_3192
; %bb.3180:                             ;   in Loop: Header=BB12_1634 Depth=1
	s_mov_b32 s24, exec_lo
	s_mov_b32 s13, exec_lo
	v_mbcnt_lo_u32_b32 v1, s24, 0
	global_wb scope:SCOPE_DEV
	s_wait_storecnt 0x0
	s_wait_loadcnt_dscnt 0x0
	global_inv scope:SCOPE_DEV
	v_cmpx_eq_u32_e32 0, v1
	s_cbranch_execz .LBB12_3182
; %bb.3181:                             ;   in Loop: Header=BB12_1634 Depth=1
	s_bcnt1_i32_b32 s24, s24
	s_delay_alu instid0(SALU_CYCLE_1)
	v_mov_b32_e32 v60, s24
	s_wait_loadcnt 0x0
	ds_add_u64 v0, v[60:61]
	s_trap 2
.LBB12_3182:                            ;   in Loop: Header=BB12_1634 Depth=1
	s_or_b32 exec_lo, exec_lo, s13
	s_trap 2
	ds_load_b64 v[2:3], v0
	s_wait_dscnt 0x0
	scratch_load_b64 v[4:5], off, s33 offset:256 th:TH_LOAD_LU ; 8-byte Folded Reload
	s_mov_b32 s13, exec_lo
	s_wait_loadcnt 0x0
	v_add_nc_u64_e32 v[4:5], v[4:5], v[62:63]
	scratch_store_b64 off, v[4:5], s33 offset:256 ; 8-byte Folded Spill
	s_wait_xcnt 0x0
	v_cmpx_lt_u64_e64 v[2:3], v[4:5]
	s_cbranch_execz .LBB12_3191
; %bb.3183:                             ;   in Loop: Header=BB12_1634 Depth=1
	s_mov_b32 s24, 0
	s_mov_b32 s27, 0
                                        ; implicit-def: $sgpr25
                                        ; implicit-def: $sgpr26
	s_branch .LBB12_3185
.LBB12_3184:                            ;   in Loop: Header=BB12_3185 Depth=2
	s_wait_xcnt 0x0
	s_or_b32 exec_lo, exec_lo, s29
	s_delay_alu instid0(SALU_CYCLE_1) | instskip(NEXT) | instid1(SALU_CYCLE_1)
	s_and_b32 s28, exec_lo, s40
	s_or_b32 s24, s28, s24
	s_and_not1_b32 s25, s25, exec_lo
	s_and_b32 s28, s26, exec_lo
	s_delay_alu instid0(SALU_CYCLE_1)
	s_or_b32 s25, s25, s28
	s_and_not1_b32 exec_lo, exec_lo, s24
	s_cbranch_execz .LBB12_3189
.LBB12_3185:                            ;   Parent Loop BB12_1634 Depth=1
                                        ; =>  This Inner Loop Header: Depth=2
	s_add_co_i32 s27, s27, 1
	s_delay_alu instid0(SALU_CYCLE_1) | instskip(SKIP_1) | instid1(SALU_CYCLE_1)
	s_cmp_lg_u32 s27, 0x2710
	s_cselect_b32 s28, -1, 0
	s_and_b32 vcc_lo, exec_lo, s28
	s_cbranch_vccz .LBB12_3187
; %bb.3186:                             ;   in Loop: Header=BB12_3185 Depth=2
	s_mov_b32 s40, -1
	s_or_b32 s26, s26, exec_lo
	s_and_saveexec_b32 s29, s28
	s_cbranch_execz .LBB12_3184
	s_branch .LBB12_3188
.LBB12_3187:                            ;   in Loop: Header=BB12_3185 Depth=2
	s_trap 2
	ds_load_b64 v[2:3], v0
	s_and_not1_b32 s28, s28, exec_lo
	s_mov_b32 s27, 0
	s_wait_storecnt_dscnt 0x0
	flat_load_b32 v1, v[2:3] scope:SCOPE_SYS
	s_wait_loadcnt_dscnt 0x0
	global_inv scope:SCOPE_SYS
	v_cmp_eq_u32_e32 vcc_lo, 0, v1
	s_and_b32 s29, vcc_lo, exec_lo
	s_delay_alu instid0(SALU_CYCLE_1)
	s_or_b32 s28, s28, s29
	s_mov_b32 s40, -1
	s_or_b32 s26, s26, exec_lo
	s_wait_xcnt 0x0
	s_and_saveexec_b32 s29, s28
	s_cbranch_execz .LBB12_3184
.LBB12_3188:                            ;   in Loop: Header=BB12_3185 Depth=2
	s_sleep 1
	s_trap 2
	ds_load_b64 v[2:3], v0
	s_wait_dscnt 0x0
	scratch_load_b64 v[4:5], off, s33 offset:256 ; 8-byte Folded Reload
	s_and_not1_b32 s26, s26, exec_lo
	s_wait_loadcnt 0x0
	v_cmp_ge_u64_e32 vcc_lo, v[2:3], v[4:5]
	s_or_not1_b32 s40, vcc_lo, exec_lo
	s_branch .LBB12_3184
.LBB12_3189:                            ;   in Loop: Header=BB12_1634 Depth=1
	s_or_b32 exec_lo, exec_lo, s24
	s_and_saveexec_b32 s24, s25
	s_delay_alu instid0(SALU_CYCLE_1)
	s_xor_b32 s24, exec_lo, s24
	s_cbranch_execz .LBB12_3191
; %bb.3190:                             ;   in Loop: Header=BB12_1634 Depth=1
	v_mov_b32_e32 v1, 1
	ds_store_b32 v0, v1
	s_trap 2
.LBB12_3191:                            ;   in Loop: Header=BB12_1634 Depth=1
	s_or_b32 exec_lo, exec_lo, s13
	;;#ASMSTART
	s_wakeup
	;;#ASMEND
.LBB12_3192:                            ;   in Loop: Header=BB12_1634 Depth=1
	s_or_b32 exec_lo, exec_lo, s12
.LBB12_3193:                            ;   in Loop: Header=BB12_1634 Depth=1
	s_and_not1_saveexec_b32 s11, s11
	s_cbranch_execz .LBB12_3195
; %bb.3194:                             ;   in Loop: Header=BB12_1634 Depth=1
	global_wb scope:SCOPE_DEV
	s_wait_storecnt 0x0
	s_wait_loadcnt_dscnt 0x0
	global_inv scope:SCOPE_DEV
	s_barrier_signal -1
	s_barrier_wait -1
.LBB12_3195:                            ;   in Loop: Header=BB12_1634 Depth=1
	s_or_b32 exec_lo, exec_lo, s11
.LBB12_3196:                            ;   in Loop: Header=BB12_1634 Depth=1
	s_delay_alu instid0(SALU_CYCLE_1)
	s_or_b32 exec_lo, exec_lo, s7
	s_trap 2
	ds_load_b32 v1, v0
	v_sub_nc_u32_e32 v0, v106, v0
	s_wait_dscnt 0x0
	v_readfirstlane_b32 s7, v1
	v_and_b32_e32 v1, 16, v30
	s_delay_alu instid0(VALU_DEP_3) | instskip(SKIP_1) | instid1(VALU_DEP_2)
	v_min_i32_e32 v0, v107, v0
	s_cmp_eq_u32 s7, 0
	v_cmp_ne_u32_e64 s7, 0, v1
	s_delay_alu instid0(VALU_DEP_2) | instskip(SKIP_1) | instid1(SALU_CYCLE_1)
	v_cmp_lt_i32_e32 vcc_lo, 0, v0
	s_cselect_b32 s11, -1, 0
	s_and_b32 s11, vcc_lo, s11
	s_delay_alu instid0(SALU_CYCLE_1) | instskip(NEXT) | instid1(SALU_CYCLE_1)
	s_and_b32 s11, s7, s11
	s_and_saveexec_b32 s7, s11
	s_cbranch_execz .LBB12_3198
; %bb.3197:                             ;   in Loop: Header=BB12_1634 Depth=1
	global_wb scope:SCOPE_SYS
	s_wait_loadcnt 0x0
	s_wait_storecnt 0x0
	global_inv scope:SCOPE_SYS
.LBB12_3198:                            ;   in Loop: Header=BB12_1634 Depth=1
	s_or_b32 exec_lo, exec_lo, s7
	v_and_b32_e32 v0, 32, v30
	s_mov_b32 s7, exec_lo
	s_delay_alu instid0(VALU_DEP_1)
	v_cmpx_ne_u32_e32 0, v0
	s_cbranch_execz .LBB12_1632
; %bb.3199:                             ;   in Loop: Header=BB12_1634 Depth=1
	v_mov_b64_e32 v[0:1], v[72:73]
	v_mov_b64_e32 v[2:3], v[74:75]
	s_delay_alu instid0(VALU_DEP_1) | instskip(NEXT) | instid1(VALU_DEP_1)
	v_add_nc_u64_e32 v[2:3], 1, v[2:3]
	v_mov_b64_e32 v[74:75], v[2:3]
	s_delay_alu instid0(VALU_DEP_4)
	v_mov_b64_e32 v[72:73], v[0:1]
	global_wb scope:SCOPE_SYS
	s_wait_loadcnt 0x0
	s_wait_storecnt 0x0
	flat_store_b64 v[40:41], v[2:3] scope:SCOPE_SYS
	s_branch .LBB12_1632
.LBB12_3200:
	s_or_b32 exec_lo, exec_lo, s20
	s_clause 0x3
	scratch_load_b32 v1, off, s33 offset:408
	scratch_load_b32 v31, off, s33 offset:412
	scratch_load_b64 v[26:27], off, s33 offset:416
	scratch_load_b32 v8, off, s33 offset:424
	v_mov_b64_e32 v[76:77], v[74:75]
	v_mov_b64_e32 v[74:75], v[72:73]
.LBB12_3201:
	s_wait_xcnt 0x0
	s_or_b32 exec_lo, exec_lo, s15
.LBB12_3202:
	s_delay_alu instid0(SALU_CYCLE_1)
	s_or_b32 exec_lo, exec_lo, s14
                                        ; implicit-def: $vgpr2_vgpr3
                                        ; kill: killed $vgpr2_vgpr3
                                        ; implicit-def: $vgpr0
                                        ; implicit-def: $vgpr24_vgpr25
	s_wait_loadcnt 0x3
	scratch_store_b64 off, v[0:1], s33 offset:312 ; 8-byte Folded Spill
                                        ; implicit-def: $vgpr2_vgpr3
                                        ; kill: killed $vgpr2_vgpr3
                                        ; implicit-def: $vgpr46_vgpr47
                                        ; implicit-def: $vgpr40_vgpr41
                                        ; implicit-def: $vgpr100
                                        ; implicit-def: $vgpr0
                                        ; implicit-def: $vgpr6_vgpr7
                                        ; implicit-def: $vgpr2_vgpr3
                                        ; kill: killed $vgpr2_vgpr3
.LBB12_3203:
	s_wait_xcnt 0x0
	s_and_not1_saveexec_b32 s11, s18
	s_cbranch_execz .LBB12_4476
; %bb.3204:
	v_mov_b64_e32 v[2:3], 0
	s_mov_b32 s12, exec_lo
	scratch_store_b64 off, v[2:3], s33 offset:256 ; 8-byte Folded Spill
	s_wait_xcnt 0x0
	v_cmpx_ne_u64_e32 0, v[24:25]
	s_cbranch_execz .LBB12_4475
; %bb.3205:
	s_wait_loadcnt 0x1
	scratch_store_b64 off, v[26:27], s33 offset:416 ; 8-byte Folded Spill
	s_wait_dscnt 0x0
	s_clause 0x1
	scratch_store_b128 off, v[74:77], s33 offset:264
	scratch_load_b64 v[2:3], off, s33 offset:312
	v_dual_mov_b32 v65, 0 :: v_dual_bitop2_b32 v101, 31, v100 bitop3:0x40
	v_lshrrev_b32_e32 v116, 5, v100
	s_lshr_b32 s2, s17, 27
	v_cmp_ge_u32_e64 s1, v100, v1
	s_add_co_i32 s17, s17, s2
	v_cmp_lt_u32_e64 s6, v101, v0
	v_lshlrev_b32_e32 v0, 4, v101
	v_cmp_eq_u32_e32 vcc_lo, 32, v1
	v_cmp_ne_u32_e64 s2, 32, v1
	v_dual_mov_b32 v73, v65 :: v_dual_lshrrev_b32 v72, 5, v1
	s_wait_loadcnt 0x1
	v_cmp_ne_u32_e64 s3, v1, v8
	v_mov_b64_e32 v[108:109], 0
	v_cmp_eq_u32_e64 s5, 0, v101
	v_dual_lshlrev_b32 v102, 9, v72 :: v_dual_lshlrev_b32 v103, 6, v72
	s_wait_xcnt 0x1
	v_lshl_add_u32 v74, v72, 12, 0xfffff000
	v_lshl_add_u32 v78, v72, 10, 0xfffffc00
	s_ashr_i32 s14, s17, 5
	v_add_nc_u32_e32 v66, 0xfffffe00, v102
	v_subrev_nc_u32_e32 v68, 64, v103
	v_ashrrev_i32_e32 v75, 31, v74
	v_ashrrev_i32_e32 v79, 31, v78
	s_mov_b32 s13, 0
	s_xor_b32 s15, vcc_lo, -1
	v_ashrrev_i32_e32 v69, 31, v68
	v_add_nc_u64_e32 v[92:93], 0x1000, v[74:75]
	v_add_nc_u64_e32 v[104:105], 0x400, v[78:79]
	scratch_store_b32 off, v31, s33 offset:412 ; 4-byte Folded Spill
	v_mov_b32_e32 v117, 1
	v_add_nc_u64_e32 v[80:81], 64, v[68:69]
	s_wait_loadcnt 0x0
	v_ashrrev_i32_e32 v3, 31, v2
	scratch_store_b64 off, v[2:3], s33 offset:312 ; 8-byte Folded Spill
	s_wait_xcnt 0x0
	v_and_b32_e32 v2, 31, v31
	s_clause 0x1
	scratch_store_b32 off, v1, s33 offset:408
	scratch_store_b32 off, v8, s33 offset:424
	v_dual_mov_b32 v3, v65 :: v_dual_ashrrev_i32 v67, 31, v66
	v_cmp_eq_u32_e64 s4, 0, v2
	v_lshl_or_b32 v2, v116, 12, v0
	scratch_load_b64 v[0:1], off, s33 offset:328 ; 8-byte Folded Reload
	v_add_nc_u64_e32 v[70:71], 0x200, v[66:67]
	scratch_store_b64 off, v[2:3], s33 offset:376 ; 8-byte Folded Spill
	s_wait_loadcnt 0x0
	v_cmp_ne_u64_e64 s7, 0, v[0:1]
	v_mov_b64_e32 v[0:1], 0
	s_clause 0x1
	scratch_store_b32 off, v100, s33 offset:344
	scratch_store_b64 off, v[0:1], s33 offset:256
	s_trap 2
	s_clause 0x7
	scratch_store_b128 off, v[24:27], s33 offset:280
	scratch_store_b64 off, v[6:7], s33 offset:296
	scratch_store_b32 off, v101, s33 offset:436
	scratch_store_b32 off, v116, s33 offset:440
	scratch_store_b64 off, v[66:67], s33 offset:368
	scratch_store_b64 off, v[68:69], s33 offset:392
	;; [unrolled: 1-line block ×4, first 2 shown]
	s_branch .LBB12_3209
.LBB12_3206:                            ;   in Loop: Header=BB12_3209 Depth=1
	s_wait_xcnt 0x0
	s_or_b32 exec_lo, exec_lo, s17
	scratch_load_b128 v[0:3], off, s33 offset:264 th:TH_LOAD_LU ; 16-byte Folded Reload
	s_wait_loadcnt 0x0
	v_add_nc_u64_e32 v[2:3], 1, v[2:3]
	scratch_store_b128 off, v[0:3], s33 offset:264 ; 16-byte Folded Spill
	global_wb scope:SCOPE_SYS
	s_wait_xcnt 0x0
	s_wait_storecnt_dscnt 0x0
	flat_store_b64 v[40:41], v[2:3] scope:SCOPE_SYS
.LBB12_3207:                            ;   in Loop: Header=BB12_3209 Depth=1
	s_wait_xcnt 0x0
	s_or_b32 exec_lo, exec_lo, s10
.LBB12_3208:                            ;   in Loop: Header=BB12_3209 Depth=1
	s_delay_alu instid0(SALU_CYCLE_1)
	s_or_b32 exec_lo, exec_lo, s18
	scratch_load_b64 v[6:7], off, s33 offset:296 ; 8-byte Folded Reload
	s_wait_loadcnt 0x8
	scratch_load_b128 v[24:27], off, s33 offset:280 ; 16-byte Folded Reload
	s_wait_loadcnt 0x1
	v_add_nc_u64_e32 v[108:109], v[108:109], v[6:7]
	s_wait_loadcnt 0x0
	s_delay_alu instid0(VALU_DEP_1)
	v_cmp_ge_u64_e32 vcc_lo, v[108:109], v[24:25]
	s_or_b32 s13, vcc_lo, s13
	s_wait_xcnt 0x0
	s_and_not1_b32 exec_lo, exec_lo, s13
	s_cbranch_execz .LBB12_4474
.LBB12_3209:                            ; =>This Loop Header: Depth=1
                                        ;     Child Loop BB12_3218 Depth 2
                                        ;     Child Loop BB12_3242 Depth 2
	;; [unrolled: 1-line block ×10, first 2 shown]
	s_wait_xcnt 0x8
	v_sub_nc_u64_e32 v[0:1], v[24:25], v[108:109]
	s_delay_alu instid0(VALU_DEP_1) | instskip(NEXT) | instid1(VALU_DEP_1)
	v_min_u64 v[110:111], v[6:7], v[0:1]
	v_add_nc_u32_e32 v0, 15, v110
	s_delay_alu instid0(VALU_DEP_2) | instskip(NEXT) | instid1(VALU_DEP_2)
	v_cmp_eq_u64_e32 vcc_lo, 0, v[110:111]
	v_and_b32_e32 v0, 0x3ffffff0, v0
	s_or_b32 s17, s1, vcc_lo
	s_delay_alu instid0(SALU_CYCLE_1) | instskip(NEXT) | instid1(VALU_DEP_1)
	s_xor_b32 s10, s17, -1
	v_dual_mov_b32 v0, 0 :: v_dual_max_i32 v119, s14, v0
	s_wait_xcnt 0x0
	s_and_saveexec_b32 s18, s10
	s_cbranch_execz .LBB12_4425
; %bb.3210:                             ;   in Loop: Header=BB12_3209 Depth=1
	s_and_saveexec_b32 s10, s0
	s_cbranch_execz .LBB12_3212
; %bb.3211:                             ;   in Loop: Header=BB12_3209 Depth=1
	s_trap 2
	scratch_load_b64 v[2:3], off, s33 offset:320 ; 8-byte Folded Reload
	ds_load_b64 v[0:1], v0
	s_wait_loadcnt_dscnt 0x0
	v_lshl_add_u64 v[0:1], v[2:3], 1, v[0:1]
	v_mov_b64_e32 v[2:3], 0
	s_delay_alu instid0(VALU_DEP_2)
	v_lshl_add_u64 v[0:1], v[108:109], 1, v[0:1]
	ds_store_b64 v0, v[0:1]
	ds_store_b64 v0, v[2:3]
.LBB12_3212:                            ;   in Loop: Header=BB12_3209 Depth=1
	s_wait_xcnt 0x0
	s_or_b32 exec_lo, exec_lo, s10
	v_and_b32_e32 v0, 8, v30
	v_min_u32_e32 v119, v119, v110
	s_mov_b32 s19, exec_lo
	s_delay_alu instid0(VALU_DEP_2)
	v_cmpx_ne_u32_e32 0, v0
	s_cbranch_execz .LBB12_3234
; %bb.3213:                             ;   in Loop: Header=BB12_3209 Depth=1
	scratch_load_b128 v[2:5], off, s33 offset:264 ; 16-byte Folded Reload
	v_add_nc_u64_e32 v[0:1], 8, v[46:47]
	s_mov_b32 s20, exec_lo
	s_wait_loadcnt 0x0
	v_add_nc_u64_e32 v[2:3], 1, v[4:5]
	s_wait_xcnt 0x0
	s_delay_alu instid0(VALU_DEP_1)
	v_cmpx_lt_u64_e64 v[0:1], v[2:3]
	s_cbranch_execz .LBB12_3225
; %bb.3214:                             ;   in Loop: Header=BB12_3209 Depth=1
	v_and_b32_e32 v0, 64, v30
	s_mov_b32 s21, 0
	s_mov_b32 s25, 0
                                        ; implicit-def: $sgpr22
                                        ; implicit-def: $sgpr23
                                        ; implicit-def: $sgpr24
	s_delay_alu instid0(VALU_DEP_1)
	v_cmp_eq_u32_e32 vcc_lo, 0, v0
	s_branch .LBB12_3218
.LBB12_3215:                            ;   in Loop: Header=BB12_3218 Depth=2
	s_wait_loadcnt_dscnt 0x0
	v_add_nc_u64_e32 v[4:5], 8, v[46:47]
	s_or_b32 s28, s28, exec_lo
	s_delay_alu instid0(VALU_DEP_1)
	v_cmp_ge_u64_e64 s10, v[4:5], v[2:3]
	s_or_not1_b32 s27, s10, exec_lo
.LBB12_3216:                            ;   in Loop: Header=BB12_3218 Depth=2
	s_or_b32 exec_lo, exec_lo, s40
	s_delay_alu instid0(SALU_CYCLE_1)
	s_and_not1_b32 s10, s24, exec_lo
	s_and_b32 s24, s28, exec_lo
	s_and_not1_b32 s23, s23, exec_lo
	s_and_b32 s27, s27, exec_lo
	s_or_b32 s24, s10, s24
	s_or_b32 s23, s23, s27
.LBB12_3217:                            ;   in Loop: Header=BB12_3218 Depth=2
	s_or_b32 exec_lo, exec_lo, s26
	s_delay_alu instid0(SALU_CYCLE_1) | instskip(NEXT) | instid1(SALU_CYCLE_1)
	s_and_b32 s10, exec_lo, s23
	s_or_b32 s21, s10, s21
	s_and_not1_b32 s10, s22, exec_lo
	s_and_b32 s22, s24, exec_lo
	s_delay_alu instid0(SALU_CYCLE_1)
	s_or_b32 s22, s10, s22
	s_and_not1_b32 exec_lo, exec_lo, s21
	s_cbranch_execz .LBB12_3222
.LBB12_3218:                            ;   Parent Loop BB12_3209 Depth=1
                                        ; =>  This Inner Loop Header: Depth=2
	s_sleep 1
	s_wait_loadcnt_dscnt 0x0
	flat_load_b64 v[46:47], v[40:41] scope:SCOPE_SYS
	s_or_b32 s24, s24, exec_lo
	s_or_b32 s23, s23, exec_lo
                                        ; implicit-def: $vgpr0
	s_wait_xcnt 0x0
	s_and_saveexec_b32 s26, vcc_lo
	s_cbranch_execz .LBB12_3217
; %bb.3219:                             ;   in Loop: Header=BB12_3218 Depth=2
	s_cmp_lt_i32 s25, 0x270f
	s_mov_b32 s27, -1
	s_cselect_b32 s29, -1, 0
	s_cmp_gt_i32 s25, 0x270e
	s_cbranch_scc0 .LBB12_3221
; %bb.3220:                             ;   in Loop: Header=BB12_3218 Depth=2
	s_trap 2
	ds_load_b64 v[0:1], v0
	s_and_not1_b32 s25, s29, exec_lo
	s_mov_b32 s28, 0
	s_wait_storecnt 0x0
	s_wait_loadcnt_dscnt 0x0
	flat_load_b32 v0, v[0:1] scope:SCOPE_SYS
	s_wait_loadcnt_dscnt 0x0
	global_inv scope:SCOPE_SYS
	v_cmp_eq_u32_e64 s10, 0, v0
	s_and_b32 s10, s10, exec_lo
	s_delay_alu instid0(SALU_CYCLE_1)
	s_or_b32 s29, s25, s10
	s_mov_b32 s25, 0
	s_wait_xcnt 0x0
	s_and_saveexec_b32 s40, s29
	s_cbranch_execz .LBB12_3216
	s_branch .LBB12_3215
.LBB12_3221:                            ;   in Loop: Header=BB12_3218 Depth=2
	s_add_co_i32 s25, s25, 1
	s_mov_b32 s28, -1
                                        ; implicit-def: $vgpr0
	s_and_saveexec_b32 s40, s29
	s_cbranch_execz .LBB12_3216
	s_branch .LBB12_3215
.LBB12_3222:                            ;   in Loop: Header=BB12_3209 Depth=1
	s_or_b32 exec_lo, exec_lo, s21
	s_xor_b32 s10, s22, -1
	s_delay_alu instid0(SALU_CYCLE_1) | instskip(NEXT) | instid1(SALU_CYCLE_1)
	s_and_saveexec_b32 s21, s10
	s_xor_b32 s10, exec_lo, s21
	s_cbranch_execz .LBB12_3224
; %bb.3223:                             ;   in Loop: Header=BB12_3209 Depth=1
	v_or_b32_e32 v30, 64, v30
	s_wait_storecnt 0x0
	s_wait_loadcnt_dscnt 0x0
	ds_store_b32 v0, v0
	s_trap 2
.LBB12_3224:                            ;   in Loop: Header=BB12_3209 Depth=1
	s_or_b32 exec_lo, exec_lo, s10
.LBB12_3225:                            ;   in Loop: Header=BB12_3209 Depth=1
	s_delay_alu instid0(SALU_CYCLE_1)
	s_or_b32 exec_lo, exec_lo, s20
	scratch_load_b128 v[4:7], off, s33 offset:264 ; 16-byte Folded Reload
	v_and_b32_e32 v0, 0x100, v30
	s_mov_b32 s10, -1
	s_mov_b32 s20, exec_lo
	;;#ASMSTART
	s_wakeup
	;;#ASMEND
                                        ; implicit-def: $vgpr8_vgpr9
	s_wait_loadcnt 0x0
	v_and_b32_e32 v64, 7, v6
	s_wait_xcnt 0x0
	v_cmpx_ne_u32_e32 0, v0
	s_cbranch_execz .LBB12_3229
; %bb.3226:                             ;   in Loop: Header=BB12_3209 Depth=1
	scratch_load_b128 v[4:7], off, s33 offset:264 ; 16-byte Folded Reload
	v_dual_mov_b32 v1, v65 :: v_dual_lshlrev_b32 v0, 1, v119
	s_mov_b32 s21, exec_lo
                                        ; implicit-def: $vgpr8_vgpr9
	s_wait_loadcnt 0x0
	v_mad_nc_u64_u32 v[10:11], v64, 24, v[4:5]
	s_clause 0x1
	flat_load_b32 v4, v[10:11]
	flat_store_b64 v[10:11], v[0:1] offset:8
	s_wait_loadcnt_dscnt 0x1
	v_cmp_ne_u32_e32 vcc_lo, 1, v4
	s_wait_xcnt 0x0
	v_cmpx_eq_u32_e32 1, v4
	s_cbranch_execz .LBB12_3228
; %bb.3227:                             ;   in Loop: Header=BB12_3209 Depth=1
	flat_load_b32 v0, v[10:11] offset:4 scope:SCOPE_SYS
	s_wait_loadcnt_dscnt 0x0
	v_ashrrev_i32_e32 v1, 31, v0
	s_delay_alu instid0(VALU_DEP_1)
	v_lshrrev_b64 v[8:9], 1, v[0:1]
.LBB12_3228:                            ;   in Loop: Header=BB12_3209 Depth=1
	s_wait_xcnt 0x0
	s_or_b32 exec_lo, exec_lo, s21
	s_delay_alu instid0(SALU_CYCLE_1)
	s_or_not1_b32 s10, vcc_lo, exec_lo
.LBB12_3229:                            ;   in Loop: Header=BB12_3209 Depth=1
	s_or_b32 exec_lo, exec_lo, s20
	s_and_saveexec_b32 s20, s10
	s_cbranch_execz .LBB12_3231
; %bb.3230:                             ;   in Loop: Header=BB12_3209 Depth=1
	scratch_load_b64 v[0:1], off, s33 offset:312 ; 8-byte Folded Reload
	s_wait_loadcnt 0x0
	v_mul_u64_e32 v[8:9], v[64:65], v[0:1]
.LBB12_3231:                            ;   in Loop: Header=BB12_3209 Depth=1
	s_wait_xcnt 0x0
	s_or_b32 exec_lo, exec_lo, s20
	scratch_load_b64 v[0:1], off, s33 offset:304 ; 8-byte Folded Reload
	v_and_b32_e32 v4, 0x2000, v30
	s_mov_b32 s10, exec_lo
	s_wait_loadcnt 0x0
	v_lshl_add_u64 v[0:1], v[8:9], 1, v[0:1]
	ds_store_b64 v0, v[0:1] offset:784
	s_wait_xcnt 0x0
	v_cmpx_ne_u32_e32 0, v4
	s_cbranch_execz .LBB12_3233
; %bb.3232:                             ;   in Loop: Header=BB12_3209 Depth=1
	ds_load_b64 v[0:1], v0 offset:872
	s_wait_dscnt 0x0
	v_add_nc_u64_e32 v[0:1], 1, v[0:1]
	ds_store_b64 v0, v[0:1] offset:872
.LBB12_3233:                            ;   in Loop: Header=BB12_3209 Depth=1
	s_or_b32 exec_lo, exec_lo, s10
	scratch_load_b128 v[4:7], off, s33 offset:264 ; 16-byte Folded Reload
	s_wait_loadcnt 0x0
	v_mov_b64_e32 v[6:7], v[2:3]
	scratch_store_b128 off, v[4:7], s33 offset:264 ; 16-byte Folded Spill
.LBB12_3234:                            ;   in Loop: Header=BB12_3209 Depth=1
	s_wait_xcnt 0x0
	s_or_b32 exec_lo, exec_lo, s19
	s_and_saveexec_b32 s10, s2
	s_cbranch_execz .LBB12_3253
; %bb.3235:                             ;   in Loop: Header=BB12_3209 Depth=1
	s_and_saveexec_b32 s19, s3
	s_delay_alu instid0(SALU_CYCLE_1)
	s_xor_b32 s19, exec_lo, s19
	s_cbranch_execz .LBB12_3250
; %bb.3236:                             ;   in Loop: Header=BB12_3209 Depth=1
	s_and_saveexec_b32 s20, s4
	s_cbranch_execz .LBB12_3249
; %bb.3237:                             ;   in Loop: Header=BB12_3209 Depth=1
	s_mov_b32 s22, exec_lo
	s_mov_b32 s21, exec_lo
	v_mbcnt_lo_u32_b32 v0, s22, 0
	global_wb scope:SCOPE_DEV
	s_wait_storecnt_dscnt 0x0
	global_inv scope:SCOPE_DEV
	v_cmpx_eq_u32_e32 0, v0
	s_cbranch_execz .LBB12_3239
; %bb.3238:                             ;   in Loop: Header=BB12_3209 Depth=1
	s_bcnt1_i32_b32 s22, s22
	s_delay_alu instid0(SALU_CYCLE_1)
	v_mov_b32_e32 v64, s22
	s_wait_loadcnt 0x0
	ds_add_u64 v0, v[64:65]
	s_trap 2
.LBB12_3239:                            ;   in Loop: Header=BB12_3209 Depth=1
	s_or_b32 exec_lo, exec_lo, s21
	s_trap 2
	ds_load_b64 v[0:1], v0
	s_wait_dscnt 0x0
	scratch_load_b64 v[2:3], off, s33 offset:256 th:TH_LOAD_LU ; 8-byte Folded Reload
	s_mov_b32 s21, exec_lo
	s_wait_loadcnt 0x0
	v_add_nc_u64_e32 v[2:3], v[2:3], v[72:73]
	scratch_store_b64 off, v[2:3], s33 offset:256 ; 8-byte Folded Spill
	s_wait_xcnt 0x0
	v_cmpx_lt_u64_e64 v[0:1], v[2:3]
	s_cbranch_execz .LBB12_3248
; %bb.3240:                             ;   in Loop: Header=BB12_3209 Depth=1
	s_mov_b32 s22, 0
	s_mov_b32 s25, 0
                                        ; implicit-def: $sgpr23
                                        ; implicit-def: $sgpr24
	s_branch .LBB12_3242
.LBB12_3241:                            ;   in Loop: Header=BB12_3242 Depth=2
	s_wait_xcnt 0x0
	s_or_b32 exec_lo, exec_lo, s27
	s_delay_alu instid0(SALU_CYCLE_1) | instskip(NEXT) | instid1(SALU_CYCLE_1)
	s_and_b32 s26, exec_lo, s28
	s_or_b32 s22, s26, s22
	s_and_not1_b32 s23, s23, exec_lo
	s_and_b32 s26, s24, exec_lo
	s_delay_alu instid0(SALU_CYCLE_1)
	s_or_b32 s23, s23, s26
	s_and_not1_b32 exec_lo, exec_lo, s22
	s_cbranch_execz .LBB12_3246
.LBB12_3242:                            ;   Parent Loop BB12_3209 Depth=1
                                        ; =>  This Inner Loop Header: Depth=2
	s_add_co_i32 s25, s25, 1
	s_delay_alu instid0(SALU_CYCLE_1) | instskip(SKIP_1) | instid1(SALU_CYCLE_1)
	s_cmp_lg_u32 s25, 0x2710
	s_cselect_b32 s26, -1, 0
	s_and_b32 vcc_lo, exec_lo, s26
	s_cbranch_vccz .LBB12_3244
; %bb.3243:                             ;   in Loop: Header=BB12_3242 Depth=2
	s_mov_b32 s28, -1
	s_or_b32 s24, s24, exec_lo
	s_and_saveexec_b32 s27, s26
	s_cbranch_execz .LBB12_3241
	s_branch .LBB12_3245
.LBB12_3244:                            ;   in Loop: Header=BB12_3242 Depth=2
	s_trap 2
	ds_load_b64 v[0:1], v0
	s_and_not1_b32 s26, s26, exec_lo
	s_mov_b32 s25, 0
	s_wait_storecnt_dscnt 0x0
	flat_load_b32 v0, v[0:1] scope:SCOPE_SYS
	s_wait_loadcnt_dscnt 0x0
	global_inv scope:SCOPE_SYS
	v_cmp_eq_u32_e32 vcc_lo, 0, v0
	s_and_b32 s27, vcc_lo, exec_lo
	s_delay_alu instid0(SALU_CYCLE_1)
	s_or_b32 s26, s26, s27
	s_mov_b32 s28, -1
	s_or_b32 s24, s24, exec_lo
	s_wait_xcnt 0x0
	s_and_saveexec_b32 s27, s26
	s_cbranch_execz .LBB12_3241
.LBB12_3245:                            ;   in Loop: Header=BB12_3242 Depth=2
	s_sleep 1
	s_trap 2
	ds_load_b64 v[0:1], v0
	s_wait_dscnt 0x0
	scratch_load_b64 v[2:3], off, s33 offset:256 ; 8-byte Folded Reload
	s_and_not1_b32 s24, s24, exec_lo
	s_wait_loadcnt 0x0
	v_cmp_ge_u64_e32 vcc_lo, v[0:1], v[2:3]
	s_or_not1_b32 s28, vcc_lo, exec_lo
	s_branch .LBB12_3241
.LBB12_3246:                            ;   in Loop: Header=BB12_3209 Depth=1
	s_or_b32 exec_lo, exec_lo, s22
	s_and_saveexec_b32 s22, s23
	s_delay_alu instid0(SALU_CYCLE_1)
	s_xor_b32 s22, exec_lo, s22
	s_cbranch_execz .LBB12_3248
; %bb.3247:                             ;   in Loop: Header=BB12_3209 Depth=1
	ds_store_b32 v0, v117
	s_trap 2
.LBB12_3248:                            ;   in Loop: Header=BB12_3209 Depth=1
	s_or_b32 exec_lo, exec_lo, s21
	;;#ASMSTART
	s_wakeup
	;;#ASMEND
.LBB12_3249:                            ;   in Loop: Header=BB12_3209 Depth=1
	s_or_b32 exec_lo, exec_lo, s20
.LBB12_3250:                            ;   in Loop: Header=BB12_3209 Depth=1
	s_and_not1_saveexec_b32 s19, s19
	s_cbranch_execz .LBB12_3252
; %bb.3251:                             ;   in Loop: Header=BB12_3209 Depth=1
	global_wb scope:SCOPE_DEV
	s_wait_storecnt 0x0
	s_wait_loadcnt_dscnt 0x0
	global_inv scope:SCOPE_DEV
	s_barrier_signal -1
	s_barrier_wait -1
.LBB12_3252:                            ;   in Loop: Header=BB12_3209 Depth=1
	s_or_b32 exec_lo, exec_lo, s19
.LBB12_3253:                            ;   in Loop: Header=BB12_3209 Depth=1
	s_delay_alu instid0(SALU_CYCLE_1) | instskip(SKIP_3) | instid1(VALU_DEP_1)
	s_or_b32 exec_lo, exec_lo, s10
	s_trap 2
	ds_load_b32 v0, v0
	v_and_b32_e32 v1, 0x4000, v30
	v_cmp_ne_u32_e32 vcc_lo, 0, v1
	s_and_b32 s19, s15, vcc_lo
	s_delay_alu instid0(SALU_CYCLE_1)
	s_and_saveexec_b32 s10, s19
	s_cbranch_execz .LBB12_3272
; %bb.3254:                             ;   in Loop: Header=BB12_3209 Depth=1
	s_and_saveexec_b32 s19, s3
	s_delay_alu instid0(SALU_CYCLE_1)
	s_xor_b32 s19, exec_lo, s19
	s_cbranch_execz .LBB12_3269
; %bb.3255:                             ;   in Loop: Header=BB12_3209 Depth=1
	s_and_saveexec_b32 s20, s4
	s_cbranch_execz .LBB12_3268
; %bb.3256:                             ;   in Loop: Header=BB12_3209 Depth=1
	s_mov_b32 s22, exec_lo
	s_mov_b32 s21, exec_lo
	v_mbcnt_lo_u32_b32 v1, s22, 0
	global_wb scope:SCOPE_DEV
	s_wait_storecnt 0x0
	s_wait_loadcnt_dscnt 0x0
	global_inv scope:SCOPE_DEV
	v_cmpx_eq_u32_e32 0, v1
	s_cbranch_execz .LBB12_3258
; %bb.3257:                             ;   in Loop: Header=BB12_3209 Depth=1
	s_bcnt1_i32_b32 s22, s22
	s_delay_alu instid0(SALU_CYCLE_1)
	v_mov_b32_e32 v64, s22
	s_wait_loadcnt 0x0
	ds_add_u64 v0, v[64:65]
	s_trap 2
.LBB12_3258:                            ;   in Loop: Header=BB12_3209 Depth=1
	s_or_b32 exec_lo, exec_lo, s21
	s_trap 2
	ds_load_b64 v[2:3], v0
	s_wait_dscnt 0x0
	scratch_load_b64 v[4:5], off, s33 offset:256 th:TH_LOAD_LU ; 8-byte Folded Reload
	s_mov_b32 s21, exec_lo
	s_wait_loadcnt 0x0
	v_add_nc_u64_e32 v[4:5], v[4:5], v[72:73]
	scratch_store_b64 off, v[4:5], s33 offset:256 ; 8-byte Folded Spill
	s_wait_xcnt 0x0
	v_cmpx_lt_u64_e64 v[2:3], v[4:5]
	s_cbranch_execz .LBB12_3267
; %bb.3259:                             ;   in Loop: Header=BB12_3209 Depth=1
	s_mov_b32 s22, 0
	s_mov_b32 s25, 0
                                        ; implicit-def: $sgpr23
                                        ; implicit-def: $sgpr24
	s_branch .LBB12_3261
.LBB12_3260:                            ;   in Loop: Header=BB12_3261 Depth=2
	s_wait_xcnt 0x0
	s_or_b32 exec_lo, exec_lo, s27
	s_delay_alu instid0(SALU_CYCLE_1) | instskip(NEXT) | instid1(SALU_CYCLE_1)
	s_and_b32 s26, exec_lo, s28
	s_or_b32 s22, s26, s22
	s_and_not1_b32 s23, s23, exec_lo
	s_and_b32 s26, s24, exec_lo
	s_delay_alu instid0(SALU_CYCLE_1)
	s_or_b32 s23, s23, s26
	s_and_not1_b32 exec_lo, exec_lo, s22
	s_cbranch_execz .LBB12_3265
.LBB12_3261:                            ;   Parent Loop BB12_3209 Depth=1
                                        ; =>  This Inner Loop Header: Depth=2
	s_add_co_i32 s25, s25, 1
	s_delay_alu instid0(SALU_CYCLE_1) | instskip(SKIP_1) | instid1(SALU_CYCLE_1)
	s_cmp_lg_u32 s25, 0x2710
	s_cselect_b32 s26, -1, 0
	s_and_b32 vcc_lo, exec_lo, s26
	s_cbranch_vccz .LBB12_3263
; %bb.3262:                             ;   in Loop: Header=BB12_3261 Depth=2
	s_mov_b32 s28, -1
	s_or_b32 s24, s24, exec_lo
	s_and_saveexec_b32 s27, s26
	s_cbranch_execz .LBB12_3260
	s_branch .LBB12_3264
.LBB12_3263:                            ;   in Loop: Header=BB12_3261 Depth=2
	s_trap 2
	ds_load_b64 v[2:3], v0
	s_and_not1_b32 s26, s26, exec_lo
	s_mov_b32 s25, 0
	s_wait_storecnt_dscnt 0x0
	flat_load_b32 v1, v[2:3] scope:SCOPE_SYS
	s_wait_loadcnt_dscnt 0x0
	global_inv scope:SCOPE_SYS
	v_cmp_eq_u32_e32 vcc_lo, 0, v1
	s_and_b32 s27, vcc_lo, exec_lo
	s_delay_alu instid0(SALU_CYCLE_1)
	s_or_b32 s26, s26, s27
	s_mov_b32 s28, -1
	s_or_b32 s24, s24, exec_lo
	s_wait_xcnt 0x0
	s_and_saveexec_b32 s27, s26
	s_cbranch_execz .LBB12_3260
.LBB12_3264:                            ;   in Loop: Header=BB12_3261 Depth=2
	s_sleep 1
	s_trap 2
	ds_load_b64 v[2:3], v0
	s_wait_dscnt 0x0
	scratch_load_b64 v[4:5], off, s33 offset:256 ; 8-byte Folded Reload
	s_and_not1_b32 s24, s24, exec_lo
	s_wait_loadcnt 0x0
	v_cmp_ge_u64_e32 vcc_lo, v[2:3], v[4:5]
	s_or_not1_b32 s28, vcc_lo, exec_lo
	s_branch .LBB12_3260
.LBB12_3265:                            ;   in Loop: Header=BB12_3209 Depth=1
	s_or_b32 exec_lo, exec_lo, s22
	s_and_saveexec_b32 s22, s23
	s_delay_alu instid0(SALU_CYCLE_1)
	s_xor_b32 s22, exec_lo, s22
	s_cbranch_execz .LBB12_3267
; %bb.3266:                             ;   in Loop: Header=BB12_3209 Depth=1
	ds_store_b32 v0, v117
	s_trap 2
.LBB12_3267:                            ;   in Loop: Header=BB12_3209 Depth=1
	s_or_b32 exec_lo, exec_lo, s21
	;;#ASMSTART
	s_wakeup
	;;#ASMEND
.LBB12_3268:                            ;   in Loop: Header=BB12_3209 Depth=1
	s_or_b32 exec_lo, exec_lo, s20
.LBB12_3269:                            ;   in Loop: Header=BB12_3209 Depth=1
	s_and_not1_saveexec_b32 s19, s19
	s_cbranch_execz .LBB12_3271
; %bb.3270:                             ;   in Loop: Header=BB12_3209 Depth=1
	global_wb scope:SCOPE_DEV
	s_wait_storecnt 0x0
	s_wait_loadcnt_dscnt 0x0
	global_inv scope:SCOPE_DEV
	s_barrier_signal -1
	s_barrier_wait -1
.LBB12_3271:                            ;   in Loop: Header=BB12_3209 Depth=1
	s_or_b32 exec_lo, exec_lo, s19
.LBB12_3272:                            ;   in Loop: Header=BB12_3209 Depth=1
	s_delay_alu instid0(SALU_CYCLE_1)
	s_or_b32 exec_lo, exec_lo, s10
	s_trap 2
	s_wait_dscnt 0x0
	ds_load_b64 v[2:3], v0
	s_wait_dscnt 0x0
	v_cmp_eq_u64_e32 vcc_lo, 0, v[2:3]
	s_cbranch_vccnz .LBB12_3280
; %bb.3273:                             ;   in Loop: Header=BB12_3209 Depth=1
	s_trap 2
	ds_load_b64 v[82:83], v0
	s_wait_dscnt 0x0
	v_cmp_eq_u64_e32 vcc_lo, 0, v[82:83]
	s_cbranch_vccnz .LBB12_3280
; %bb.3274:                             ;   in Loop: Header=BB12_3209 Depth=1
	s_mov_b32 s10, -1
	s_and_saveexec_b32 s19, s5
	s_cbranch_execz .LBB12_3276
; %bb.3275:                             ;   in Loop: Header=BB12_3209 Depth=1
	ds_load_b32 v1, v0 offset:720
	s_wait_dscnt 0x0
	v_and_b32_e32 v1, 15, v1
	s_delay_alu instid0(VALU_DEP_1)
	v_cmp_eq_u32_e32 vcc_lo, 0, v1
	s_or_not1_b32 s10, vcc_lo, exec_lo
.LBB12_3276:                            ;   in Loop: Header=BB12_3209 Depth=1
	s_or_b32 exec_lo, exec_lo, s19
	s_and_saveexec_b32 s19, s6
	s_cbranch_execz .LBB12_3278
; %bb.3277:                             ;   in Loop: Header=BB12_3209 Depth=1
	ds_load_b32 v1, v0 offset:784
	s_wait_dscnt 0x0
	v_and_b32_e32 v1, 15, v1
	s_delay_alu instid0(VALU_DEP_1) | instskip(SKIP_3) | instid1(SALU_CYCLE_1)
	v_cmp_eq_u32_e32 vcc_lo, 0, v1
	s_and_b32 s20, s10, vcc_lo
	s_and_not1_b32 s10, s10, exec_lo
	s_and_b32 s20, s20, exec_lo
	s_or_b32 s10, s10, s20
.LBB12_3278:                            ;   in Loop: Header=BB12_3209 Depth=1
	s_or_b32 exec_lo, exec_lo, s19
	s_xor_b32 s10, s10, -1
	s_mov_b32 s20, -1
	v_cndmask_b32_e64 v1, 0, 1, s10
	v_cmp_eq_u32_e64 s10, 0, v0
	scratch_store_b64 off, v[2:3], s33 offset:336 ; 8-byte Folded Spill
	v_cmp_ne_u32_e32 vcc_lo, 0, v1
	s_cbranch_vccz .LBB12_3281
; %bb.3279:                             ;   in Loop: Header=BB12_3209 Depth=1
	s_mov_b32 s20, 0
	s_mov_b32 s19, -1
	s_branch .LBB12_3282
.LBB12_3280:                            ;   in Loop: Header=BB12_3209 Depth=1
	s_mov_b32 s10, 0
	s_and_saveexec_b32 s19, s2
	s_cbranch_execnz .LBB12_4400
	s_branch .LBB12_4418
.LBB12_3281:                            ;   in Loop: Header=BB12_3209 Depth=1
	s_mov_b32 s19, 0
.LBB12_3282:                            ;   in Loop: Header=BB12_3209 Depth=1
	v_dual_cndmask_b32 v118, 0, v119, s10 :: v_dual_mov_b32 v12, 0
	s_and_not1_b32 vcc_lo, exec_lo, s20
	s_delay_alu instid0(VALU_DEP_1)
	v_lshlrev_b32_e32 v42, 1, v118
	s_cbranch_vccnz .LBB12_3802
; %bb.3283:                             ;   in Loop: Header=BB12_3209 Depth=1
	v_lshrrev_b32_e32 v0, 11, v118
	s_clause 0x1
	scratch_store_b64 off, v[64:65], s33 offset:356
	scratch_store_b64 off, v[82:83], s33 offset:348
	s_mov_b32 s20, 0
	s_mov_b32 s10, exec_lo
	scratch_store_b32 off, v0, s33 offset:364 ; 4-byte Folded Spill
	v_sub_nc_u32_e32 v43, v0, v116
	scratch_load_b64 v[0:1], off, s33 offset:376 ; 8-byte Folded Reload
                                        ; implicit-def: $vgpr96_vgpr97
                                        ; implicit-def: $vgpr68_vgpr69
                                        ; implicit-def: $vgpr48_vgpr49
                                        ; implicit-def: $vgpr26_vgpr27
                                        ; implicit-def: $vgpr22_vgpr23
                                        ; implicit-def: $vgpr18_vgpr19
                                        ; implicit-def: $vgpr14_vgpr15
                                        ; implicit-def: $vgpr10_vgpr11
	s_wait_loadcnt 0x0
	v_add_nc_u64_e32 v[124:125], v[82:83], v[0:1]
	s_wait_xcnt 0x0
	v_cmpx_lt_i32_e32 0, v43
	s_cbranch_execz .LBB12_3804
; %bb.3284:                             ;   in Loop: Header=BB12_3209 Depth=1
	s_clause 0x1
	scratch_store_b32 off, v42, s33 offset:432
	scratch_store_b32 off, v118, s33 offset:428
	s_trap 2
	ds_load_b32 v0, v0
	s_clause 0x1
	scratch_load_b64 v[2:3], off, s33 offset:376
	scratch_load_b64 v[4:5], off, s33 offset:336
	s_mov_b32 s22, 0
                                        ; implicit-def: $sgpr21
                                        ; implicit-def: $vgpr96_vgpr97
                                        ; implicit-def: $vgpr68_vgpr69
                                        ; implicit-def: $vgpr48_vgpr49
                                        ; implicit-def: $vgpr26_vgpr27
                                        ; implicit-def: $vgpr22_vgpr23
                                        ; implicit-def: $vgpr18_vgpr19
                                        ; implicit-def: $vgpr14_vgpr15
                                        ; implicit-def: $vgpr10_vgpr11
	s_wait_dscnt 0x0
	s_wait_xcnt 0x3
	v_lshlrev_b32_e32 v42, 16, v0
	s_wait_loadcnt 0x0
	v_add_nc_u64_e32 v[2:3], v[4:5], v[2:3]
	s_branch .LBB12_3286
.LBB12_3285:                            ;   in Loop: Header=BB12_3286 Depth=2
	s_or_b32 exec_lo, exec_lo, s23
	v_dual_lshrrev_b32 v8, 16, v106 :: v_dual_lshrrev_b32 v9, 16, v55
	v_lshrrev_b32_e32 v34, 16, v107
	v_lshrrev_b32_e32 v35, 16, v123
	v_dual_lshrrev_b32 v55, 16, v59 :: v_dual_lshrrev_b32 v4, 16, v4
	s_delay_alu instid0(VALU_DEP_4)
	v_and_or_b32 v33, 0xffff0000, v37, v8
	v_and_or_b32 v32, 0xffff0000, v36, v9
	v_dual_lshrrev_b32 v8, 16, v58 :: v_dual_lshrrev_b32 v9, 16, v121
	v_and_or_b32 v35, 0xffff0000, v39, v35
	v_and_or_b32 v39, 0xffff0000, v5, v4
	v_dual_lshrrev_b32 v4, 16, v126 :: v_dual_lshrrev_b32 v5, 16, v95
	s_delay_alu instid0(VALU_DEP_4)
	v_and_or_b32 v37, 0xffff0000, v53, v8
	v_and_or_b32 v36, 0xffff0000, v52, v9
	v_dual_lshrrev_b32 v8, 16, v77 :: v_dual_lshrrev_b32 v9, 16, v76
	v_and_or_b32 v34, 0xffff0000, v38, v34
	v_and_or_b32 v38, 0xffff0000, v54, v55
	v_dual_lshrrev_b32 v54, 16, v111 :: v_dual_lshrrev_b32 v55, 16, v120
	s_delay_alu instid0(VALU_DEP_4)
	v_and_or_b32 v53, 0xffff0000, v65, v8
	v_and_or_b32 v52, 0xffff0000, v64, v9
	v_dual_lshrrev_b32 v8, 16, v62 :: v_dual_lshrrev_b32 v9, 16, v31
	v_lshrrev_b32_e32 v31, 16, v116
	v_and_or_b32 v65, 0xffff0000, v81, v4
	v_lshrrev_b32_e32 v4, 16, v103
	v_and_or_b32 v54, 0xffff0000, v66, v54
	v_and_or_b32 v55, 0xffff0000, v67, v55
	;; [unrolled: 1-line block ×5, first 2 shown]
	v_dual_lshrrev_b32 v5, 16, v117 :: v_dual_lshrrev_b32 v8, 16, v94
	v_lshrrev_b32_e32 v9, 16, v44
	v_and_or_b32 v80, 0xffff0000, v84, v4
	v_dual_lshrrev_b32 v4, 16, v45 :: v_dual_lshrrev_b32 v0, 16, v0
	v_and_or_b32 v81, 0xffff0000, v85, v31
	v_lshrrev_b32_e32 v31, 16, v61
	v_and_or_b32 v83, 0xffff0000, v87, v8
	v_and_or_b32 v85, 0xffff0000, v101, v9
	v_lshrrev_b32_e32 v9, 16, v118
	v_and_or_b32 v87, 0xffff0000, v1, v0
	v_lshrrev_b32_e32 v0, 16, v60
	v_and_or_b32 v82, 0xffff0000, v86, v5
	v_dual_lshrrev_b32 v5, 16, v91 :: v_dual_lshrrev_b32 v8, 16, v90
	v_lshrrev_b32_e32 v1, 16, v57
	s_delay_alu instid0(VALU_DEP_4)
	v_and_or_b32 v103, 0xffff0000, v115, v0
	v_cndmask_b32_e64 v0, 0, v72, s22
	v_and_or_b32 v84, 0xffff0000, v100, v31
	v_and_or_b32 v86, 0xffff0000, v102, v4
	;; [unrolled: 1-line block ×4, first 2 shown]
	v_dual_lshrrev_b32 v8, 16, v89 :: v_dual_lshrrev_b32 v9, 16, v6
	v_lshrrev_b32_e32 v4, 16, v122
	v_and_or_b32 v101, 0xffff0000, v113, v5
	v_and_or_b32 v5, 0xffff0000, v88, v1
	v_dual_cndmask_b32 v1, 0, v75, s22 :: v_dual_sub_nc_u32 v43, v43, v0
	v_cndmask_b32_e64 v0, 0, v74, s22
	v_and_or_b32 v6, 0xffff0000, v63, v8
	v_and_or_b32 v7, 0xffff0000, v7, v9
	v_cndmask_b32_e64 v9, 0, v93, s22
	v_cndmask_b32_e64 v8, 0x1000, v92, s22
	v_and_or_b32 v4, 0xffff0000, v56, v4
	v_cmp_gt_i32_e32 vcc_lo, 1, v43
	s_clause 0x7
	global_store_b128 v[124:125], v[100:103], off th:TH_STORE_NT
	global_store_b128 v[124:125], v[84:87], off offset:512 th:TH_STORE_NT
	global_store_b128 v[124:125], v[80:83], off offset:1024 th:TH_STORE_NT
	;; [unrolled: 1-line block ×7, first 2 shown]
	v_add_nc_u64_e32 v[2:3], v[2:3], v[0:1]
	s_wait_xcnt 0x0
	v_add_nc_u64_e32 v[124:125], v[124:125], v[8:9]
	s_or_b32 s20, vcc_lo, s20
	s_and_not1_b32 s21, s21, exec_lo
	s_and_b32 s23, s22, exec_lo
	s_delay_alu instid0(SALU_CYCLE_1)
	s_or_b32 s21, s21, s23
	s_and_not1_b32 exec_lo, exec_lo, s20
	s_cbranch_execz .LBB12_3803
.LBB12_3286:                            ;   Parent Loop BB12_3209 Depth=1
                                        ; =>  This Inner Loop Header: Depth=2
	s_clause 0x7
	global_load_b128 v[112:115], v[2:3], off th:TH_LOAD_NT
	global_load_b128 v[100:103], v[2:3], off offset:512 th:TH_LOAD_NT
	global_load_b128 v[84:87], v[2:3], off offset:1024 th:TH_LOAD_NT
	;; [unrolled: 1-line block ×7, first 2 shown]
	s_wait_xcnt 0x0
	s_and_saveexec_b32 s23, s22
	s_cbranch_execz .LBB12_3544
; %bb.3287:                             ;   in Loop: Header=BB12_3286 Depth=2
	v_lshlrev_b32_e32 v0, 16, v96
	s_mov_b32 s22, exec_lo
                                        ; implicit-def: $vgpr90
	s_delay_alu instid0(VALU_DEP_1) | instskip(NEXT) | instid1(VALU_DEP_1)
	v_mul_f32_e32 v0, v42, v0
	v_and_b32_e32 v1, 0x7f800000, v0
	s_delay_alu instid0(VALU_DEP_1)
	v_cmpx_ne_u32_e32 0x7f800000, v1
	s_xor_b32 s22, exec_lo, s22
; %bb.3288:                             ;   in Loop: Header=BB12_3286 Depth=2
	v_bfe_u32 v1, v0, 16, 1
	s_delay_alu instid0(VALU_DEP_1)
	v_add3_u32 v90, v0, v1, 0x7fff
                                        ; implicit-def: $vgpr0
; %bb.3289:                             ;   in Loop: Header=BB12_3286 Depth=2
	s_and_not1_saveexec_b32 s22, s22
; %bb.3290:                             ;   in Loop: Header=BB12_3286 Depth=2
	v_and_b32_e32 v1, 0xffff, v0
	v_or_b32_e32 v4, 0x10000, v0
	s_delay_alu instid0(VALU_DEP_2) | instskip(NEXT) | instid1(VALU_DEP_2)
	v_cmp_eq_u32_e32 vcc_lo, 0, v1
	v_cndmask_b32_e32 v90, v4, v0, vcc_lo
; %bb.3291:                             ;   in Loop: Header=BB12_3286 Depth=2
	s_or_b32 exec_lo, exec_lo, s22
	v_and_b32_e32 v0, 0xffff0000, v96
	s_mov_b32 s22, exec_lo
                                        ; implicit-def: $vgpr96
	s_delay_alu instid0(VALU_DEP_1) | instskip(NEXT) | instid1(VALU_DEP_1)
	v_mul_f32_e32 v0, v42, v0
	v_and_b32_e32 v1, 0x7f800000, v0
	s_delay_alu instid0(VALU_DEP_1)
	v_cmpx_ne_u32_e32 0x7f800000, v1
	s_xor_b32 s22, exec_lo, s22
; %bb.3292:                             ;   in Loop: Header=BB12_3286 Depth=2
	v_bfe_u32 v1, v0, 16, 1
	s_delay_alu instid0(VALU_DEP_1)
	v_add3_u32 v96, v0, v1, 0x7fff
                                        ; implicit-def: $vgpr0
; %bb.3293:                             ;   in Loop: Header=BB12_3286 Depth=2
	s_and_not1_saveexec_b32 s22, s22
; %bb.3294:                             ;   in Loop: Header=BB12_3286 Depth=2
	v_and_b32_e32 v1, 0xffff, v0
	v_or_b32_e32 v4, 0x10000, v0
	s_delay_alu instid0(VALU_DEP_2) | instskip(NEXT) | instid1(VALU_DEP_2)
	v_cmp_eq_u32_e32 vcc_lo, 0, v1
	v_cndmask_b32_e32 v96, v4, v0, vcc_lo
; %bb.3295:                             ;   in Loop: Header=BB12_3286 Depth=2
	s_or_b32 exec_lo, exec_lo, s22
	v_lshlrev_b32_e32 v0, 16, v97
	s_mov_b32 s22, exec_lo
                                        ; implicit-def: $vgpr91
	s_delay_alu instid0(VALU_DEP_1) | instskip(NEXT) | instid1(VALU_DEP_1)
	v_mul_f32_e32 v0, v42, v0
	v_and_b32_e32 v1, 0x7f800000, v0
	s_delay_alu instid0(VALU_DEP_1)
	v_cmpx_ne_u32_e32 0x7f800000, v1
	s_xor_b32 s22, exec_lo, s22
; %bb.3296:                             ;   in Loop: Header=BB12_3286 Depth=2
	v_bfe_u32 v1, v0, 16, 1
	s_delay_alu instid0(VALU_DEP_1)
	v_add3_u32 v91, v0, v1, 0x7fff
                                        ; implicit-def: $vgpr0
; %bb.3297:                             ;   in Loop: Header=BB12_3286 Depth=2
	s_and_not1_saveexec_b32 s22, s22
; %bb.3298:                             ;   in Loop: Header=BB12_3286 Depth=2
	v_and_b32_e32 v1, 0xffff, v0
	v_or_b32_e32 v4, 0x10000, v0
	s_delay_alu instid0(VALU_DEP_2) | instskip(NEXT) | instid1(VALU_DEP_2)
	v_cmp_eq_u32_e32 vcc_lo, 0, v1
	v_cndmask_b32_e32 v91, v4, v0, vcc_lo
; %bb.3299:                             ;   in Loop: Header=BB12_3286 Depth=2
	s_or_b32 exec_lo, exec_lo, s22
	v_and_b32_e32 v0, 0xffff0000, v97
	s_mov_b32 s22, exec_lo
                                        ; implicit-def: $vgpr97
	s_delay_alu instid0(VALU_DEP_1) | instskip(NEXT) | instid1(VALU_DEP_1)
	v_mul_f32_e32 v0, v42, v0
	v_and_b32_e32 v1, 0x7f800000, v0
	s_delay_alu instid0(VALU_DEP_1)
	v_cmpx_ne_u32_e32 0x7f800000, v1
	s_xor_b32 s22, exec_lo, s22
; %bb.3300:                             ;   in Loop: Header=BB12_3286 Depth=2
	v_bfe_u32 v1, v0, 16, 1
	s_delay_alu instid0(VALU_DEP_1)
	v_add3_u32 v97, v0, v1, 0x7fff
                                        ; implicit-def: $vgpr0
; %bb.3301:                             ;   in Loop: Header=BB12_3286 Depth=2
	s_and_not1_saveexec_b32 s22, s22
; %bb.3302:                             ;   in Loop: Header=BB12_3286 Depth=2
	v_and_b32_e32 v1, 0xffff, v0
	v_or_b32_e32 v4, 0x10000, v0
	s_delay_alu instid0(VALU_DEP_2) | instskip(NEXT) | instid1(VALU_DEP_2)
	v_cmp_eq_u32_e32 vcc_lo, 0, v1
	v_cndmask_b32_e32 v97, v4, v0, vcc_lo
; %bb.3303:                             ;   in Loop: Header=BB12_3286 Depth=2
	s_or_b32 exec_lo, exec_lo, s22
	v_lshlrev_b32_e32 v0, 16, v98
	s_mov_b32 s22, exec_lo
                                        ; implicit-def: $vgpr118
	s_delay_alu instid0(VALU_DEP_1) | instskip(NEXT) | instid1(VALU_DEP_1)
	v_mul_f32_e32 v0, v42, v0
	v_and_b32_e32 v1, 0x7f800000, v0
	s_delay_alu instid0(VALU_DEP_1)
	v_cmpx_ne_u32_e32 0x7f800000, v1
	s_xor_b32 s22, exec_lo, s22
; %bb.3304:                             ;   in Loop: Header=BB12_3286 Depth=2
	v_bfe_u32 v1, v0, 16, 1
	s_delay_alu instid0(VALU_DEP_1)
	v_add3_u32 v118, v0, v1, 0x7fff
                                        ; implicit-def: $vgpr0
; %bb.3305:                             ;   in Loop: Header=BB12_3286 Depth=2
	s_and_not1_saveexec_b32 s22, s22
; %bb.3306:                             ;   in Loop: Header=BB12_3286 Depth=2
	v_and_b32_e32 v1, 0xffff, v0
	v_or_b32_e32 v4, 0x10000, v0
	s_delay_alu instid0(VALU_DEP_2) | instskip(NEXT) | instid1(VALU_DEP_2)
	v_cmp_eq_u32_e32 vcc_lo, 0, v1
	v_cndmask_b32_e32 v118, v4, v0, vcc_lo
; %bb.3307:                             ;   in Loop: Header=BB12_3286 Depth=2
	s_or_b32 exec_lo, exec_lo, s22
	v_and_b32_e32 v0, 0xffff0000, v98
	s_mov_b32 s22, exec_lo
                                        ; implicit-def: $vgpr98
	s_delay_alu instid0(VALU_DEP_1) | instskip(NEXT) | instid1(VALU_DEP_1)
	v_mul_f32_e32 v0, v42, v0
	v_and_b32_e32 v1, 0x7f800000, v0
	s_delay_alu instid0(VALU_DEP_1)
	v_cmpx_ne_u32_e32 0x7f800000, v1
	s_xor_b32 s22, exec_lo, s22
; %bb.3308:                             ;   in Loop: Header=BB12_3286 Depth=2
	v_bfe_u32 v1, v0, 16, 1
	s_delay_alu instid0(VALU_DEP_1)
	v_add3_u32 v98, v0, v1, 0x7fff
                                        ; implicit-def: $vgpr0
; %bb.3309:                             ;   in Loop: Header=BB12_3286 Depth=2
	s_and_not1_saveexec_b32 s22, s22
; %bb.3310:                             ;   in Loop: Header=BB12_3286 Depth=2
	v_and_b32_e32 v1, 0xffff, v0
	v_or_b32_e32 v4, 0x10000, v0
	s_delay_alu instid0(VALU_DEP_2) | instskip(NEXT) | instid1(VALU_DEP_2)
	v_cmp_eq_u32_e32 vcc_lo, 0, v1
	v_cndmask_b32_e32 v98, v4, v0, vcc_lo
; %bb.3311:                             ;   in Loop: Header=BB12_3286 Depth=2
	s_or_b32 exec_lo, exec_lo, s22
	v_lshlrev_b32_e32 v0, 16, v99
	s_mov_b32 s22, exec_lo
                                        ; implicit-def: $vgpr60
	s_delay_alu instid0(VALU_DEP_1) | instskip(NEXT) | instid1(VALU_DEP_1)
	v_mul_f32_e32 v0, v42, v0
	v_and_b32_e32 v1, 0x7f800000, v0
	s_delay_alu instid0(VALU_DEP_1)
	v_cmpx_ne_u32_e32 0x7f800000, v1
	s_xor_b32 s22, exec_lo, s22
; %bb.3312:                             ;   in Loop: Header=BB12_3286 Depth=2
	v_bfe_u32 v1, v0, 16, 1
	s_delay_alu instid0(VALU_DEP_1)
	v_add3_u32 v60, v0, v1, 0x7fff
                                        ; implicit-def: $vgpr0
; %bb.3313:                             ;   in Loop: Header=BB12_3286 Depth=2
	s_and_not1_saveexec_b32 s22, s22
; %bb.3314:                             ;   in Loop: Header=BB12_3286 Depth=2
	v_and_b32_e32 v1, 0xffff, v0
	v_or_b32_e32 v4, 0x10000, v0
	s_delay_alu instid0(VALU_DEP_2) | instskip(NEXT) | instid1(VALU_DEP_2)
	v_cmp_eq_u32_e32 vcc_lo, 0, v1
	v_cndmask_b32_e32 v60, v4, v0, vcc_lo
; %bb.3315:                             ;   in Loop: Header=BB12_3286 Depth=2
	s_or_b32 exec_lo, exec_lo, s22
	v_and_b32_e32 v0, 0xffff0000, v99
	s_mov_b32 s22, exec_lo
                                        ; implicit-def: $vgpr99
	s_delay_alu instid0(VALU_DEP_1) | instskip(NEXT) | instid1(VALU_DEP_1)
	v_mul_f32_e32 v0, v42, v0
	v_and_b32_e32 v1, 0x7f800000, v0
	s_delay_alu instid0(VALU_DEP_1)
	v_cmpx_ne_u32_e32 0x7f800000, v1
	s_xor_b32 s22, exec_lo, s22
; %bb.3316:                             ;   in Loop: Header=BB12_3286 Depth=2
	v_bfe_u32 v1, v0, 16, 1
	s_delay_alu instid0(VALU_DEP_1)
	v_add3_u32 v99, v0, v1, 0x7fff
                                        ; implicit-def: $vgpr0
; %bb.3317:                             ;   in Loop: Header=BB12_3286 Depth=2
	s_and_not1_saveexec_b32 s22, s22
; %bb.3318:                             ;   in Loop: Header=BB12_3286 Depth=2
	v_and_b32_e32 v1, 0xffff, v0
	v_or_b32_e32 v4, 0x10000, v0
	s_delay_alu instid0(VALU_DEP_2) | instskip(NEXT) | instid1(VALU_DEP_2)
	v_cmp_eq_u32_e32 vcc_lo, 0, v1
	v_cndmask_b32_e32 v99, v4, v0, vcc_lo
; %bb.3319:                             ;   in Loop: Header=BB12_3286 Depth=2
	s_or_b32 exec_lo, exec_lo, s22
	v_lshlrev_b32_e32 v0, 16, v68
	s_mov_b32 s22, exec_lo
                                        ; implicit-def: $vgpr61
	s_delay_alu instid0(VALU_DEP_1) | instskip(NEXT) | instid1(VALU_DEP_1)
	v_mul_f32_e32 v0, v42, v0
	v_and_b32_e32 v1, 0x7f800000, v0
	s_delay_alu instid0(VALU_DEP_1)
	v_cmpx_ne_u32_e32 0x7f800000, v1
	s_xor_b32 s22, exec_lo, s22
; %bb.3320:                             ;   in Loop: Header=BB12_3286 Depth=2
	v_bfe_u32 v1, v0, 16, 1
	s_delay_alu instid0(VALU_DEP_1)
	v_add3_u32 v61, v0, v1, 0x7fff
                                        ; implicit-def: $vgpr0
; %bb.3321:                             ;   in Loop: Header=BB12_3286 Depth=2
	s_and_not1_saveexec_b32 s22, s22
; %bb.3322:                             ;   in Loop: Header=BB12_3286 Depth=2
	v_and_b32_e32 v1, 0xffff, v0
	v_or_b32_e32 v4, 0x10000, v0
	s_delay_alu instid0(VALU_DEP_2) | instskip(NEXT) | instid1(VALU_DEP_2)
	v_cmp_eq_u32_e32 vcc_lo, 0, v1
	v_cndmask_b32_e32 v61, v4, v0, vcc_lo
; %bb.3323:                             ;   in Loop: Header=BB12_3286 Depth=2
	s_or_b32 exec_lo, exec_lo, s22
	v_and_b32_e32 v0, 0xffff0000, v68
	s_mov_b32 s22, exec_lo
                                        ; implicit-def: $vgpr68
	s_delay_alu instid0(VALU_DEP_1) | instskip(NEXT) | instid1(VALU_DEP_1)
	v_mul_f32_e32 v0, v42, v0
	v_and_b32_e32 v1, 0x7f800000, v0
	s_delay_alu instid0(VALU_DEP_1)
	v_cmpx_ne_u32_e32 0x7f800000, v1
	s_xor_b32 s22, exec_lo, s22
; %bb.3324:                             ;   in Loop: Header=BB12_3286 Depth=2
	v_bfe_u32 v1, v0, 16, 1
	s_delay_alu instid0(VALU_DEP_1)
	v_add3_u32 v68, v0, v1, 0x7fff
                                        ; implicit-def: $vgpr0
; %bb.3325:                             ;   in Loop: Header=BB12_3286 Depth=2
	s_and_not1_saveexec_b32 s22, s22
; %bb.3326:                             ;   in Loop: Header=BB12_3286 Depth=2
	v_and_b32_e32 v1, 0xffff, v0
	v_or_b32_e32 v4, 0x10000, v0
	s_delay_alu instid0(VALU_DEP_2) | instskip(NEXT) | instid1(VALU_DEP_2)
	v_cmp_eq_u32_e32 vcc_lo, 0, v1
	v_cndmask_b32_e32 v68, v4, v0, vcc_lo
; %bb.3327:                             ;   in Loop: Header=BB12_3286 Depth=2
	s_or_b32 exec_lo, exec_lo, s22
	v_lshlrev_b32_e32 v0, 16, v69
	s_mov_b32 s22, exec_lo
                                        ; implicit-def: $vgpr44
	s_delay_alu instid0(VALU_DEP_1) | instskip(NEXT) | instid1(VALU_DEP_1)
	v_mul_f32_e32 v0, v42, v0
	v_and_b32_e32 v1, 0x7f800000, v0
	s_delay_alu instid0(VALU_DEP_1)
	v_cmpx_ne_u32_e32 0x7f800000, v1
	s_xor_b32 s22, exec_lo, s22
; %bb.3328:                             ;   in Loop: Header=BB12_3286 Depth=2
	v_bfe_u32 v1, v0, 16, 1
	s_delay_alu instid0(VALU_DEP_1)
	v_add3_u32 v44, v0, v1, 0x7fff
                                        ; implicit-def: $vgpr0
; %bb.3329:                             ;   in Loop: Header=BB12_3286 Depth=2
	s_and_not1_saveexec_b32 s22, s22
; %bb.3330:                             ;   in Loop: Header=BB12_3286 Depth=2
	v_and_b32_e32 v1, 0xffff, v0
	v_or_b32_e32 v4, 0x10000, v0
	s_delay_alu instid0(VALU_DEP_2) | instskip(NEXT) | instid1(VALU_DEP_2)
	v_cmp_eq_u32_e32 vcc_lo, 0, v1
	v_cndmask_b32_e32 v44, v4, v0, vcc_lo
; %bb.3331:                             ;   in Loop: Header=BB12_3286 Depth=2
	s_or_b32 exec_lo, exec_lo, s22
	v_and_b32_e32 v0, 0xffff0000, v69
	s_mov_b32 s22, exec_lo
                                        ; implicit-def: $vgpr69
	s_delay_alu instid0(VALU_DEP_1) | instskip(NEXT) | instid1(VALU_DEP_1)
	v_mul_f32_e32 v0, v42, v0
	v_and_b32_e32 v1, 0x7f800000, v0
	s_delay_alu instid0(VALU_DEP_1)
	v_cmpx_ne_u32_e32 0x7f800000, v1
	s_xor_b32 s22, exec_lo, s22
; %bb.3332:                             ;   in Loop: Header=BB12_3286 Depth=2
	v_bfe_u32 v1, v0, 16, 1
	s_delay_alu instid0(VALU_DEP_1)
	v_add3_u32 v69, v0, v1, 0x7fff
                                        ; implicit-def: $vgpr0
; %bb.3333:                             ;   in Loop: Header=BB12_3286 Depth=2
	s_and_not1_saveexec_b32 s22, s22
; %bb.3334:                             ;   in Loop: Header=BB12_3286 Depth=2
	v_and_b32_e32 v1, 0xffff, v0
	v_or_b32_e32 v4, 0x10000, v0
	s_delay_alu instid0(VALU_DEP_2) | instskip(NEXT) | instid1(VALU_DEP_2)
	v_cmp_eq_u32_e32 vcc_lo, 0, v1
	v_cndmask_b32_e32 v69, v4, v0, vcc_lo
; %bb.3335:                             ;   in Loop: Header=BB12_3286 Depth=2
	s_or_b32 exec_lo, exec_lo, s22
	v_lshlrev_b32_e32 v0, 16, v70
	s_mov_b32 s22, exec_lo
                                        ; implicit-def: $vgpr45
	s_delay_alu instid0(VALU_DEP_1) | instskip(NEXT) | instid1(VALU_DEP_1)
	v_mul_f32_e32 v0, v42, v0
	v_and_b32_e32 v1, 0x7f800000, v0
	s_delay_alu instid0(VALU_DEP_1)
	v_cmpx_ne_u32_e32 0x7f800000, v1
	s_xor_b32 s22, exec_lo, s22
; %bb.3336:                             ;   in Loop: Header=BB12_3286 Depth=2
	v_bfe_u32 v1, v0, 16, 1
	s_delay_alu instid0(VALU_DEP_1)
	v_add3_u32 v45, v0, v1, 0x7fff
                                        ; implicit-def: $vgpr0
; %bb.3337:                             ;   in Loop: Header=BB12_3286 Depth=2
	s_and_not1_saveexec_b32 s22, s22
; %bb.3338:                             ;   in Loop: Header=BB12_3286 Depth=2
	v_and_b32_e32 v1, 0xffff, v0
	v_or_b32_e32 v4, 0x10000, v0
	s_delay_alu instid0(VALU_DEP_2) | instskip(NEXT) | instid1(VALU_DEP_2)
	v_cmp_eq_u32_e32 vcc_lo, 0, v1
	v_cndmask_b32_e32 v45, v4, v0, vcc_lo
; %bb.3339:                             ;   in Loop: Header=BB12_3286 Depth=2
	s_or_b32 exec_lo, exec_lo, s22
	v_and_b32_e32 v0, 0xffff0000, v70
	s_mov_b32 s22, exec_lo
                                        ; implicit-def: $vgpr70
	s_delay_alu instid0(VALU_DEP_1) | instskip(NEXT) | instid1(VALU_DEP_1)
	v_mul_f32_e32 v0, v42, v0
	v_and_b32_e32 v1, 0x7f800000, v0
	s_delay_alu instid0(VALU_DEP_1)
	v_cmpx_ne_u32_e32 0x7f800000, v1
	s_xor_b32 s22, exec_lo, s22
; %bb.3340:                             ;   in Loop: Header=BB12_3286 Depth=2
	v_bfe_u32 v1, v0, 16, 1
	s_delay_alu instid0(VALU_DEP_1)
	v_add3_u32 v70, v0, v1, 0x7fff
                                        ; implicit-def: $vgpr0
; %bb.3341:                             ;   in Loop: Header=BB12_3286 Depth=2
	s_and_not1_saveexec_b32 s22, s22
; %bb.3342:                             ;   in Loop: Header=BB12_3286 Depth=2
	v_and_b32_e32 v1, 0xffff, v0
	v_or_b32_e32 v4, 0x10000, v0
	s_delay_alu instid0(VALU_DEP_2) | instskip(NEXT) | instid1(VALU_DEP_2)
	v_cmp_eq_u32_e32 vcc_lo, 0, v1
	v_cndmask_b32_e32 v70, v4, v0, vcc_lo
; %bb.3343:                             ;   in Loop: Header=BB12_3286 Depth=2
	s_or_b32 exec_lo, exec_lo, s22
	v_lshlrev_b32_e32 v0, 16, v71
	s_delay_alu instid0(VALU_DEP_1) | instskip(NEXT) | instid1(VALU_DEP_1)
	v_mul_f32_e32 v1, v42, v0
	v_and_b32_e32 v0, 0x7f800000, v1
	s_delay_alu instid0(VALU_DEP_1) | instskip(SKIP_1) | instid1(SALU_CYCLE_1)
	v_cmp_ne_u32_e32 vcc_lo, 0x7f800000, v0
                                        ; implicit-def: $vgpr0
	s_and_saveexec_b32 s22, vcc_lo
	s_xor_b32 s22, exec_lo, s22
; %bb.3344:                             ;   in Loop: Header=BB12_3286 Depth=2
	v_bfe_u32 v0, v1, 16, 1
	s_delay_alu instid0(VALU_DEP_1)
	v_add3_u32 v0, v1, v0, 0x7fff
                                        ; implicit-def: $vgpr1
; %bb.3345:                             ;   in Loop: Header=BB12_3286 Depth=2
	s_and_not1_saveexec_b32 s22, s22
; %bb.3346:                             ;   in Loop: Header=BB12_3286 Depth=2
	v_and_b32_e32 v0, 0xffff, v1
	v_or_b32_e32 v4, 0x10000, v1
	s_delay_alu instid0(VALU_DEP_2) | instskip(NEXT) | instid1(VALU_DEP_2)
	v_cmp_eq_u32_e32 vcc_lo, 0, v0
	v_cndmask_b32_e32 v0, v4, v1, vcc_lo
; %bb.3347:                             ;   in Loop: Header=BB12_3286 Depth=2
	s_or_b32 exec_lo, exec_lo, s22
	v_and_b32_e32 v1, 0xffff0000, v71
	s_delay_alu instid0(VALU_DEP_1) | instskip(NEXT) | instid1(VALU_DEP_1)
	v_mul_f32_e32 v4, v42, v1
	v_and_b32_e32 v1, 0x7f800000, v4
	s_delay_alu instid0(VALU_DEP_1) | instskip(SKIP_1) | instid1(SALU_CYCLE_1)
	v_cmp_ne_u32_e32 vcc_lo, 0x7f800000, v1
                                        ; implicit-def: $vgpr1
	s_and_saveexec_b32 s22, vcc_lo
	s_xor_b32 s22, exec_lo, s22
; %bb.3348:                             ;   in Loop: Header=BB12_3286 Depth=2
	v_bfe_u32 v1, v4, 16, 1
	s_delay_alu instid0(VALU_DEP_1)
	v_add3_u32 v1, v4, v1, 0x7fff
                                        ; implicit-def: $vgpr4
; %bb.3349:                             ;   in Loop: Header=BB12_3286 Depth=2
	s_and_not1_saveexec_b32 s22, s22
; %bb.3350:                             ;   in Loop: Header=BB12_3286 Depth=2
	v_and_b32_e32 v1, 0xffff, v4
	v_or_b32_e32 v5, 0x10000, v4
	s_delay_alu instid0(VALU_DEP_2) | instskip(NEXT) | instid1(VALU_DEP_2)
	v_cmp_eq_u32_e32 vcc_lo, 0, v1
	v_cndmask_b32_e32 v1, v5, v4, vcc_lo
; %bb.3351:                             ;   in Loop: Header=BB12_3286 Depth=2
	s_or_b32 exec_lo, exec_lo, s22
	v_lshlrev_b32_e32 v4, 16, v48
	s_mov_b32 s22, exec_lo
                                        ; implicit-def: $vgpr71
	s_delay_alu instid0(VALU_DEP_1) | instskip(NEXT) | instid1(VALU_DEP_1)
	v_mul_f32_e32 v4, v42, v4
	v_and_b32_e32 v5, 0x7f800000, v4
	s_delay_alu instid0(VALU_DEP_1)
	v_cmpx_ne_u32_e32 0x7f800000, v5
	s_xor_b32 s22, exec_lo, s22
; %bb.3352:                             ;   in Loop: Header=BB12_3286 Depth=2
	v_bfe_u32 v5, v4, 16, 1
	s_delay_alu instid0(VALU_DEP_1)
	v_add3_u32 v71, v4, v5, 0x7fff
                                        ; implicit-def: $vgpr4
; %bb.3353:                             ;   in Loop: Header=BB12_3286 Depth=2
	s_and_not1_saveexec_b32 s22, s22
; %bb.3354:                             ;   in Loop: Header=BB12_3286 Depth=2
	v_and_b32_e32 v5, 0xffff, v4
	v_or_b32_e32 v6, 0x10000, v4
	s_delay_alu instid0(VALU_DEP_2) | instskip(NEXT) | instid1(VALU_DEP_2)
	v_cmp_eq_u32_e32 vcc_lo, 0, v5
	v_cndmask_b32_e32 v71, v6, v4, vcc_lo
; %bb.3355:                             ;   in Loop: Header=BB12_3286 Depth=2
	s_or_b32 exec_lo, exec_lo, s22
	v_and_b32_e32 v4, 0xffff0000, v48
	s_mov_b32 s22, exec_lo
                                        ; implicit-def: $vgpr48
	s_delay_alu instid0(VALU_DEP_1) | instskip(NEXT) | instid1(VALU_DEP_1)
	v_mul_f32_e32 v4, v42, v4
	v_and_b32_e32 v5, 0x7f800000, v4
	s_delay_alu instid0(VALU_DEP_1)
	v_cmpx_ne_u32_e32 0x7f800000, v5
	s_xor_b32 s22, exec_lo, s22
; %bb.3356:                             ;   in Loop: Header=BB12_3286 Depth=2
	v_bfe_u32 v5, v4, 16, 1
	s_delay_alu instid0(VALU_DEP_1)
	v_add3_u32 v48, v4, v5, 0x7fff
                                        ; implicit-def: $vgpr4
; %bb.3357:                             ;   in Loop: Header=BB12_3286 Depth=2
	s_and_not1_saveexec_b32 s22, s22
; %bb.3358:                             ;   in Loop: Header=BB12_3286 Depth=2
	v_and_b32_e32 v5, 0xffff, v4
	v_or_b32_e32 v6, 0x10000, v4
	s_delay_alu instid0(VALU_DEP_2) | instskip(NEXT) | instid1(VALU_DEP_2)
	v_cmp_eq_u32_e32 vcc_lo, 0, v5
	v_cndmask_b32_e32 v48, v6, v4, vcc_lo
; %bb.3359:                             ;   in Loop: Header=BB12_3286 Depth=2
	s_or_b32 exec_lo, exec_lo, s22
	v_lshlrev_b32_e32 v4, 16, v49
	s_mov_b32 s22, exec_lo
                                        ; implicit-def: $vgpr116
	s_delay_alu instid0(VALU_DEP_1) | instskip(NEXT) | instid1(VALU_DEP_1)
	v_mul_f32_e32 v4, v42, v4
	v_and_b32_e32 v5, 0x7f800000, v4
	s_delay_alu instid0(VALU_DEP_1)
	v_cmpx_ne_u32_e32 0x7f800000, v5
	s_xor_b32 s22, exec_lo, s22
; %bb.3360:                             ;   in Loop: Header=BB12_3286 Depth=2
	v_bfe_u32 v5, v4, 16, 1
	s_delay_alu instid0(VALU_DEP_1)
	v_add3_u32 v116, v4, v5, 0x7fff
                                        ; implicit-def: $vgpr4
; %bb.3361:                             ;   in Loop: Header=BB12_3286 Depth=2
	s_and_not1_saveexec_b32 s22, s22
; %bb.3362:                             ;   in Loop: Header=BB12_3286 Depth=2
	v_and_b32_e32 v5, 0xffff, v4
	v_or_b32_e32 v6, 0x10000, v4
	s_delay_alu instid0(VALU_DEP_2) | instskip(NEXT) | instid1(VALU_DEP_2)
	v_cmp_eq_u32_e32 vcc_lo, 0, v5
	v_cndmask_b32_e32 v116, v6, v4, vcc_lo
; %bb.3363:                             ;   in Loop: Header=BB12_3286 Depth=2
	s_or_b32 exec_lo, exec_lo, s22
	v_and_b32_e32 v4, 0xffff0000, v49
	s_mov_b32 s22, exec_lo
                                        ; implicit-def: $vgpr49
	s_delay_alu instid0(VALU_DEP_1) | instskip(NEXT) | instid1(VALU_DEP_1)
	v_mul_f32_e32 v4, v42, v4
	v_and_b32_e32 v5, 0x7f800000, v4
	s_delay_alu instid0(VALU_DEP_1)
	v_cmpx_ne_u32_e32 0x7f800000, v5
	s_xor_b32 s22, exec_lo, s22
; %bb.3364:                             ;   in Loop: Header=BB12_3286 Depth=2
	v_bfe_u32 v5, v4, 16, 1
	s_delay_alu instid0(VALU_DEP_1)
	v_add3_u32 v49, v4, v5, 0x7fff
                                        ; implicit-def: $vgpr4
; %bb.3365:                             ;   in Loop: Header=BB12_3286 Depth=2
	s_and_not1_saveexec_b32 s22, s22
; %bb.3366:                             ;   in Loop: Header=BB12_3286 Depth=2
	v_and_b32_e32 v5, 0xffff, v4
	v_or_b32_e32 v6, 0x10000, v4
	s_delay_alu instid0(VALU_DEP_2) | instskip(NEXT) | instid1(VALU_DEP_2)
	v_cmp_eq_u32_e32 vcc_lo, 0, v5
	v_cndmask_b32_e32 v49, v6, v4, vcc_lo
; %bb.3367:                             ;   in Loop: Header=BB12_3286 Depth=2
	s_or_b32 exec_lo, exec_lo, s22
	v_lshlrev_b32_e32 v4, 16, v50
	s_mov_b32 s22, exec_lo
                                        ; implicit-def: $vgpr117
	s_delay_alu instid0(VALU_DEP_1) | instskip(NEXT) | instid1(VALU_DEP_1)
	v_mul_f32_e32 v4, v42, v4
	v_and_b32_e32 v5, 0x7f800000, v4
	s_delay_alu instid0(VALU_DEP_1)
	v_cmpx_ne_u32_e32 0x7f800000, v5
	s_xor_b32 s22, exec_lo, s22
; %bb.3368:                             ;   in Loop: Header=BB12_3286 Depth=2
	v_bfe_u32 v5, v4, 16, 1
	s_delay_alu instid0(VALU_DEP_1)
	v_add3_u32 v117, v4, v5, 0x7fff
                                        ; implicit-def: $vgpr4
; %bb.3369:                             ;   in Loop: Header=BB12_3286 Depth=2
	s_and_not1_saveexec_b32 s22, s22
; %bb.3370:                             ;   in Loop: Header=BB12_3286 Depth=2
	v_and_b32_e32 v5, 0xffff, v4
	v_or_b32_e32 v6, 0x10000, v4
	s_delay_alu instid0(VALU_DEP_2) | instskip(NEXT) | instid1(VALU_DEP_2)
	v_cmp_eq_u32_e32 vcc_lo, 0, v5
	v_cndmask_b32_e32 v117, v6, v4, vcc_lo
; %bb.3371:                             ;   in Loop: Header=BB12_3286 Depth=2
	s_or_b32 exec_lo, exec_lo, s22
	v_and_b32_e32 v4, 0xffff0000, v50
	s_mov_b32 s22, exec_lo
                                        ; implicit-def: $vgpr50
	s_delay_alu instid0(VALU_DEP_1) | instskip(NEXT) | instid1(VALU_DEP_1)
	v_mul_f32_e32 v4, v42, v4
	v_and_b32_e32 v5, 0x7f800000, v4
	s_delay_alu instid0(VALU_DEP_1)
	v_cmpx_ne_u32_e32 0x7f800000, v5
	s_xor_b32 s22, exec_lo, s22
; %bb.3372:                             ;   in Loop: Header=BB12_3286 Depth=2
	v_bfe_u32 v5, v4, 16, 1
	s_delay_alu instid0(VALU_DEP_1)
	v_add3_u32 v50, v4, v5, 0x7fff
                                        ; implicit-def: $vgpr4
; %bb.3373:                             ;   in Loop: Header=BB12_3286 Depth=2
	s_and_not1_saveexec_b32 s22, s22
; %bb.3374:                             ;   in Loop: Header=BB12_3286 Depth=2
	v_and_b32_e32 v5, 0xffff, v4
	v_or_b32_e32 v6, 0x10000, v4
	s_delay_alu instid0(VALU_DEP_2) | instskip(NEXT) | instid1(VALU_DEP_2)
	v_cmp_eq_u32_e32 vcc_lo, 0, v5
	v_cndmask_b32_e32 v50, v6, v4, vcc_lo
; %bb.3375:                             ;   in Loop: Header=BB12_3286 Depth=2
	s_or_b32 exec_lo, exec_lo, s22
	v_lshlrev_b32_e32 v4, 16, v51
	s_mov_b32 s22, exec_lo
                                        ; implicit-def: $vgpr94
	s_delay_alu instid0(VALU_DEP_1) | instskip(NEXT) | instid1(VALU_DEP_1)
	v_mul_f32_e32 v4, v42, v4
	v_and_b32_e32 v5, 0x7f800000, v4
	s_delay_alu instid0(VALU_DEP_1)
	v_cmpx_ne_u32_e32 0x7f800000, v5
	s_xor_b32 s22, exec_lo, s22
; %bb.3376:                             ;   in Loop: Header=BB12_3286 Depth=2
	v_bfe_u32 v5, v4, 16, 1
	s_delay_alu instid0(VALU_DEP_1)
	v_add3_u32 v94, v4, v5, 0x7fff
                                        ; implicit-def: $vgpr4
; %bb.3377:                             ;   in Loop: Header=BB12_3286 Depth=2
	s_and_not1_saveexec_b32 s22, s22
; %bb.3378:                             ;   in Loop: Header=BB12_3286 Depth=2
	v_and_b32_e32 v5, 0xffff, v4
	v_or_b32_e32 v6, 0x10000, v4
	s_delay_alu instid0(VALU_DEP_2) | instskip(NEXT) | instid1(VALU_DEP_2)
	v_cmp_eq_u32_e32 vcc_lo, 0, v5
	v_cndmask_b32_e32 v94, v6, v4, vcc_lo
; %bb.3379:                             ;   in Loop: Header=BB12_3286 Depth=2
	s_or_b32 exec_lo, exec_lo, s22
	v_and_b32_e32 v4, 0xffff0000, v51
	s_mov_b32 s22, exec_lo
                                        ; implicit-def: $vgpr51
	s_delay_alu instid0(VALU_DEP_1) | instskip(NEXT) | instid1(VALU_DEP_1)
	v_mul_f32_e32 v4, v42, v4
	v_and_b32_e32 v5, 0x7f800000, v4
	s_delay_alu instid0(VALU_DEP_1)
	v_cmpx_ne_u32_e32 0x7f800000, v5
	s_xor_b32 s22, exec_lo, s22
; %bb.3380:                             ;   in Loop: Header=BB12_3286 Depth=2
	v_bfe_u32 v5, v4, 16, 1
	s_delay_alu instid0(VALU_DEP_1)
	v_add3_u32 v51, v4, v5, 0x7fff
                                        ; implicit-def: $vgpr4
; %bb.3381:                             ;   in Loop: Header=BB12_3286 Depth=2
	s_and_not1_saveexec_b32 s22, s22
; %bb.3382:                             ;   in Loop: Header=BB12_3286 Depth=2
	v_and_b32_e32 v5, 0xffff, v4
	v_or_b32_e32 v6, 0x10000, v4
	s_delay_alu instid0(VALU_DEP_2) | instskip(NEXT) | instid1(VALU_DEP_2)
	v_cmp_eq_u32_e32 vcc_lo, 0, v5
	v_cndmask_b32_e32 v51, v6, v4, vcc_lo
; %bb.3383:                             ;   in Loop: Header=BB12_3286 Depth=2
	s_or_b32 exec_lo, exec_lo, s22
	v_lshlrev_b32_e32 v4, 16, v26
	s_mov_b32 s22, exec_lo
                                        ; implicit-def: $vgpr95
	s_delay_alu instid0(VALU_DEP_1) | instskip(NEXT) | instid1(VALU_DEP_1)
	v_mul_f32_e32 v4, v42, v4
	v_and_b32_e32 v5, 0x7f800000, v4
	s_delay_alu instid0(VALU_DEP_1)
	v_cmpx_ne_u32_e32 0x7f800000, v5
	s_xor_b32 s22, exec_lo, s22
; %bb.3384:                             ;   in Loop: Header=BB12_3286 Depth=2
	v_bfe_u32 v5, v4, 16, 1
	s_delay_alu instid0(VALU_DEP_1)
	v_add3_u32 v95, v4, v5, 0x7fff
                                        ; implicit-def: $vgpr4
; %bb.3385:                             ;   in Loop: Header=BB12_3286 Depth=2
	s_and_not1_saveexec_b32 s22, s22
; %bb.3386:                             ;   in Loop: Header=BB12_3286 Depth=2
	v_and_b32_e32 v5, 0xffff, v4
	v_or_b32_e32 v6, 0x10000, v4
	s_delay_alu instid0(VALU_DEP_2) | instskip(NEXT) | instid1(VALU_DEP_2)
	v_cmp_eq_u32_e32 vcc_lo, 0, v5
	v_cndmask_b32_e32 v95, v6, v4, vcc_lo
; %bb.3387:                             ;   in Loop: Header=BB12_3286 Depth=2
	s_or_b32 exec_lo, exec_lo, s22
	v_and_b32_e32 v4, 0xffff0000, v26
	s_mov_b32 s22, exec_lo
                                        ; implicit-def: $vgpr26
	s_delay_alu instid0(VALU_DEP_1) | instskip(NEXT) | instid1(VALU_DEP_1)
	v_mul_f32_e32 v4, v42, v4
	v_and_b32_e32 v5, 0x7f800000, v4
	s_delay_alu instid0(VALU_DEP_1)
	v_cmpx_ne_u32_e32 0x7f800000, v5
	s_xor_b32 s22, exec_lo, s22
; %bb.3388:                             ;   in Loop: Header=BB12_3286 Depth=2
	v_bfe_u32 v5, v4, 16, 1
	s_delay_alu instid0(VALU_DEP_1)
	v_add3_u32 v26, v4, v5, 0x7fff
                                        ; implicit-def: $vgpr4
; %bb.3389:                             ;   in Loop: Header=BB12_3286 Depth=2
	s_and_not1_saveexec_b32 s22, s22
; %bb.3390:                             ;   in Loop: Header=BB12_3286 Depth=2
	v_and_b32_e32 v5, 0xffff, v4
	v_or_b32_e32 v6, 0x10000, v4
	s_delay_alu instid0(VALU_DEP_2) | instskip(NEXT) | instid1(VALU_DEP_2)
	v_cmp_eq_u32_e32 vcc_lo, 0, v5
	v_cndmask_b32_e32 v26, v6, v4, vcc_lo
; %bb.3391:                             ;   in Loop: Header=BB12_3286 Depth=2
	s_or_b32 exec_lo, exec_lo, s22
	v_lshlrev_b32_e32 v4, 16, v27
	s_mov_b32 s22, exec_lo
                                        ; implicit-def: $vgpr126
	s_delay_alu instid0(VALU_DEP_1) | instskip(NEXT) | instid1(VALU_DEP_1)
	v_mul_f32_e32 v4, v42, v4
	v_and_b32_e32 v5, 0x7f800000, v4
	s_delay_alu instid0(VALU_DEP_1)
	v_cmpx_ne_u32_e32 0x7f800000, v5
	s_xor_b32 s22, exec_lo, s22
; %bb.3392:                             ;   in Loop: Header=BB12_3286 Depth=2
	v_bfe_u32 v5, v4, 16, 1
	s_delay_alu instid0(VALU_DEP_1)
	v_add3_u32 v126, v4, v5, 0x7fff
                                        ; implicit-def: $vgpr4
; %bb.3393:                             ;   in Loop: Header=BB12_3286 Depth=2
	s_and_not1_saveexec_b32 s22, s22
; %bb.3394:                             ;   in Loop: Header=BB12_3286 Depth=2
	v_and_b32_e32 v5, 0xffff, v4
	v_or_b32_e32 v6, 0x10000, v4
	s_delay_alu instid0(VALU_DEP_2) | instskip(NEXT) | instid1(VALU_DEP_2)
	v_cmp_eq_u32_e32 vcc_lo, 0, v5
	v_cndmask_b32_e32 v126, v6, v4, vcc_lo
; %bb.3395:                             ;   in Loop: Header=BB12_3286 Depth=2
	s_or_b32 exec_lo, exec_lo, s22
	v_and_b32_e32 v4, 0xffff0000, v27
	s_mov_b32 s22, exec_lo
                                        ; implicit-def: $vgpr27
	s_delay_alu instid0(VALU_DEP_1) | instskip(NEXT) | instid1(VALU_DEP_1)
	v_mul_f32_e32 v4, v42, v4
	v_and_b32_e32 v5, 0x7f800000, v4
	s_delay_alu instid0(VALU_DEP_1)
	v_cmpx_ne_u32_e32 0x7f800000, v5
	s_xor_b32 s22, exec_lo, s22
; %bb.3396:                             ;   in Loop: Header=BB12_3286 Depth=2
	v_bfe_u32 v5, v4, 16, 1
	s_delay_alu instid0(VALU_DEP_1)
	v_add3_u32 v27, v4, v5, 0x7fff
                                        ; implicit-def: $vgpr4
; %bb.3397:                             ;   in Loop: Header=BB12_3286 Depth=2
	s_and_not1_saveexec_b32 s22, s22
; %bb.3398:                             ;   in Loop: Header=BB12_3286 Depth=2
	v_and_b32_e32 v5, 0xffff, v4
	v_or_b32_e32 v6, 0x10000, v4
	s_delay_alu instid0(VALU_DEP_2) | instskip(NEXT) | instid1(VALU_DEP_2)
	v_cmp_eq_u32_e32 vcc_lo, 0, v5
	v_cndmask_b32_e32 v27, v6, v4, vcc_lo
; %bb.3399:                             ;   in Loop: Header=BB12_3286 Depth=2
	s_or_b32 exec_lo, exec_lo, s22
	v_lshlrev_b32_e32 v4, 16, v28
	s_mov_b32 s22, exec_lo
                                        ; implicit-def: $vgpr62
	s_delay_alu instid0(VALU_DEP_1) | instskip(NEXT) | instid1(VALU_DEP_1)
	v_mul_f32_e32 v4, v42, v4
	v_and_b32_e32 v5, 0x7f800000, v4
	s_delay_alu instid0(VALU_DEP_1)
	v_cmpx_ne_u32_e32 0x7f800000, v5
	s_xor_b32 s22, exec_lo, s22
; %bb.3400:                             ;   in Loop: Header=BB12_3286 Depth=2
	v_bfe_u32 v5, v4, 16, 1
	s_delay_alu instid0(VALU_DEP_1)
	v_add3_u32 v62, v4, v5, 0x7fff
                                        ; implicit-def: $vgpr4
; %bb.3401:                             ;   in Loop: Header=BB12_3286 Depth=2
	s_and_not1_saveexec_b32 s22, s22
; %bb.3402:                             ;   in Loop: Header=BB12_3286 Depth=2
	v_and_b32_e32 v5, 0xffff, v4
	v_or_b32_e32 v6, 0x10000, v4
	s_delay_alu instid0(VALU_DEP_2) | instskip(NEXT) | instid1(VALU_DEP_2)
	v_cmp_eq_u32_e32 vcc_lo, 0, v5
	v_cndmask_b32_e32 v62, v6, v4, vcc_lo
; %bb.3403:                             ;   in Loop: Header=BB12_3286 Depth=2
	s_or_b32 exec_lo, exec_lo, s22
	v_and_b32_e32 v4, 0xffff0000, v28
	s_mov_b32 s22, exec_lo
                                        ; implicit-def: $vgpr28
	s_delay_alu instid0(VALU_DEP_1) | instskip(NEXT) | instid1(VALU_DEP_1)
	v_mul_f32_e32 v4, v42, v4
	v_and_b32_e32 v5, 0x7f800000, v4
	s_delay_alu instid0(VALU_DEP_1)
	v_cmpx_ne_u32_e32 0x7f800000, v5
	s_xor_b32 s22, exec_lo, s22
; %bb.3404:                             ;   in Loop: Header=BB12_3286 Depth=2
	v_bfe_u32 v5, v4, 16, 1
	s_delay_alu instid0(VALU_DEP_1)
	v_add3_u32 v28, v4, v5, 0x7fff
                                        ; implicit-def: $vgpr4
; %bb.3405:                             ;   in Loop: Header=BB12_3286 Depth=2
	s_and_not1_saveexec_b32 s22, s22
; %bb.3406:                             ;   in Loop: Header=BB12_3286 Depth=2
	v_and_b32_e32 v5, 0xffff, v4
	v_or_b32_e32 v6, 0x10000, v4
	s_delay_alu instid0(VALU_DEP_2) | instskip(NEXT) | instid1(VALU_DEP_2)
	v_cmp_eq_u32_e32 vcc_lo, 0, v5
	v_cndmask_b32_e32 v28, v6, v4, vcc_lo
; %bb.3407:                             ;   in Loop: Header=BB12_3286 Depth=2
	s_or_b32 exec_lo, exec_lo, s22
	v_lshlrev_b32_e32 v4, 16, v29
	s_mov_b32 s22, exec_lo
                                        ; implicit-def: $vgpr31
	s_delay_alu instid0(VALU_DEP_1) | instskip(NEXT) | instid1(VALU_DEP_1)
	v_mul_f32_e32 v4, v42, v4
	v_and_b32_e32 v5, 0x7f800000, v4
	s_delay_alu instid0(VALU_DEP_1)
	v_cmpx_ne_u32_e32 0x7f800000, v5
	s_xor_b32 s22, exec_lo, s22
; %bb.3408:                             ;   in Loop: Header=BB12_3286 Depth=2
	v_bfe_u32 v5, v4, 16, 1
	s_delay_alu instid0(VALU_DEP_1)
	v_add3_u32 v31, v4, v5, 0x7fff
                                        ; implicit-def: $vgpr4
; %bb.3409:                             ;   in Loop: Header=BB12_3286 Depth=2
	s_and_not1_saveexec_b32 s22, s22
; %bb.3410:                             ;   in Loop: Header=BB12_3286 Depth=2
	v_and_b32_e32 v5, 0xffff, v4
	v_or_b32_e32 v6, 0x10000, v4
	s_delay_alu instid0(VALU_DEP_2) | instskip(NEXT) | instid1(VALU_DEP_2)
	v_cmp_eq_u32_e32 vcc_lo, 0, v5
	v_cndmask_b32_e32 v31, v6, v4, vcc_lo
; %bb.3411:                             ;   in Loop: Header=BB12_3286 Depth=2
	s_or_b32 exec_lo, exec_lo, s22
	v_and_b32_e32 v4, 0xffff0000, v29
	s_mov_b32 s22, exec_lo
                                        ; implicit-def: $vgpr29
	s_delay_alu instid0(VALU_DEP_1) | instskip(NEXT) | instid1(VALU_DEP_1)
	v_mul_f32_e32 v4, v42, v4
	v_and_b32_e32 v5, 0x7f800000, v4
	s_delay_alu instid0(VALU_DEP_1)
	v_cmpx_ne_u32_e32 0x7f800000, v5
	s_xor_b32 s22, exec_lo, s22
; %bb.3412:                             ;   in Loop: Header=BB12_3286 Depth=2
	v_bfe_u32 v5, v4, 16, 1
	s_delay_alu instid0(VALU_DEP_1)
	v_add3_u32 v29, v4, v5, 0x7fff
                                        ; implicit-def: $vgpr4
; %bb.3413:                             ;   in Loop: Header=BB12_3286 Depth=2
	s_and_not1_saveexec_b32 s22, s22
; %bb.3414:                             ;   in Loop: Header=BB12_3286 Depth=2
	v_and_b32_e32 v5, 0xffff, v4
	v_or_b32_e32 v6, 0x10000, v4
	s_delay_alu instid0(VALU_DEP_2) | instskip(NEXT) | instid1(VALU_DEP_2)
	v_cmp_eq_u32_e32 vcc_lo, 0, v5
	v_cndmask_b32_e32 v29, v6, v4, vcc_lo
; %bb.3415:                             ;   in Loop: Header=BB12_3286 Depth=2
	s_or_b32 exec_lo, exec_lo, s22
	v_lshlrev_b32_e32 v4, 16, v22
	s_mov_b32 s22, exec_lo
                                        ; implicit-def: $vgpr76
	s_delay_alu instid0(VALU_DEP_1) | instskip(NEXT) | instid1(VALU_DEP_1)
	v_mul_f32_e32 v4, v42, v4
	v_and_b32_e32 v5, 0x7f800000, v4
	s_delay_alu instid0(VALU_DEP_1)
	v_cmpx_ne_u32_e32 0x7f800000, v5
	s_xor_b32 s22, exec_lo, s22
; %bb.3416:                             ;   in Loop: Header=BB12_3286 Depth=2
	v_bfe_u32 v5, v4, 16, 1
	s_delay_alu instid0(VALU_DEP_1)
	v_add3_u32 v76, v4, v5, 0x7fff
                                        ; implicit-def: $vgpr4
; %bb.3417:                             ;   in Loop: Header=BB12_3286 Depth=2
	s_and_not1_saveexec_b32 s22, s22
; %bb.3418:                             ;   in Loop: Header=BB12_3286 Depth=2
	v_and_b32_e32 v5, 0xffff, v4
	v_or_b32_e32 v6, 0x10000, v4
	s_delay_alu instid0(VALU_DEP_2) | instskip(NEXT) | instid1(VALU_DEP_2)
	v_cmp_eq_u32_e32 vcc_lo, 0, v5
	v_cndmask_b32_e32 v76, v6, v4, vcc_lo
; %bb.3419:                             ;   in Loop: Header=BB12_3286 Depth=2
	s_or_b32 exec_lo, exec_lo, s22
	v_and_b32_e32 v4, 0xffff0000, v22
	s_mov_b32 s22, exec_lo
                                        ; implicit-def: $vgpr22
	s_delay_alu instid0(VALU_DEP_1) | instskip(NEXT) | instid1(VALU_DEP_1)
	v_mul_f32_e32 v4, v42, v4
	v_and_b32_e32 v5, 0x7f800000, v4
	s_delay_alu instid0(VALU_DEP_1)
	v_cmpx_ne_u32_e32 0x7f800000, v5
	s_xor_b32 s22, exec_lo, s22
; %bb.3420:                             ;   in Loop: Header=BB12_3286 Depth=2
	v_bfe_u32 v5, v4, 16, 1
	s_delay_alu instid0(VALU_DEP_1)
	v_add3_u32 v22, v4, v5, 0x7fff
                                        ; implicit-def: $vgpr4
; %bb.3421:                             ;   in Loop: Header=BB12_3286 Depth=2
	s_and_not1_saveexec_b32 s22, s22
; %bb.3422:                             ;   in Loop: Header=BB12_3286 Depth=2
	v_and_b32_e32 v5, 0xffff, v4
	v_or_b32_e32 v6, 0x10000, v4
	s_delay_alu instid0(VALU_DEP_2) | instskip(NEXT) | instid1(VALU_DEP_2)
	v_cmp_eq_u32_e32 vcc_lo, 0, v5
	v_cndmask_b32_e32 v22, v6, v4, vcc_lo
; %bb.3423:                             ;   in Loop: Header=BB12_3286 Depth=2
	s_or_b32 exec_lo, exec_lo, s22
	v_lshlrev_b32_e32 v4, 16, v23
	s_mov_b32 s22, exec_lo
                                        ; implicit-def: $vgpr77
	s_delay_alu instid0(VALU_DEP_1) | instskip(NEXT) | instid1(VALU_DEP_1)
	v_mul_f32_e32 v4, v42, v4
	v_and_b32_e32 v5, 0x7f800000, v4
	s_delay_alu instid0(VALU_DEP_1)
	v_cmpx_ne_u32_e32 0x7f800000, v5
	s_xor_b32 s22, exec_lo, s22
; %bb.3424:                             ;   in Loop: Header=BB12_3286 Depth=2
	v_bfe_u32 v5, v4, 16, 1
	s_delay_alu instid0(VALU_DEP_1)
	v_add3_u32 v77, v4, v5, 0x7fff
                                        ; implicit-def: $vgpr4
; %bb.3425:                             ;   in Loop: Header=BB12_3286 Depth=2
	s_and_not1_saveexec_b32 s22, s22
; %bb.3426:                             ;   in Loop: Header=BB12_3286 Depth=2
	v_and_b32_e32 v5, 0xffff, v4
	v_or_b32_e32 v6, 0x10000, v4
	s_delay_alu instid0(VALU_DEP_2) | instskip(NEXT) | instid1(VALU_DEP_2)
	v_cmp_eq_u32_e32 vcc_lo, 0, v5
	v_cndmask_b32_e32 v77, v6, v4, vcc_lo
; %bb.3427:                             ;   in Loop: Header=BB12_3286 Depth=2
	s_or_b32 exec_lo, exec_lo, s22
	v_and_b32_e32 v4, 0xffff0000, v23
	s_mov_b32 s22, exec_lo
                                        ; implicit-def: $vgpr23
	s_delay_alu instid0(VALU_DEP_1) | instskip(NEXT) | instid1(VALU_DEP_1)
	v_mul_f32_e32 v4, v42, v4
	v_and_b32_e32 v5, 0x7f800000, v4
	s_delay_alu instid0(VALU_DEP_1)
	v_cmpx_ne_u32_e32 0x7f800000, v5
	s_xor_b32 s22, exec_lo, s22
; %bb.3428:                             ;   in Loop: Header=BB12_3286 Depth=2
	v_bfe_u32 v5, v4, 16, 1
	s_delay_alu instid0(VALU_DEP_1)
	v_add3_u32 v23, v4, v5, 0x7fff
                                        ; implicit-def: $vgpr4
; %bb.3429:                             ;   in Loop: Header=BB12_3286 Depth=2
	s_and_not1_saveexec_b32 s22, s22
; %bb.3430:                             ;   in Loop: Header=BB12_3286 Depth=2
	v_and_b32_e32 v5, 0xffff, v4
	v_or_b32_e32 v6, 0x10000, v4
	s_delay_alu instid0(VALU_DEP_2) | instskip(NEXT) | instid1(VALU_DEP_2)
	v_cmp_eq_u32_e32 vcc_lo, 0, v5
	v_cndmask_b32_e32 v23, v6, v4, vcc_lo
; %bb.3431:                             ;   in Loop: Header=BB12_3286 Depth=2
	s_or_b32 exec_lo, exec_lo, s22
	v_lshlrev_b32_e32 v4, 16, v24
	s_mov_b32 s22, exec_lo
                                        ; implicit-def: $vgpr111
	s_delay_alu instid0(VALU_DEP_1) | instskip(NEXT) | instid1(VALU_DEP_1)
	v_mul_f32_e32 v4, v42, v4
	v_and_b32_e32 v5, 0x7f800000, v4
	s_delay_alu instid0(VALU_DEP_1)
	v_cmpx_ne_u32_e32 0x7f800000, v5
	s_xor_b32 s22, exec_lo, s22
; %bb.3432:                             ;   in Loop: Header=BB12_3286 Depth=2
	v_bfe_u32 v5, v4, 16, 1
	s_delay_alu instid0(VALU_DEP_1)
	v_add3_u32 v111, v4, v5, 0x7fff
                                        ; implicit-def: $vgpr4
; %bb.3433:                             ;   in Loop: Header=BB12_3286 Depth=2
	s_and_not1_saveexec_b32 s22, s22
; %bb.3434:                             ;   in Loop: Header=BB12_3286 Depth=2
	v_and_b32_e32 v5, 0xffff, v4
	v_or_b32_e32 v6, 0x10000, v4
	s_delay_alu instid0(VALU_DEP_2) | instskip(NEXT) | instid1(VALU_DEP_2)
	v_cmp_eq_u32_e32 vcc_lo, 0, v5
	v_cndmask_b32_e32 v111, v6, v4, vcc_lo
; %bb.3435:                             ;   in Loop: Header=BB12_3286 Depth=2
	s_or_b32 exec_lo, exec_lo, s22
	v_and_b32_e32 v4, 0xffff0000, v24
	s_mov_b32 s22, exec_lo
                                        ; implicit-def: $vgpr24
	s_delay_alu instid0(VALU_DEP_1) | instskip(NEXT) | instid1(VALU_DEP_1)
	v_mul_f32_e32 v4, v42, v4
	v_and_b32_e32 v5, 0x7f800000, v4
	s_delay_alu instid0(VALU_DEP_1)
	v_cmpx_ne_u32_e32 0x7f800000, v5
	s_xor_b32 s22, exec_lo, s22
; %bb.3436:                             ;   in Loop: Header=BB12_3286 Depth=2
	v_bfe_u32 v5, v4, 16, 1
	s_delay_alu instid0(VALU_DEP_1)
	v_add3_u32 v24, v4, v5, 0x7fff
                                        ; implicit-def: $vgpr4
; %bb.3437:                             ;   in Loop: Header=BB12_3286 Depth=2
	s_and_not1_saveexec_b32 s22, s22
; %bb.3438:                             ;   in Loop: Header=BB12_3286 Depth=2
	v_and_b32_e32 v5, 0xffff, v4
	v_or_b32_e32 v6, 0x10000, v4
	s_delay_alu instid0(VALU_DEP_2) | instskip(NEXT) | instid1(VALU_DEP_2)
	v_cmp_eq_u32_e32 vcc_lo, 0, v5
	v_cndmask_b32_e32 v24, v6, v4, vcc_lo
; %bb.3439:                             ;   in Loop: Header=BB12_3286 Depth=2
	s_or_b32 exec_lo, exec_lo, s22
	v_lshlrev_b32_e32 v4, 16, v25
	s_mov_b32 s22, exec_lo
                                        ; implicit-def: $vgpr120
	s_delay_alu instid0(VALU_DEP_1) | instskip(NEXT) | instid1(VALU_DEP_1)
	v_mul_f32_e32 v4, v42, v4
	v_and_b32_e32 v5, 0x7f800000, v4
	s_delay_alu instid0(VALU_DEP_1)
	v_cmpx_ne_u32_e32 0x7f800000, v5
	s_xor_b32 s22, exec_lo, s22
; %bb.3440:                             ;   in Loop: Header=BB12_3286 Depth=2
	v_bfe_u32 v5, v4, 16, 1
	s_delay_alu instid0(VALU_DEP_1)
	v_add3_u32 v120, v4, v5, 0x7fff
                                        ; implicit-def: $vgpr4
; %bb.3441:                             ;   in Loop: Header=BB12_3286 Depth=2
	s_and_not1_saveexec_b32 s22, s22
; %bb.3442:                             ;   in Loop: Header=BB12_3286 Depth=2
	v_and_b32_e32 v5, 0xffff, v4
	v_or_b32_e32 v6, 0x10000, v4
	s_delay_alu instid0(VALU_DEP_2) | instskip(NEXT) | instid1(VALU_DEP_2)
	v_cmp_eq_u32_e32 vcc_lo, 0, v5
	v_cndmask_b32_e32 v120, v6, v4, vcc_lo
; %bb.3443:                             ;   in Loop: Header=BB12_3286 Depth=2
	s_or_b32 exec_lo, exec_lo, s22
	v_and_b32_e32 v4, 0xffff0000, v25
	s_mov_b32 s22, exec_lo
                                        ; implicit-def: $vgpr25
	s_delay_alu instid0(VALU_DEP_1) | instskip(NEXT) | instid1(VALU_DEP_1)
	v_mul_f32_e32 v4, v42, v4
	v_and_b32_e32 v5, 0x7f800000, v4
	s_delay_alu instid0(VALU_DEP_1)
	v_cmpx_ne_u32_e32 0x7f800000, v5
	s_xor_b32 s22, exec_lo, s22
; %bb.3444:                             ;   in Loop: Header=BB12_3286 Depth=2
	v_bfe_u32 v5, v4, 16, 1
	s_delay_alu instid0(VALU_DEP_1)
	v_add3_u32 v25, v4, v5, 0x7fff
                                        ; implicit-def: $vgpr4
; %bb.3445:                             ;   in Loop: Header=BB12_3286 Depth=2
	s_and_not1_saveexec_b32 s22, s22
; %bb.3446:                             ;   in Loop: Header=BB12_3286 Depth=2
	v_and_b32_e32 v5, 0xffff, v4
	v_or_b32_e32 v6, 0x10000, v4
	s_delay_alu instid0(VALU_DEP_2) | instskip(NEXT) | instid1(VALU_DEP_2)
	v_cmp_eq_u32_e32 vcc_lo, 0, v5
	v_cndmask_b32_e32 v25, v6, v4, vcc_lo
; %bb.3447:                             ;   in Loop: Header=BB12_3286 Depth=2
	s_or_b32 exec_lo, exec_lo, s22
	v_lshlrev_b32_e32 v4, 16, v18
	s_mov_b32 s22, exec_lo
                                        ; implicit-def: $vgpr121
	s_delay_alu instid0(VALU_DEP_1) | instskip(NEXT) | instid1(VALU_DEP_1)
	v_mul_f32_e32 v4, v42, v4
	v_and_b32_e32 v5, 0x7f800000, v4
	s_delay_alu instid0(VALU_DEP_1)
	v_cmpx_ne_u32_e32 0x7f800000, v5
	s_xor_b32 s22, exec_lo, s22
; %bb.3448:                             ;   in Loop: Header=BB12_3286 Depth=2
	v_bfe_u32 v5, v4, 16, 1
	s_delay_alu instid0(VALU_DEP_1)
	v_add3_u32 v121, v4, v5, 0x7fff
                                        ; implicit-def: $vgpr4
; %bb.3449:                             ;   in Loop: Header=BB12_3286 Depth=2
	s_and_not1_saveexec_b32 s22, s22
; %bb.3450:                             ;   in Loop: Header=BB12_3286 Depth=2
	v_and_b32_e32 v5, 0xffff, v4
	v_or_b32_e32 v6, 0x10000, v4
	s_delay_alu instid0(VALU_DEP_2) | instskip(NEXT) | instid1(VALU_DEP_2)
	v_cmp_eq_u32_e32 vcc_lo, 0, v5
	v_cndmask_b32_e32 v121, v6, v4, vcc_lo
; %bb.3451:                             ;   in Loop: Header=BB12_3286 Depth=2
	s_or_b32 exec_lo, exec_lo, s22
	v_and_b32_e32 v4, 0xffff0000, v18
	s_mov_b32 s22, exec_lo
                                        ; implicit-def: $vgpr18
	s_delay_alu instid0(VALU_DEP_1) | instskip(NEXT) | instid1(VALU_DEP_1)
	v_mul_f32_e32 v4, v42, v4
	v_and_b32_e32 v5, 0x7f800000, v4
	s_delay_alu instid0(VALU_DEP_1)
	v_cmpx_ne_u32_e32 0x7f800000, v5
	s_xor_b32 s22, exec_lo, s22
; %bb.3452:                             ;   in Loop: Header=BB12_3286 Depth=2
	v_bfe_u32 v5, v4, 16, 1
	s_delay_alu instid0(VALU_DEP_1)
	v_add3_u32 v18, v4, v5, 0x7fff
                                        ; implicit-def: $vgpr4
; %bb.3453:                             ;   in Loop: Header=BB12_3286 Depth=2
	s_and_not1_saveexec_b32 s22, s22
; %bb.3454:                             ;   in Loop: Header=BB12_3286 Depth=2
	v_and_b32_e32 v5, 0xffff, v4
	v_or_b32_e32 v6, 0x10000, v4
	s_delay_alu instid0(VALU_DEP_2) | instskip(NEXT) | instid1(VALU_DEP_2)
	v_cmp_eq_u32_e32 vcc_lo, 0, v5
	v_cndmask_b32_e32 v18, v6, v4, vcc_lo
; %bb.3455:                             ;   in Loop: Header=BB12_3286 Depth=2
	s_or_b32 exec_lo, exec_lo, s22
	v_lshlrev_b32_e32 v4, 16, v19
	s_mov_b32 s22, exec_lo
                                        ; implicit-def: $vgpr58
	s_delay_alu instid0(VALU_DEP_1) | instskip(NEXT) | instid1(VALU_DEP_1)
	v_mul_f32_e32 v4, v42, v4
	v_and_b32_e32 v5, 0x7f800000, v4
	s_delay_alu instid0(VALU_DEP_1)
	v_cmpx_ne_u32_e32 0x7f800000, v5
	s_xor_b32 s22, exec_lo, s22
; %bb.3456:                             ;   in Loop: Header=BB12_3286 Depth=2
	v_bfe_u32 v5, v4, 16, 1
	s_delay_alu instid0(VALU_DEP_1)
	v_add3_u32 v58, v4, v5, 0x7fff
                                        ; implicit-def: $vgpr4
; %bb.3457:                             ;   in Loop: Header=BB12_3286 Depth=2
	s_and_not1_saveexec_b32 s22, s22
; %bb.3458:                             ;   in Loop: Header=BB12_3286 Depth=2
	v_and_b32_e32 v5, 0xffff, v4
	v_or_b32_e32 v6, 0x10000, v4
	s_delay_alu instid0(VALU_DEP_2) | instskip(NEXT) | instid1(VALU_DEP_2)
	v_cmp_eq_u32_e32 vcc_lo, 0, v5
	v_cndmask_b32_e32 v58, v6, v4, vcc_lo
; %bb.3459:                             ;   in Loop: Header=BB12_3286 Depth=2
	s_or_b32 exec_lo, exec_lo, s22
	v_and_b32_e32 v4, 0xffff0000, v19
	s_mov_b32 s22, exec_lo
                                        ; implicit-def: $vgpr19
	s_delay_alu instid0(VALU_DEP_1) | instskip(NEXT) | instid1(VALU_DEP_1)
	v_mul_f32_e32 v4, v42, v4
	v_and_b32_e32 v5, 0x7f800000, v4
	s_delay_alu instid0(VALU_DEP_1)
	v_cmpx_ne_u32_e32 0x7f800000, v5
	s_xor_b32 s22, exec_lo, s22
; %bb.3460:                             ;   in Loop: Header=BB12_3286 Depth=2
	v_bfe_u32 v5, v4, 16, 1
	s_delay_alu instid0(VALU_DEP_1)
	v_add3_u32 v19, v4, v5, 0x7fff
                                        ; implicit-def: $vgpr4
; %bb.3461:                             ;   in Loop: Header=BB12_3286 Depth=2
	s_and_not1_saveexec_b32 s22, s22
; %bb.3462:                             ;   in Loop: Header=BB12_3286 Depth=2
	v_and_b32_e32 v5, 0xffff, v4
	v_or_b32_e32 v6, 0x10000, v4
	s_delay_alu instid0(VALU_DEP_2) | instskip(NEXT) | instid1(VALU_DEP_2)
	v_cmp_eq_u32_e32 vcc_lo, 0, v5
	v_cndmask_b32_e32 v19, v6, v4, vcc_lo
; %bb.3463:                             ;   in Loop: Header=BB12_3286 Depth=2
	s_or_b32 exec_lo, exec_lo, s22
	v_lshlrev_b32_e32 v4, 16, v20
	s_mov_b32 s22, exec_lo
                                        ; implicit-def: $vgpr59
	s_delay_alu instid0(VALU_DEP_1) | instskip(NEXT) | instid1(VALU_DEP_1)
	v_mul_f32_e32 v4, v42, v4
	v_and_b32_e32 v5, 0x7f800000, v4
	s_delay_alu instid0(VALU_DEP_1)
	v_cmpx_ne_u32_e32 0x7f800000, v5
	s_xor_b32 s22, exec_lo, s22
; %bb.3464:                             ;   in Loop: Header=BB12_3286 Depth=2
	v_bfe_u32 v5, v4, 16, 1
	s_delay_alu instid0(VALU_DEP_1)
	v_add3_u32 v59, v4, v5, 0x7fff
                                        ; implicit-def: $vgpr4
; %bb.3465:                             ;   in Loop: Header=BB12_3286 Depth=2
	s_and_not1_saveexec_b32 s22, s22
; %bb.3466:                             ;   in Loop: Header=BB12_3286 Depth=2
	v_and_b32_e32 v5, 0xffff, v4
	v_or_b32_e32 v6, 0x10000, v4
	s_delay_alu instid0(VALU_DEP_2) | instskip(NEXT) | instid1(VALU_DEP_2)
	v_cmp_eq_u32_e32 vcc_lo, 0, v5
	v_cndmask_b32_e32 v59, v6, v4, vcc_lo
; %bb.3467:                             ;   in Loop: Header=BB12_3286 Depth=2
	s_or_b32 exec_lo, exec_lo, s22
	v_and_b32_e32 v4, 0xffff0000, v20
	s_mov_b32 s22, exec_lo
                                        ; implicit-def: $vgpr20
	s_delay_alu instid0(VALU_DEP_1) | instskip(NEXT) | instid1(VALU_DEP_1)
	v_mul_f32_e32 v4, v42, v4
	v_and_b32_e32 v5, 0x7f800000, v4
	s_delay_alu instid0(VALU_DEP_1)
	v_cmpx_ne_u32_e32 0x7f800000, v5
	s_xor_b32 s22, exec_lo, s22
; %bb.3468:                             ;   in Loop: Header=BB12_3286 Depth=2
	v_bfe_u32 v5, v4, 16, 1
	s_delay_alu instid0(VALU_DEP_1)
	v_add3_u32 v20, v4, v5, 0x7fff
                                        ; implicit-def: $vgpr4
; %bb.3469:                             ;   in Loop: Header=BB12_3286 Depth=2
	s_and_not1_saveexec_b32 s22, s22
; %bb.3470:                             ;   in Loop: Header=BB12_3286 Depth=2
	v_and_b32_e32 v5, 0xffff, v4
	v_or_b32_e32 v6, 0x10000, v4
	s_delay_alu instid0(VALU_DEP_2) | instskip(NEXT) | instid1(VALU_DEP_2)
	v_cmp_eq_u32_e32 vcc_lo, 0, v5
	v_cndmask_b32_e32 v20, v6, v4, vcc_lo
; %bb.3471:                             ;   in Loop: Header=BB12_3286 Depth=2
	s_or_b32 exec_lo, exec_lo, s22
	v_lshlrev_b32_e32 v4, 16, v21
	s_delay_alu instid0(VALU_DEP_1) | instskip(NEXT) | instid1(VALU_DEP_1)
	v_mul_f32_e32 v5, v42, v4
	v_and_b32_e32 v4, 0x7f800000, v5
	s_delay_alu instid0(VALU_DEP_1) | instskip(SKIP_1) | instid1(SALU_CYCLE_1)
	v_cmp_ne_u32_e32 vcc_lo, 0x7f800000, v4
                                        ; implicit-def: $vgpr4
	s_and_saveexec_b32 s22, vcc_lo
	s_xor_b32 s22, exec_lo, s22
; %bb.3472:                             ;   in Loop: Header=BB12_3286 Depth=2
	v_bfe_u32 v4, v5, 16, 1
	s_delay_alu instid0(VALU_DEP_1)
	v_add3_u32 v4, v5, v4, 0x7fff
                                        ; implicit-def: $vgpr5
; %bb.3473:                             ;   in Loop: Header=BB12_3286 Depth=2
	s_and_not1_saveexec_b32 s22, s22
; %bb.3474:                             ;   in Loop: Header=BB12_3286 Depth=2
	v_and_b32_e32 v4, 0xffff, v5
	v_or_b32_e32 v6, 0x10000, v5
	s_delay_alu instid0(VALU_DEP_2) | instskip(NEXT) | instid1(VALU_DEP_2)
	v_cmp_eq_u32_e32 vcc_lo, 0, v4
	v_cndmask_b32_e32 v4, v6, v5, vcc_lo
; %bb.3475:                             ;   in Loop: Header=BB12_3286 Depth=2
	s_or_b32 exec_lo, exec_lo, s22
	v_and_b32_e32 v5, 0xffff0000, v21
	s_delay_alu instid0(VALU_DEP_1) | instskip(NEXT) | instid1(VALU_DEP_1)
	v_mul_f32_e32 v6, v42, v5
	v_and_b32_e32 v5, 0x7f800000, v6
	s_delay_alu instid0(VALU_DEP_1) | instskip(SKIP_1) | instid1(SALU_CYCLE_1)
	v_cmp_ne_u32_e32 vcc_lo, 0x7f800000, v5
                                        ; implicit-def: $vgpr5
	s_and_saveexec_b32 s22, vcc_lo
	s_xor_b32 s22, exec_lo, s22
; %bb.3476:                             ;   in Loop: Header=BB12_3286 Depth=2
	v_bfe_u32 v5, v6, 16, 1
	s_delay_alu instid0(VALU_DEP_1)
	v_add3_u32 v5, v6, v5, 0x7fff
                                        ; implicit-def: $vgpr6
; %bb.3477:                             ;   in Loop: Header=BB12_3286 Depth=2
	s_and_not1_saveexec_b32 s22, s22
; %bb.3478:                             ;   in Loop: Header=BB12_3286 Depth=2
	v_and_b32_e32 v5, 0xffff, v6
	v_or_b32_e32 v7, 0x10000, v6
	s_delay_alu instid0(VALU_DEP_2) | instskip(NEXT) | instid1(VALU_DEP_2)
	v_cmp_eq_u32_e32 vcc_lo, 0, v5
	v_cndmask_b32_e32 v5, v7, v6, vcc_lo
; %bb.3479:                             ;   in Loop: Header=BB12_3286 Depth=2
	s_or_b32 exec_lo, exec_lo, s22
	v_lshlrev_b32_e32 v6, 16, v14
	s_mov_b32 s22, exec_lo
                                        ; implicit-def: $vgpr21
	s_delay_alu instid0(VALU_DEP_1) | instskip(NEXT) | instid1(VALU_DEP_1)
	v_mul_f32_e32 v6, v42, v6
	v_and_b32_e32 v7, 0x7f800000, v6
	s_delay_alu instid0(VALU_DEP_1)
	v_cmpx_ne_u32_e32 0x7f800000, v7
	s_xor_b32 s22, exec_lo, s22
; %bb.3480:                             ;   in Loop: Header=BB12_3286 Depth=2
	v_bfe_u32 v7, v6, 16, 1
	s_delay_alu instid0(VALU_DEP_1)
	v_add3_u32 v21, v6, v7, 0x7fff
                                        ; implicit-def: $vgpr6
; %bb.3481:                             ;   in Loop: Header=BB12_3286 Depth=2
	s_and_not1_saveexec_b32 s22, s22
; %bb.3482:                             ;   in Loop: Header=BB12_3286 Depth=2
	v_and_b32_e32 v7, 0xffff, v6
	v_or_b32_e32 v8, 0x10000, v6
	s_delay_alu instid0(VALU_DEP_2) | instskip(NEXT) | instid1(VALU_DEP_2)
	v_cmp_eq_u32_e32 vcc_lo, 0, v7
	v_cndmask_b32_e32 v21, v8, v6, vcc_lo
; %bb.3483:                             ;   in Loop: Header=BB12_3286 Depth=2
	s_or_b32 exec_lo, exec_lo, s22
	v_and_b32_e32 v6, 0xffff0000, v14
	s_mov_b32 s22, exec_lo
                                        ; implicit-def: $vgpr14
	s_delay_alu instid0(VALU_DEP_1) | instskip(NEXT) | instid1(VALU_DEP_1)
	v_mul_f32_e32 v6, v42, v6
	v_and_b32_e32 v7, 0x7f800000, v6
	s_delay_alu instid0(VALU_DEP_1)
	v_cmpx_ne_u32_e32 0x7f800000, v7
	s_xor_b32 s22, exec_lo, s22
; %bb.3484:                             ;   in Loop: Header=BB12_3286 Depth=2
	v_bfe_u32 v7, v6, 16, 1
	s_delay_alu instid0(VALU_DEP_1)
	v_add3_u32 v14, v6, v7, 0x7fff
                                        ; implicit-def: $vgpr6
; %bb.3485:                             ;   in Loop: Header=BB12_3286 Depth=2
	s_and_not1_saveexec_b32 s22, s22
; %bb.3486:                             ;   in Loop: Header=BB12_3286 Depth=2
	v_and_b32_e32 v7, 0xffff, v6
	v_or_b32_e32 v8, 0x10000, v6
	s_delay_alu instid0(VALU_DEP_2) | instskip(NEXT) | instid1(VALU_DEP_2)
	v_cmp_eq_u32_e32 vcc_lo, 0, v7
	v_cndmask_b32_e32 v14, v8, v6, vcc_lo
; %bb.3487:                             ;   in Loop: Header=BB12_3286 Depth=2
	s_or_b32 exec_lo, exec_lo, s22
	v_lshlrev_b32_e32 v6, 16, v15
	s_mov_b32 s22, exec_lo
                                        ; implicit-def: $vgpr106
	s_delay_alu instid0(VALU_DEP_1) | instskip(NEXT) | instid1(VALU_DEP_1)
	v_mul_f32_e32 v6, v42, v6
	v_and_b32_e32 v7, 0x7f800000, v6
	s_delay_alu instid0(VALU_DEP_1)
	v_cmpx_ne_u32_e32 0x7f800000, v7
	s_xor_b32 s22, exec_lo, s22
; %bb.3488:                             ;   in Loop: Header=BB12_3286 Depth=2
	v_bfe_u32 v7, v6, 16, 1
	s_delay_alu instid0(VALU_DEP_1)
	v_add3_u32 v106, v6, v7, 0x7fff
                                        ; implicit-def: $vgpr6
; %bb.3489:                             ;   in Loop: Header=BB12_3286 Depth=2
	s_and_not1_saveexec_b32 s22, s22
; %bb.3490:                             ;   in Loop: Header=BB12_3286 Depth=2
	v_and_b32_e32 v7, 0xffff, v6
	v_or_b32_e32 v8, 0x10000, v6
	s_delay_alu instid0(VALU_DEP_2) | instskip(NEXT) | instid1(VALU_DEP_2)
	v_cmp_eq_u32_e32 vcc_lo, 0, v7
	v_cndmask_b32_e32 v106, v8, v6, vcc_lo
; %bb.3491:                             ;   in Loop: Header=BB12_3286 Depth=2
	s_or_b32 exec_lo, exec_lo, s22
	v_and_b32_e32 v6, 0xffff0000, v15
	s_mov_b32 s22, exec_lo
                                        ; implicit-def: $vgpr15
	s_delay_alu instid0(VALU_DEP_1) | instskip(NEXT) | instid1(VALU_DEP_1)
	v_mul_f32_e32 v6, v42, v6
	v_and_b32_e32 v7, 0x7f800000, v6
	s_delay_alu instid0(VALU_DEP_1)
	v_cmpx_ne_u32_e32 0x7f800000, v7
	s_xor_b32 s22, exec_lo, s22
; %bb.3492:                             ;   in Loop: Header=BB12_3286 Depth=2
	v_bfe_u32 v7, v6, 16, 1
	s_delay_alu instid0(VALU_DEP_1)
	v_add3_u32 v15, v6, v7, 0x7fff
                                        ; implicit-def: $vgpr6
; %bb.3493:                             ;   in Loop: Header=BB12_3286 Depth=2
	s_and_not1_saveexec_b32 s22, s22
; %bb.3494:                             ;   in Loop: Header=BB12_3286 Depth=2
	v_and_b32_e32 v7, 0xffff, v6
	v_or_b32_e32 v8, 0x10000, v6
	s_delay_alu instid0(VALU_DEP_2) | instskip(NEXT) | instid1(VALU_DEP_2)
	v_cmp_eq_u32_e32 vcc_lo, 0, v7
	v_cndmask_b32_e32 v15, v8, v6, vcc_lo
; %bb.3495:                             ;   in Loop: Header=BB12_3286 Depth=2
	s_or_b32 exec_lo, exec_lo, s22
	v_lshlrev_b32_e32 v6, 16, v16
	s_mov_b32 s22, exec_lo
                                        ; implicit-def: $vgpr107
	s_delay_alu instid0(VALU_DEP_1) | instskip(NEXT) | instid1(VALU_DEP_1)
	v_mul_f32_e32 v6, v42, v6
	v_and_b32_e32 v7, 0x7f800000, v6
	s_delay_alu instid0(VALU_DEP_1)
	v_cmpx_ne_u32_e32 0x7f800000, v7
	s_xor_b32 s22, exec_lo, s22
; %bb.3496:                             ;   in Loop: Header=BB12_3286 Depth=2
	v_bfe_u32 v7, v6, 16, 1
	s_delay_alu instid0(VALU_DEP_1)
	v_add3_u32 v107, v6, v7, 0x7fff
                                        ; implicit-def: $vgpr6
; %bb.3497:                             ;   in Loop: Header=BB12_3286 Depth=2
	s_and_not1_saveexec_b32 s22, s22
; %bb.3498:                             ;   in Loop: Header=BB12_3286 Depth=2
	v_and_b32_e32 v7, 0xffff, v6
	v_or_b32_e32 v8, 0x10000, v6
	s_delay_alu instid0(VALU_DEP_2) | instskip(NEXT) | instid1(VALU_DEP_2)
	v_cmp_eq_u32_e32 vcc_lo, 0, v7
	v_cndmask_b32_e32 v107, v8, v6, vcc_lo
; %bb.3499:                             ;   in Loop: Header=BB12_3286 Depth=2
	s_or_b32 exec_lo, exec_lo, s22
	v_and_b32_e32 v6, 0xffff0000, v16
	s_mov_b32 s22, exec_lo
                                        ; implicit-def: $vgpr16
	s_delay_alu instid0(VALU_DEP_1) | instskip(NEXT) | instid1(VALU_DEP_1)
	v_mul_f32_e32 v6, v42, v6
	v_and_b32_e32 v7, 0x7f800000, v6
	s_delay_alu instid0(VALU_DEP_1)
	v_cmpx_ne_u32_e32 0x7f800000, v7
	s_xor_b32 s22, exec_lo, s22
; %bb.3500:                             ;   in Loop: Header=BB12_3286 Depth=2
	v_bfe_u32 v7, v6, 16, 1
	s_delay_alu instid0(VALU_DEP_1)
	v_add3_u32 v16, v6, v7, 0x7fff
                                        ; implicit-def: $vgpr6
; %bb.3501:                             ;   in Loop: Header=BB12_3286 Depth=2
	s_and_not1_saveexec_b32 s22, s22
; %bb.3502:                             ;   in Loop: Header=BB12_3286 Depth=2
	v_and_b32_e32 v7, 0xffff, v6
	v_or_b32_e32 v8, 0x10000, v6
	s_delay_alu instid0(VALU_DEP_2) | instskip(NEXT) | instid1(VALU_DEP_2)
	v_cmp_eq_u32_e32 vcc_lo, 0, v7
	v_cndmask_b32_e32 v16, v8, v6, vcc_lo
; %bb.3503:                             ;   in Loop: Header=BB12_3286 Depth=2
	s_or_b32 exec_lo, exec_lo, s22
	v_lshlrev_b32_e32 v6, 16, v17
	s_mov_b32 s22, exec_lo
                                        ; implicit-def: $vgpr123
	s_delay_alu instid0(VALU_DEP_1) | instskip(NEXT) | instid1(VALU_DEP_1)
	v_mul_f32_e32 v6, v42, v6
	v_and_b32_e32 v7, 0x7f800000, v6
	s_delay_alu instid0(VALU_DEP_1)
	v_cmpx_ne_u32_e32 0x7f800000, v7
	s_xor_b32 s22, exec_lo, s22
; %bb.3504:                             ;   in Loop: Header=BB12_3286 Depth=2
	v_bfe_u32 v7, v6, 16, 1
	s_delay_alu instid0(VALU_DEP_1)
	v_add3_u32 v123, v6, v7, 0x7fff
                                        ; implicit-def: $vgpr6
; %bb.3505:                             ;   in Loop: Header=BB12_3286 Depth=2
	s_and_not1_saveexec_b32 s22, s22
; %bb.3506:                             ;   in Loop: Header=BB12_3286 Depth=2
	v_and_b32_e32 v7, 0xffff, v6
	v_or_b32_e32 v8, 0x10000, v6
	s_delay_alu instid0(VALU_DEP_2) | instskip(NEXT) | instid1(VALU_DEP_2)
	v_cmp_eq_u32_e32 vcc_lo, 0, v7
	v_cndmask_b32_e32 v123, v8, v6, vcc_lo
; %bb.3507:                             ;   in Loop: Header=BB12_3286 Depth=2
	s_or_b32 exec_lo, exec_lo, s22
	v_and_b32_e32 v6, 0xffff0000, v17
	s_mov_b32 s22, exec_lo
                                        ; implicit-def: $vgpr17
	s_delay_alu instid0(VALU_DEP_1) | instskip(NEXT) | instid1(VALU_DEP_1)
	v_mul_f32_e32 v6, v42, v6
	v_and_b32_e32 v7, 0x7f800000, v6
	s_delay_alu instid0(VALU_DEP_1)
	v_cmpx_ne_u32_e32 0x7f800000, v7
	s_xor_b32 s22, exec_lo, s22
; %bb.3508:                             ;   in Loop: Header=BB12_3286 Depth=2
	v_bfe_u32 v7, v6, 16, 1
	s_delay_alu instid0(VALU_DEP_1)
	v_add3_u32 v17, v6, v7, 0x7fff
                                        ; implicit-def: $vgpr6
; %bb.3509:                             ;   in Loop: Header=BB12_3286 Depth=2
	s_and_not1_saveexec_b32 s22, s22
; %bb.3510:                             ;   in Loop: Header=BB12_3286 Depth=2
	v_and_b32_e32 v7, 0xffff, v6
	v_or_b32_e32 v8, 0x10000, v6
	s_delay_alu instid0(VALU_DEP_2) | instskip(NEXT) | instid1(VALU_DEP_2)
	v_cmp_eq_u32_e32 vcc_lo, 0, v7
	v_cndmask_b32_e32 v17, v8, v6, vcc_lo
; %bb.3511:                             ;   in Loop: Header=BB12_3286 Depth=2
	s_or_b32 exec_lo, exec_lo, s22
	v_lshlrev_b32_e32 v6, 16, v10
	s_mov_b32 s22, exec_lo
                                        ; implicit-def: $vgpr122
	s_delay_alu instid0(VALU_DEP_1) | instskip(NEXT) | instid1(VALU_DEP_1)
	v_mul_f32_e32 v6, v42, v6
	v_and_b32_e32 v7, 0x7f800000, v6
	s_delay_alu instid0(VALU_DEP_1)
	v_cmpx_ne_u32_e32 0x7f800000, v7
	s_xor_b32 s22, exec_lo, s22
; %bb.3512:                             ;   in Loop: Header=BB12_3286 Depth=2
	v_bfe_u32 v7, v6, 16, 1
	s_delay_alu instid0(VALU_DEP_1)
	v_add3_u32 v122, v6, v7, 0x7fff
                                        ; implicit-def: $vgpr6
; %bb.3513:                             ;   in Loop: Header=BB12_3286 Depth=2
	s_and_not1_saveexec_b32 s22, s22
; %bb.3514:                             ;   in Loop: Header=BB12_3286 Depth=2
	v_and_b32_e32 v7, 0xffff, v6
	v_or_b32_e32 v8, 0x10000, v6
	s_delay_alu instid0(VALU_DEP_2) | instskip(NEXT) | instid1(VALU_DEP_2)
	v_cmp_eq_u32_e32 vcc_lo, 0, v7
	v_cndmask_b32_e32 v122, v8, v6, vcc_lo
; %bb.3515:                             ;   in Loop: Header=BB12_3286 Depth=2
	s_or_b32 exec_lo, exec_lo, s22
	v_and_b32_e32 v6, 0xffff0000, v10
	s_mov_b32 s22, exec_lo
                                        ; implicit-def: $vgpr10
	s_delay_alu instid0(VALU_DEP_1) | instskip(NEXT) | instid1(VALU_DEP_1)
	v_mul_f32_e32 v6, v42, v6
	v_and_b32_e32 v7, 0x7f800000, v6
	s_delay_alu instid0(VALU_DEP_1)
	v_cmpx_ne_u32_e32 0x7f800000, v7
	s_xor_b32 s22, exec_lo, s22
; %bb.3516:                             ;   in Loop: Header=BB12_3286 Depth=2
	v_bfe_u32 v7, v6, 16, 1
	s_delay_alu instid0(VALU_DEP_1)
	v_add3_u32 v10, v6, v7, 0x7fff
                                        ; implicit-def: $vgpr6
; %bb.3517:                             ;   in Loop: Header=BB12_3286 Depth=2
	s_and_not1_saveexec_b32 s22, s22
; %bb.3518:                             ;   in Loop: Header=BB12_3286 Depth=2
	v_and_b32_e32 v7, 0xffff, v6
	v_or_b32_e32 v8, 0x10000, v6
	s_delay_alu instid0(VALU_DEP_2) | instskip(NEXT) | instid1(VALU_DEP_2)
	v_cmp_eq_u32_e32 vcc_lo, 0, v7
	v_cndmask_b32_e32 v10, v8, v6, vcc_lo
; %bb.3519:                             ;   in Loop: Header=BB12_3286 Depth=2
	s_or_b32 exec_lo, exec_lo, s22
	v_lshlrev_b32_e32 v6, 16, v11
	s_mov_b32 s22, exec_lo
                                        ; implicit-def: $vgpr56
	s_delay_alu instid0(VALU_DEP_1) | instskip(NEXT) | instid1(VALU_DEP_1)
	v_mul_f32_e32 v6, v42, v6
	v_and_b32_e32 v7, 0x7f800000, v6
	s_delay_alu instid0(VALU_DEP_1)
	v_cmpx_ne_u32_e32 0x7f800000, v7
	s_xor_b32 s22, exec_lo, s22
; %bb.3520:                             ;   in Loop: Header=BB12_3286 Depth=2
	v_bfe_u32 v7, v6, 16, 1
	s_delay_alu instid0(VALU_DEP_1)
	v_add3_u32 v56, v6, v7, 0x7fff
                                        ; implicit-def: $vgpr6
; %bb.3521:                             ;   in Loop: Header=BB12_3286 Depth=2
	s_and_not1_saveexec_b32 s22, s22
; %bb.3522:                             ;   in Loop: Header=BB12_3286 Depth=2
	v_and_b32_e32 v7, 0xffff, v6
	v_or_b32_e32 v8, 0x10000, v6
	s_delay_alu instid0(VALU_DEP_2) | instskip(NEXT) | instid1(VALU_DEP_2)
	v_cmp_eq_u32_e32 vcc_lo, 0, v7
	v_cndmask_b32_e32 v56, v8, v6, vcc_lo
; %bb.3523:                             ;   in Loop: Header=BB12_3286 Depth=2
	s_or_b32 exec_lo, exec_lo, s22
	v_and_b32_e32 v6, 0xffff0000, v11
	s_mov_b32 s22, exec_lo
                                        ; implicit-def: $vgpr11
	s_delay_alu instid0(VALU_DEP_1) | instskip(NEXT) | instid1(VALU_DEP_1)
	v_mul_f32_e32 v6, v42, v6
	v_and_b32_e32 v7, 0x7f800000, v6
	s_delay_alu instid0(VALU_DEP_1)
	v_cmpx_ne_u32_e32 0x7f800000, v7
	s_xor_b32 s22, exec_lo, s22
; %bb.3524:                             ;   in Loop: Header=BB12_3286 Depth=2
	v_bfe_u32 v7, v6, 16, 1
	s_delay_alu instid0(VALU_DEP_1)
	v_add3_u32 v11, v6, v7, 0x7fff
                                        ; implicit-def: $vgpr6
; %bb.3525:                             ;   in Loop: Header=BB12_3286 Depth=2
	s_and_not1_saveexec_b32 s22, s22
; %bb.3526:                             ;   in Loop: Header=BB12_3286 Depth=2
	v_and_b32_e32 v7, 0xffff, v6
	v_or_b32_e32 v8, 0x10000, v6
	s_delay_alu instid0(VALU_DEP_2) | instskip(NEXT) | instid1(VALU_DEP_2)
	v_cmp_eq_u32_e32 vcc_lo, 0, v7
	v_cndmask_b32_e32 v11, v8, v6, vcc_lo
; %bb.3527:                             ;   in Loop: Header=BB12_3286 Depth=2
	s_or_b32 exec_lo, exec_lo, s22
	v_lshlrev_b32_e32 v6, 16, v12
	s_mov_b32 s22, exec_lo
                                        ; implicit-def: $vgpr57
	s_delay_alu instid0(VALU_DEP_1) | instskip(NEXT) | instid1(VALU_DEP_1)
	v_mul_f32_e32 v6, v42, v6
	v_and_b32_e32 v7, 0x7f800000, v6
	s_delay_alu instid0(VALU_DEP_1)
	v_cmpx_ne_u32_e32 0x7f800000, v7
	s_xor_b32 s22, exec_lo, s22
; %bb.3528:                             ;   in Loop: Header=BB12_3286 Depth=2
	v_bfe_u32 v7, v6, 16, 1
	s_delay_alu instid0(VALU_DEP_1)
	v_add3_u32 v57, v6, v7, 0x7fff
                                        ; implicit-def: $vgpr6
; %bb.3529:                             ;   in Loop: Header=BB12_3286 Depth=2
	s_and_not1_saveexec_b32 s22, s22
; %bb.3530:                             ;   in Loop: Header=BB12_3286 Depth=2
	v_and_b32_e32 v7, 0xffff, v6
	v_or_b32_e32 v8, 0x10000, v6
	s_delay_alu instid0(VALU_DEP_2) | instskip(NEXT) | instid1(VALU_DEP_2)
	v_cmp_eq_u32_e32 vcc_lo, 0, v7
	v_cndmask_b32_e32 v57, v8, v6, vcc_lo
; %bb.3531:                             ;   in Loop: Header=BB12_3286 Depth=2
	s_or_b32 exec_lo, exec_lo, s22
	v_and_b32_e32 v6, 0xffff0000, v12
	s_mov_b32 s22, exec_lo
                                        ; implicit-def: $vgpr12
	s_delay_alu instid0(VALU_DEP_1) | instskip(NEXT) | instid1(VALU_DEP_1)
	v_mul_f32_e32 v6, v42, v6
	v_and_b32_e32 v7, 0x7f800000, v6
	s_delay_alu instid0(VALU_DEP_1)
	v_cmpx_ne_u32_e32 0x7f800000, v7
	s_xor_b32 s22, exec_lo, s22
; %bb.3532:                             ;   in Loop: Header=BB12_3286 Depth=2
	v_bfe_u32 v7, v6, 16, 1
	s_delay_alu instid0(VALU_DEP_1)
	v_add3_u32 v12, v6, v7, 0x7fff
                                        ; implicit-def: $vgpr6
; %bb.3533:                             ;   in Loop: Header=BB12_3286 Depth=2
	s_and_not1_saveexec_b32 s22, s22
; %bb.3534:                             ;   in Loop: Header=BB12_3286 Depth=2
	v_and_b32_e32 v7, 0xffff, v6
	v_or_b32_e32 v8, 0x10000, v6
	s_delay_alu instid0(VALU_DEP_2) | instskip(NEXT) | instid1(VALU_DEP_2)
	v_cmp_eq_u32_e32 vcc_lo, 0, v7
	v_cndmask_b32_e32 v12, v8, v6, vcc_lo
; %bb.3535:                             ;   in Loop: Header=BB12_3286 Depth=2
	s_or_b32 exec_lo, exec_lo, s22
	v_lshlrev_b32_e32 v6, 16, v13
	s_mov_b32 s22, exec_lo
                                        ; implicit-def: $vgpr88
	s_delay_alu instid0(VALU_DEP_1) | instskip(NEXT) | instid1(VALU_DEP_1)
	v_mul_f32_e32 v6, v42, v6
	v_and_b32_e32 v7, 0x7f800000, v6
	s_delay_alu instid0(VALU_DEP_1)
	v_cmpx_ne_u32_e32 0x7f800000, v7
	s_xor_b32 s22, exec_lo, s22
; %bb.3536:                             ;   in Loop: Header=BB12_3286 Depth=2
	v_bfe_u32 v7, v6, 16, 1
	s_delay_alu instid0(VALU_DEP_1)
	v_add3_u32 v88, v6, v7, 0x7fff
                                        ; implicit-def: $vgpr6
; %bb.3537:                             ;   in Loop: Header=BB12_3286 Depth=2
	s_and_not1_saveexec_b32 s22, s22
; %bb.3538:                             ;   in Loop: Header=BB12_3286 Depth=2
	v_and_b32_e32 v7, 0xffff, v6
	v_or_b32_e32 v8, 0x10000, v6
	s_delay_alu instid0(VALU_DEP_2) | instskip(NEXT) | instid1(VALU_DEP_2)
	v_cmp_eq_u32_e32 vcc_lo, 0, v7
	v_cndmask_b32_e32 v88, v8, v6, vcc_lo
; %bb.3539:                             ;   in Loop: Header=BB12_3286 Depth=2
	s_or_b32 exec_lo, exec_lo, s22
	v_and_b32_e32 v6, 0xffff0000, v13
	s_mov_b32 s22, exec_lo
                                        ; implicit-def: $vgpr13
	s_delay_alu instid0(VALU_DEP_1) | instskip(NEXT) | instid1(VALU_DEP_1)
	v_mul_f32_e32 v6, v42, v6
	v_and_b32_e32 v7, 0x7f800000, v6
	s_delay_alu instid0(VALU_DEP_1)
	v_cmpx_ne_u32_e32 0x7f800000, v7
	s_xor_b32 s22, exec_lo, s22
; %bb.3540:                             ;   in Loop: Header=BB12_3286 Depth=2
	v_bfe_u32 v7, v6, 16, 1
	s_delay_alu instid0(VALU_DEP_1)
	v_add3_u32 v13, v6, v7, 0x7fff
                                        ; implicit-def: $vgpr6
; %bb.3541:                             ;   in Loop: Header=BB12_3286 Depth=2
	s_and_not1_saveexec_b32 s22, s22
; %bb.3542:                             ;   in Loop: Header=BB12_3286 Depth=2
	v_and_b32_e32 v7, 0xffff, v6
	v_or_b32_e32 v8, 0x10000, v6
	s_delay_alu instid0(VALU_DEP_2) | instskip(NEXT) | instid1(VALU_DEP_2)
	v_cmp_eq_u32_e32 vcc_lo, 0, v7
	v_cndmask_b32_e32 v13, v8, v6, vcc_lo
; %bb.3543:                             ;   in Loop: Header=BB12_3286 Depth=2
	s_or_b32 exec_lo, exec_lo, s22
	v_dual_lshrrev_b32 v6, 16, v106 :: v_dual_lshrrev_b32 v7, 16, v21
	v_lshrrev_b32_e32 v8, 16, v107
	v_lshrrev_b32_e32 v9, 16, v123
	v_dual_lshrrev_b32 v21, 16, v59 :: v_dual_lshrrev_b32 v4, 16, v4
	s_delay_alu instid0(VALU_DEP_4)
	v_and_or_b32 v15, 0xffff0000, v15, v6
	v_and_or_b32 v14, 0xffff0000, v14, v7
	v_dual_lshrrev_b32 v6, 16, v58 :: v_dual_lshrrev_b32 v7, 16, v121
	v_and_or_b32 v16, 0xffff0000, v16, v8
	v_and_or_b32 v20, 0xffff0000, v20, v21
	v_lshrrev_b32_e32 v8, 16, v111
	s_delay_alu instid0(VALU_DEP_4)
	v_and_or_b32 v19, 0xffff0000, v19, v6
	v_and_or_b32 v18, 0xffff0000, v18, v7
	v_dual_lshrrev_b32 v6, 16, v77 :: v_dual_lshrrev_b32 v7, 16, v76
	v_and_or_b32 v21, 0xffff0000, v5, v4
	v_dual_lshrrev_b32 v4, 16, v126 :: v_dual_lshrrev_b32 v5, 16, v95
	v_and_or_b32 v17, 0xffff0000, v17, v9
	v_lshrrev_b32_e32 v9, 16, v120
	v_and_or_b32 v23, 0xffff0000, v23, v6
	v_and_or_b32 v22, 0xffff0000, v22, v7
	;; [unrolled: 1-line block ×3, first 2 shown]
	v_dual_lshrrev_b32 v6, 16, v62 :: v_dual_lshrrev_b32 v7, 16, v31
	v_lshrrev_b32_e32 v8, 16, v116
	v_and_or_b32 v27, 0xffff0000, v27, v4
	v_lshrrev_b32_e32 v4, 16, v71
	v_and_or_b32 v26, 0xffff0000, v26, v5
	v_and_or_b32 v28, 0xffff0000, v28, v6
	;; [unrolled: 1-line block ×3, first 2 shown]
	v_dual_lshrrev_b32 v5, 16, v117 :: v_dual_lshrrev_b32 v6, 16, v94
	v_lshrrev_b32_e32 v7, 16, v44
	v_and_or_b32 v48, 0xffff0000, v48, v4
	v_dual_lshrrev_b32 v4, 16, v45 :: v_dual_lshrrev_b32 v0, 16, v0
	v_and_or_b32 v49, 0xffff0000, v49, v8
	v_lshrrev_b32_e32 v8, 16, v61
	v_and_or_b32 v50, 0xffff0000, v50, v5
	v_and_or_b32 v51, 0xffff0000, v51, v6
	;; [unrolled: 1-line block ×3, first 2 shown]
	v_dual_lshrrev_b32 v5, 16, v91 :: v_dual_lshrrev_b32 v6, 16, v90
	v_lshrrev_b32_e32 v7, 16, v118
	v_and_or_b32 v71, 0xffff0000, v1, v0
	v_lshrrev_b32_e32 v0, 16, v60
	v_and_or_b32 v70, 0xffff0000, v70, v4
	v_and_or_b32 v97, 0xffff0000, v97, v5
	;; [unrolled: 1-line block ×4, first 2 shown]
	v_dual_lshrrev_b32 v1, 16, v56 :: v_dual_lshrrev_b32 v4, 16, v122
	v_dual_lshrrev_b32 v5, 16, v57 :: v_dual_lshrrev_b32 v6, 16, v88
	v_and_or_b32 v99, 0xffff0000, v99, v0
	v_and_or_b32 v68, 0xffff0000, v68, v8
	;; [unrolled: 1-line block ×7, first 2 shown]
	s_clause 0x7
	global_store_b128 v[124:125], v[96:99], off th:TH_STORE_NT
	global_store_b128 v[124:125], v[68:71], off offset:512 th:TH_STORE_NT
	global_store_b128 v[124:125], v[48:51], off offset:1024 th:TH_STORE_NT
	;; [unrolled: 1-line block ×7, first 2 shown]
	s_wait_xcnt 0x0
	v_add_nc_u64_e32 v[124:125], v[124:125], v[92:93]
.LBB12_3544:                            ;   in Loop: Header=BB12_3286 Depth=2
	s_or_b32 exec_lo, exec_lo, s23
	v_sub_nc_u32_e32 v43, v43, v72
	v_add_nc_u64_e32 v[2:3], v[2:3], v[92:93]
	s_delay_alu instid0(VALU_DEP_2)
	v_cmp_lt_i32_e64 s22, 0, v43
	s_and_saveexec_b32 s23, s22
	s_cbranch_execz .LBB12_3546
; %bb.3545:                             ;   in Loop: Header=BB12_3286 Depth=2
	s_clause 0x7
	global_load_b128 v[96:99], v[2:3], off th:TH_LOAD_NT
	global_load_b128 v[68:71], v[2:3], off offset:512 th:TH_LOAD_NT
	global_load_b128 v[48:51], v[2:3], off offset:1024 th:TH_LOAD_NT
	;; [unrolled: 1-line block ×7, first 2 shown]
	s_wait_xcnt 0x0
	v_add_nc_u64_e32 v[2:3], 0x1000, v[2:3]
.LBB12_3546:                            ;   in Loop: Header=BB12_3286 Depth=2
	s_or_b32 exec_lo, exec_lo, s23
	s_wait_loadcnt 0x7
	v_lshlrev_b32_e32 v0, 16, v112
	s_mov_b32 s23, exec_lo
                                        ; implicit-def: $vgpr90
	s_delay_alu instid0(VALU_DEP_1) | instskip(NEXT) | instid1(VALU_DEP_1)
	v_mul_f32_e32 v0, v42, v0
	v_and_b32_e32 v1, 0x7f800000, v0
	s_delay_alu instid0(VALU_DEP_1)
	v_cmpx_ne_u32_e32 0x7f800000, v1
	s_xor_b32 s23, exec_lo, s23
; %bb.3547:                             ;   in Loop: Header=BB12_3286 Depth=2
	v_bfe_u32 v1, v0, 16, 1
	s_delay_alu instid0(VALU_DEP_1)
	v_add3_u32 v90, v0, v1, 0x7fff
                                        ; implicit-def: $vgpr0
; %bb.3548:                             ;   in Loop: Header=BB12_3286 Depth=2
	s_and_not1_saveexec_b32 s23, s23
; %bb.3549:                             ;   in Loop: Header=BB12_3286 Depth=2
	v_and_b32_e32 v1, 0xffff, v0
	v_or_b32_e32 v4, 0x10000, v0
	s_delay_alu instid0(VALU_DEP_2) | instskip(NEXT) | instid1(VALU_DEP_2)
	v_cmp_eq_u32_e32 vcc_lo, 0, v1
	v_cndmask_b32_e32 v90, v4, v0, vcc_lo
; %bb.3550:                             ;   in Loop: Header=BB12_3286 Depth=2
	s_or_b32 exec_lo, exec_lo, s23
	v_and_b32_e32 v0, 0xffff0000, v112
	s_mov_b32 s23, exec_lo
                                        ; implicit-def: $vgpr112
	s_delay_alu instid0(VALU_DEP_1) | instskip(NEXT) | instid1(VALU_DEP_1)
	v_mul_f32_e32 v0, v42, v0
	v_and_b32_e32 v1, 0x7f800000, v0
	s_delay_alu instid0(VALU_DEP_1)
	v_cmpx_ne_u32_e32 0x7f800000, v1
	s_xor_b32 s23, exec_lo, s23
; %bb.3551:                             ;   in Loop: Header=BB12_3286 Depth=2
	v_bfe_u32 v1, v0, 16, 1
	s_delay_alu instid0(VALU_DEP_1)
	v_add3_u32 v112, v0, v1, 0x7fff
                                        ; implicit-def: $vgpr0
; %bb.3552:                             ;   in Loop: Header=BB12_3286 Depth=2
	s_and_not1_saveexec_b32 s23, s23
; %bb.3553:                             ;   in Loop: Header=BB12_3286 Depth=2
	v_and_b32_e32 v1, 0xffff, v0
	v_or_b32_e32 v4, 0x10000, v0
	s_delay_alu instid0(VALU_DEP_2) | instskip(NEXT) | instid1(VALU_DEP_2)
	v_cmp_eq_u32_e32 vcc_lo, 0, v1
	v_cndmask_b32_e32 v112, v4, v0, vcc_lo
; %bb.3554:                             ;   in Loop: Header=BB12_3286 Depth=2
	s_or_b32 exec_lo, exec_lo, s23
	v_lshlrev_b32_e32 v0, 16, v113
	s_mov_b32 s23, exec_lo
                                        ; implicit-def: $vgpr91
	s_delay_alu instid0(VALU_DEP_1) | instskip(NEXT) | instid1(VALU_DEP_1)
	v_mul_f32_e32 v0, v42, v0
	v_and_b32_e32 v1, 0x7f800000, v0
	s_delay_alu instid0(VALU_DEP_1)
	v_cmpx_ne_u32_e32 0x7f800000, v1
	s_xor_b32 s23, exec_lo, s23
; %bb.3555:                             ;   in Loop: Header=BB12_3286 Depth=2
	v_bfe_u32 v1, v0, 16, 1
	s_delay_alu instid0(VALU_DEP_1)
	v_add3_u32 v91, v0, v1, 0x7fff
                                        ; implicit-def: $vgpr0
; %bb.3556:                             ;   in Loop: Header=BB12_3286 Depth=2
	s_and_not1_saveexec_b32 s23, s23
; %bb.3557:                             ;   in Loop: Header=BB12_3286 Depth=2
	v_and_b32_e32 v1, 0xffff, v0
	v_or_b32_e32 v4, 0x10000, v0
	s_delay_alu instid0(VALU_DEP_2) | instskip(NEXT) | instid1(VALU_DEP_2)
	v_cmp_eq_u32_e32 vcc_lo, 0, v1
	v_cndmask_b32_e32 v91, v4, v0, vcc_lo
; %bb.3558:                             ;   in Loop: Header=BB12_3286 Depth=2
	s_or_b32 exec_lo, exec_lo, s23
	v_and_b32_e32 v0, 0xffff0000, v113
	s_mov_b32 s23, exec_lo
                                        ; implicit-def: $vgpr113
	s_delay_alu instid0(VALU_DEP_1) | instskip(NEXT) | instid1(VALU_DEP_1)
	v_mul_f32_e32 v0, v42, v0
	v_and_b32_e32 v1, 0x7f800000, v0
	s_delay_alu instid0(VALU_DEP_1)
	v_cmpx_ne_u32_e32 0x7f800000, v1
	s_xor_b32 s23, exec_lo, s23
; %bb.3559:                             ;   in Loop: Header=BB12_3286 Depth=2
	v_bfe_u32 v1, v0, 16, 1
	s_delay_alu instid0(VALU_DEP_1)
	v_add3_u32 v113, v0, v1, 0x7fff
                                        ; implicit-def: $vgpr0
; %bb.3560:                             ;   in Loop: Header=BB12_3286 Depth=2
	s_and_not1_saveexec_b32 s23, s23
; %bb.3561:                             ;   in Loop: Header=BB12_3286 Depth=2
	v_and_b32_e32 v1, 0xffff, v0
	v_or_b32_e32 v4, 0x10000, v0
	s_delay_alu instid0(VALU_DEP_2) | instskip(NEXT) | instid1(VALU_DEP_2)
	v_cmp_eq_u32_e32 vcc_lo, 0, v1
	v_cndmask_b32_e32 v113, v4, v0, vcc_lo
; %bb.3562:                             ;   in Loop: Header=BB12_3286 Depth=2
	s_or_b32 exec_lo, exec_lo, s23
	v_lshlrev_b32_e32 v0, 16, v114
	s_mov_b32 s23, exec_lo
                                        ; implicit-def: $vgpr118
	s_delay_alu instid0(VALU_DEP_1) | instskip(NEXT) | instid1(VALU_DEP_1)
	v_mul_f32_e32 v0, v42, v0
	v_and_b32_e32 v1, 0x7f800000, v0
	s_delay_alu instid0(VALU_DEP_1)
	v_cmpx_ne_u32_e32 0x7f800000, v1
	s_xor_b32 s23, exec_lo, s23
; %bb.3563:                             ;   in Loop: Header=BB12_3286 Depth=2
	v_bfe_u32 v1, v0, 16, 1
	s_delay_alu instid0(VALU_DEP_1)
	v_add3_u32 v118, v0, v1, 0x7fff
                                        ; implicit-def: $vgpr0
; %bb.3564:                             ;   in Loop: Header=BB12_3286 Depth=2
	s_and_not1_saveexec_b32 s23, s23
; %bb.3565:                             ;   in Loop: Header=BB12_3286 Depth=2
	v_and_b32_e32 v1, 0xffff, v0
	v_or_b32_e32 v4, 0x10000, v0
	s_delay_alu instid0(VALU_DEP_2) | instskip(NEXT) | instid1(VALU_DEP_2)
	v_cmp_eq_u32_e32 vcc_lo, 0, v1
	v_cndmask_b32_e32 v118, v4, v0, vcc_lo
; %bb.3566:                             ;   in Loop: Header=BB12_3286 Depth=2
	s_or_b32 exec_lo, exec_lo, s23
	v_and_b32_e32 v0, 0xffff0000, v114
	s_mov_b32 s23, exec_lo
                                        ; implicit-def: $vgpr114
	s_delay_alu instid0(VALU_DEP_1) | instskip(NEXT) | instid1(VALU_DEP_1)
	v_mul_f32_e32 v0, v42, v0
	v_and_b32_e32 v1, 0x7f800000, v0
	s_delay_alu instid0(VALU_DEP_1)
	v_cmpx_ne_u32_e32 0x7f800000, v1
	s_xor_b32 s23, exec_lo, s23
; %bb.3567:                             ;   in Loop: Header=BB12_3286 Depth=2
	v_bfe_u32 v1, v0, 16, 1
	s_delay_alu instid0(VALU_DEP_1)
	v_add3_u32 v114, v0, v1, 0x7fff
                                        ; implicit-def: $vgpr0
; %bb.3568:                             ;   in Loop: Header=BB12_3286 Depth=2
	s_and_not1_saveexec_b32 s23, s23
; %bb.3569:                             ;   in Loop: Header=BB12_3286 Depth=2
	v_and_b32_e32 v1, 0xffff, v0
	v_or_b32_e32 v4, 0x10000, v0
	s_delay_alu instid0(VALU_DEP_2) | instskip(NEXT) | instid1(VALU_DEP_2)
	v_cmp_eq_u32_e32 vcc_lo, 0, v1
	v_cndmask_b32_e32 v114, v4, v0, vcc_lo
; %bb.3570:                             ;   in Loop: Header=BB12_3286 Depth=2
	s_or_b32 exec_lo, exec_lo, s23
	v_lshlrev_b32_e32 v0, 16, v115
	s_mov_b32 s23, exec_lo
                                        ; implicit-def: $vgpr60
	s_delay_alu instid0(VALU_DEP_1) | instskip(NEXT) | instid1(VALU_DEP_1)
	v_mul_f32_e32 v0, v42, v0
	v_and_b32_e32 v1, 0x7f800000, v0
	s_delay_alu instid0(VALU_DEP_1)
	v_cmpx_ne_u32_e32 0x7f800000, v1
	s_xor_b32 s23, exec_lo, s23
; %bb.3571:                             ;   in Loop: Header=BB12_3286 Depth=2
	v_bfe_u32 v1, v0, 16, 1
	s_delay_alu instid0(VALU_DEP_1)
	v_add3_u32 v60, v0, v1, 0x7fff
                                        ; implicit-def: $vgpr0
; %bb.3572:                             ;   in Loop: Header=BB12_3286 Depth=2
	s_and_not1_saveexec_b32 s23, s23
; %bb.3573:                             ;   in Loop: Header=BB12_3286 Depth=2
	v_and_b32_e32 v1, 0xffff, v0
	v_or_b32_e32 v4, 0x10000, v0
	s_delay_alu instid0(VALU_DEP_2) | instskip(NEXT) | instid1(VALU_DEP_2)
	v_cmp_eq_u32_e32 vcc_lo, 0, v1
	v_cndmask_b32_e32 v60, v4, v0, vcc_lo
; %bb.3574:                             ;   in Loop: Header=BB12_3286 Depth=2
	s_or_b32 exec_lo, exec_lo, s23
	v_and_b32_e32 v0, 0xffff0000, v115
	s_mov_b32 s23, exec_lo
                                        ; implicit-def: $vgpr115
	s_delay_alu instid0(VALU_DEP_1) | instskip(NEXT) | instid1(VALU_DEP_1)
	v_mul_f32_e32 v0, v42, v0
	v_and_b32_e32 v1, 0x7f800000, v0
	s_delay_alu instid0(VALU_DEP_1)
	v_cmpx_ne_u32_e32 0x7f800000, v1
	s_xor_b32 s23, exec_lo, s23
; %bb.3575:                             ;   in Loop: Header=BB12_3286 Depth=2
	v_bfe_u32 v1, v0, 16, 1
	s_delay_alu instid0(VALU_DEP_1)
	v_add3_u32 v115, v0, v1, 0x7fff
                                        ; implicit-def: $vgpr0
; %bb.3576:                             ;   in Loop: Header=BB12_3286 Depth=2
	s_and_not1_saveexec_b32 s23, s23
; %bb.3577:                             ;   in Loop: Header=BB12_3286 Depth=2
	v_and_b32_e32 v1, 0xffff, v0
	v_or_b32_e32 v4, 0x10000, v0
	s_delay_alu instid0(VALU_DEP_2) | instskip(NEXT) | instid1(VALU_DEP_2)
	v_cmp_eq_u32_e32 vcc_lo, 0, v1
	v_cndmask_b32_e32 v115, v4, v0, vcc_lo
; %bb.3578:                             ;   in Loop: Header=BB12_3286 Depth=2
	s_or_b32 exec_lo, exec_lo, s23
	s_wait_loadcnt 0x6
	v_lshlrev_b32_e32 v0, 16, v100
	s_mov_b32 s23, exec_lo
                                        ; implicit-def: $vgpr61
	s_delay_alu instid0(VALU_DEP_1) | instskip(NEXT) | instid1(VALU_DEP_1)
	v_mul_f32_e32 v0, v42, v0
	v_and_b32_e32 v1, 0x7f800000, v0
	s_delay_alu instid0(VALU_DEP_1)
	v_cmpx_ne_u32_e32 0x7f800000, v1
	s_xor_b32 s23, exec_lo, s23
; %bb.3579:                             ;   in Loop: Header=BB12_3286 Depth=2
	v_bfe_u32 v1, v0, 16, 1
	s_delay_alu instid0(VALU_DEP_1)
	v_add3_u32 v61, v0, v1, 0x7fff
                                        ; implicit-def: $vgpr0
; %bb.3580:                             ;   in Loop: Header=BB12_3286 Depth=2
	s_and_not1_saveexec_b32 s23, s23
; %bb.3581:                             ;   in Loop: Header=BB12_3286 Depth=2
	v_and_b32_e32 v1, 0xffff, v0
	v_or_b32_e32 v4, 0x10000, v0
	s_delay_alu instid0(VALU_DEP_2) | instskip(NEXT) | instid1(VALU_DEP_2)
	v_cmp_eq_u32_e32 vcc_lo, 0, v1
	v_cndmask_b32_e32 v61, v4, v0, vcc_lo
; %bb.3582:                             ;   in Loop: Header=BB12_3286 Depth=2
	s_or_b32 exec_lo, exec_lo, s23
	v_and_b32_e32 v0, 0xffff0000, v100
	s_mov_b32 s23, exec_lo
                                        ; implicit-def: $vgpr100
	s_delay_alu instid0(VALU_DEP_1) | instskip(NEXT) | instid1(VALU_DEP_1)
	v_mul_f32_e32 v0, v42, v0
	v_and_b32_e32 v1, 0x7f800000, v0
	s_delay_alu instid0(VALU_DEP_1)
	v_cmpx_ne_u32_e32 0x7f800000, v1
	s_xor_b32 s23, exec_lo, s23
; %bb.3583:                             ;   in Loop: Header=BB12_3286 Depth=2
	v_bfe_u32 v1, v0, 16, 1
	s_delay_alu instid0(VALU_DEP_1)
	v_add3_u32 v100, v0, v1, 0x7fff
                                        ; implicit-def: $vgpr0
; %bb.3584:                             ;   in Loop: Header=BB12_3286 Depth=2
	s_and_not1_saveexec_b32 s23, s23
; %bb.3585:                             ;   in Loop: Header=BB12_3286 Depth=2
	v_and_b32_e32 v1, 0xffff, v0
	v_or_b32_e32 v4, 0x10000, v0
	s_delay_alu instid0(VALU_DEP_2) | instskip(NEXT) | instid1(VALU_DEP_2)
	v_cmp_eq_u32_e32 vcc_lo, 0, v1
	v_cndmask_b32_e32 v100, v4, v0, vcc_lo
; %bb.3586:                             ;   in Loop: Header=BB12_3286 Depth=2
	s_or_b32 exec_lo, exec_lo, s23
	v_lshlrev_b32_e32 v0, 16, v101
	s_mov_b32 s23, exec_lo
                                        ; implicit-def: $vgpr44
	s_delay_alu instid0(VALU_DEP_1) | instskip(NEXT) | instid1(VALU_DEP_1)
	v_mul_f32_e32 v0, v42, v0
	v_and_b32_e32 v1, 0x7f800000, v0
	s_delay_alu instid0(VALU_DEP_1)
	v_cmpx_ne_u32_e32 0x7f800000, v1
	s_xor_b32 s23, exec_lo, s23
; %bb.3587:                             ;   in Loop: Header=BB12_3286 Depth=2
	v_bfe_u32 v1, v0, 16, 1
	s_delay_alu instid0(VALU_DEP_1)
	v_add3_u32 v44, v0, v1, 0x7fff
                                        ; implicit-def: $vgpr0
; %bb.3588:                             ;   in Loop: Header=BB12_3286 Depth=2
	s_and_not1_saveexec_b32 s23, s23
; %bb.3589:                             ;   in Loop: Header=BB12_3286 Depth=2
	v_and_b32_e32 v1, 0xffff, v0
	v_or_b32_e32 v4, 0x10000, v0
	s_delay_alu instid0(VALU_DEP_2) | instskip(NEXT) | instid1(VALU_DEP_2)
	v_cmp_eq_u32_e32 vcc_lo, 0, v1
	v_cndmask_b32_e32 v44, v4, v0, vcc_lo
; %bb.3590:                             ;   in Loop: Header=BB12_3286 Depth=2
	s_or_b32 exec_lo, exec_lo, s23
	v_and_b32_e32 v0, 0xffff0000, v101
	s_mov_b32 s23, exec_lo
                                        ; implicit-def: $vgpr101
	s_delay_alu instid0(VALU_DEP_1) | instskip(NEXT) | instid1(VALU_DEP_1)
	v_mul_f32_e32 v0, v42, v0
	v_and_b32_e32 v1, 0x7f800000, v0
	s_delay_alu instid0(VALU_DEP_1)
	v_cmpx_ne_u32_e32 0x7f800000, v1
	s_xor_b32 s23, exec_lo, s23
; %bb.3591:                             ;   in Loop: Header=BB12_3286 Depth=2
	v_bfe_u32 v1, v0, 16, 1
	s_delay_alu instid0(VALU_DEP_1)
	v_add3_u32 v101, v0, v1, 0x7fff
                                        ; implicit-def: $vgpr0
; %bb.3592:                             ;   in Loop: Header=BB12_3286 Depth=2
	s_and_not1_saveexec_b32 s23, s23
; %bb.3593:                             ;   in Loop: Header=BB12_3286 Depth=2
	v_and_b32_e32 v1, 0xffff, v0
	v_or_b32_e32 v4, 0x10000, v0
	s_delay_alu instid0(VALU_DEP_2) | instskip(NEXT) | instid1(VALU_DEP_2)
	v_cmp_eq_u32_e32 vcc_lo, 0, v1
	v_cndmask_b32_e32 v101, v4, v0, vcc_lo
; %bb.3594:                             ;   in Loop: Header=BB12_3286 Depth=2
	s_or_b32 exec_lo, exec_lo, s23
	v_lshlrev_b32_e32 v0, 16, v102
	s_mov_b32 s23, exec_lo
                                        ; implicit-def: $vgpr45
	s_delay_alu instid0(VALU_DEP_1) | instskip(NEXT) | instid1(VALU_DEP_1)
	v_mul_f32_e32 v0, v42, v0
	v_and_b32_e32 v1, 0x7f800000, v0
	s_delay_alu instid0(VALU_DEP_1)
	v_cmpx_ne_u32_e32 0x7f800000, v1
	s_xor_b32 s23, exec_lo, s23
; %bb.3595:                             ;   in Loop: Header=BB12_3286 Depth=2
	v_bfe_u32 v1, v0, 16, 1
	s_delay_alu instid0(VALU_DEP_1)
	v_add3_u32 v45, v0, v1, 0x7fff
                                        ; implicit-def: $vgpr0
; %bb.3596:                             ;   in Loop: Header=BB12_3286 Depth=2
	s_and_not1_saveexec_b32 s23, s23
; %bb.3597:                             ;   in Loop: Header=BB12_3286 Depth=2
	v_and_b32_e32 v1, 0xffff, v0
	v_or_b32_e32 v4, 0x10000, v0
	s_delay_alu instid0(VALU_DEP_2) | instskip(NEXT) | instid1(VALU_DEP_2)
	v_cmp_eq_u32_e32 vcc_lo, 0, v1
	v_cndmask_b32_e32 v45, v4, v0, vcc_lo
; %bb.3598:                             ;   in Loop: Header=BB12_3286 Depth=2
	s_or_b32 exec_lo, exec_lo, s23
	v_and_b32_e32 v0, 0xffff0000, v102
	s_mov_b32 s23, exec_lo
                                        ; implicit-def: $vgpr102
	s_delay_alu instid0(VALU_DEP_1) | instskip(NEXT) | instid1(VALU_DEP_1)
	v_mul_f32_e32 v0, v42, v0
	v_and_b32_e32 v1, 0x7f800000, v0
	s_delay_alu instid0(VALU_DEP_1)
	v_cmpx_ne_u32_e32 0x7f800000, v1
	s_xor_b32 s23, exec_lo, s23
; %bb.3599:                             ;   in Loop: Header=BB12_3286 Depth=2
	v_bfe_u32 v1, v0, 16, 1
	s_delay_alu instid0(VALU_DEP_1)
	v_add3_u32 v102, v0, v1, 0x7fff
                                        ; implicit-def: $vgpr0
; %bb.3600:                             ;   in Loop: Header=BB12_3286 Depth=2
	s_and_not1_saveexec_b32 s23, s23
; %bb.3601:                             ;   in Loop: Header=BB12_3286 Depth=2
	v_and_b32_e32 v1, 0xffff, v0
	v_or_b32_e32 v4, 0x10000, v0
	s_delay_alu instid0(VALU_DEP_2) | instskip(NEXT) | instid1(VALU_DEP_2)
	v_cmp_eq_u32_e32 vcc_lo, 0, v1
	v_cndmask_b32_e32 v102, v4, v0, vcc_lo
; %bb.3602:                             ;   in Loop: Header=BB12_3286 Depth=2
	s_or_b32 exec_lo, exec_lo, s23
	v_lshlrev_b32_e32 v0, 16, v103
	s_delay_alu instid0(VALU_DEP_1) | instskip(NEXT) | instid1(VALU_DEP_1)
	v_mul_f32_e32 v1, v42, v0
	v_and_b32_e32 v0, 0x7f800000, v1
	s_delay_alu instid0(VALU_DEP_1) | instskip(SKIP_1) | instid1(SALU_CYCLE_1)
	v_cmp_ne_u32_e32 vcc_lo, 0x7f800000, v0
                                        ; implicit-def: $vgpr0
	s_and_saveexec_b32 s23, vcc_lo
	s_xor_b32 s23, exec_lo, s23
; %bb.3603:                             ;   in Loop: Header=BB12_3286 Depth=2
	v_bfe_u32 v0, v1, 16, 1
	s_delay_alu instid0(VALU_DEP_1)
	v_add3_u32 v0, v1, v0, 0x7fff
                                        ; implicit-def: $vgpr1
; %bb.3604:                             ;   in Loop: Header=BB12_3286 Depth=2
	s_and_not1_saveexec_b32 s23, s23
; %bb.3605:                             ;   in Loop: Header=BB12_3286 Depth=2
	v_and_b32_e32 v0, 0xffff, v1
	v_or_b32_e32 v4, 0x10000, v1
	s_delay_alu instid0(VALU_DEP_2) | instskip(NEXT) | instid1(VALU_DEP_2)
	v_cmp_eq_u32_e32 vcc_lo, 0, v0
	v_cndmask_b32_e32 v0, v4, v1, vcc_lo
; %bb.3606:                             ;   in Loop: Header=BB12_3286 Depth=2
	s_or_b32 exec_lo, exec_lo, s23
	v_and_b32_e32 v1, 0xffff0000, v103
	s_delay_alu instid0(VALU_DEP_1) | instskip(NEXT) | instid1(VALU_DEP_1)
	v_mul_f32_e32 v4, v42, v1
	v_and_b32_e32 v1, 0x7f800000, v4
	s_delay_alu instid0(VALU_DEP_1) | instskip(SKIP_1) | instid1(SALU_CYCLE_1)
	v_cmp_ne_u32_e32 vcc_lo, 0x7f800000, v1
                                        ; implicit-def: $vgpr1
	s_and_saveexec_b32 s23, vcc_lo
	s_xor_b32 s23, exec_lo, s23
; %bb.3607:                             ;   in Loop: Header=BB12_3286 Depth=2
	v_bfe_u32 v1, v4, 16, 1
	s_delay_alu instid0(VALU_DEP_1)
	v_add3_u32 v1, v4, v1, 0x7fff
                                        ; implicit-def: $vgpr4
; %bb.3608:                             ;   in Loop: Header=BB12_3286 Depth=2
	s_and_not1_saveexec_b32 s23, s23
; %bb.3609:                             ;   in Loop: Header=BB12_3286 Depth=2
	v_and_b32_e32 v1, 0xffff, v4
	v_or_b32_e32 v5, 0x10000, v4
	s_delay_alu instid0(VALU_DEP_2) | instskip(NEXT) | instid1(VALU_DEP_2)
	v_cmp_eq_u32_e32 vcc_lo, 0, v1
	v_cndmask_b32_e32 v1, v5, v4, vcc_lo
; %bb.3610:                             ;   in Loop: Header=BB12_3286 Depth=2
	s_or_b32 exec_lo, exec_lo, s23
	s_wait_loadcnt 0x5
	v_lshlrev_b32_e32 v4, 16, v84
	s_mov_b32 s23, exec_lo
                                        ; implicit-def: $vgpr103
	s_delay_alu instid0(VALU_DEP_1) | instskip(NEXT) | instid1(VALU_DEP_1)
	v_mul_f32_e32 v4, v42, v4
	v_and_b32_e32 v5, 0x7f800000, v4
	s_delay_alu instid0(VALU_DEP_1)
	v_cmpx_ne_u32_e32 0x7f800000, v5
	s_xor_b32 s23, exec_lo, s23
; %bb.3611:                             ;   in Loop: Header=BB12_3286 Depth=2
	v_bfe_u32 v5, v4, 16, 1
	s_delay_alu instid0(VALU_DEP_1)
	v_add3_u32 v103, v4, v5, 0x7fff
                                        ; implicit-def: $vgpr4
; %bb.3612:                             ;   in Loop: Header=BB12_3286 Depth=2
	s_and_not1_saveexec_b32 s23, s23
; %bb.3613:                             ;   in Loop: Header=BB12_3286 Depth=2
	v_and_b32_e32 v5, 0xffff, v4
	v_or_b32_e32 v6, 0x10000, v4
	s_delay_alu instid0(VALU_DEP_2) | instskip(NEXT) | instid1(VALU_DEP_2)
	v_cmp_eq_u32_e32 vcc_lo, 0, v5
	v_cndmask_b32_e32 v103, v6, v4, vcc_lo
; %bb.3614:                             ;   in Loop: Header=BB12_3286 Depth=2
	s_or_b32 exec_lo, exec_lo, s23
	v_and_b32_e32 v4, 0xffff0000, v84
	s_mov_b32 s23, exec_lo
                                        ; implicit-def: $vgpr84
	s_delay_alu instid0(VALU_DEP_1) | instskip(NEXT) | instid1(VALU_DEP_1)
	v_mul_f32_e32 v4, v42, v4
	v_and_b32_e32 v5, 0x7f800000, v4
	s_delay_alu instid0(VALU_DEP_1)
	v_cmpx_ne_u32_e32 0x7f800000, v5
	s_xor_b32 s23, exec_lo, s23
; %bb.3615:                             ;   in Loop: Header=BB12_3286 Depth=2
	v_bfe_u32 v5, v4, 16, 1
	s_delay_alu instid0(VALU_DEP_1)
	v_add3_u32 v84, v4, v5, 0x7fff
                                        ; implicit-def: $vgpr4
; %bb.3616:                             ;   in Loop: Header=BB12_3286 Depth=2
	s_and_not1_saveexec_b32 s23, s23
; %bb.3617:                             ;   in Loop: Header=BB12_3286 Depth=2
	v_and_b32_e32 v5, 0xffff, v4
	v_or_b32_e32 v6, 0x10000, v4
	s_delay_alu instid0(VALU_DEP_2) | instskip(NEXT) | instid1(VALU_DEP_2)
	v_cmp_eq_u32_e32 vcc_lo, 0, v5
	v_cndmask_b32_e32 v84, v6, v4, vcc_lo
; %bb.3618:                             ;   in Loop: Header=BB12_3286 Depth=2
	s_or_b32 exec_lo, exec_lo, s23
	v_lshlrev_b32_e32 v4, 16, v85
	s_mov_b32 s23, exec_lo
                                        ; implicit-def: $vgpr116
	s_delay_alu instid0(VALU_DEP_1) | instskip(NEXT) | instid1(VALU_DEP_1)
	v_mul_f32_e32 v4, v42, v4
	v_and_b32_e32 v5, 0x7f800000, v4
	s_delay_alu instid0(VALU_DEP_1)
	v_cmpx_ne_u32_e32 0x7f800000, v5
	s_xor_b32 s23, exec_lo, s23
; %bb.3619:                             ;   in Loop: Header=BB12_3286 Depth=2
	v_bfe_u32 v5, v4, 16, 1
	s_delay_alu instid0(VALU_DEP_1)
	v_add3_u32 v116, v4, v5, 0x7fff
                                        ; implicit-def: $vgpr4
; %bb.3620:                             ;   in Loop: Header=BB12_3286 Depth=2
	s_and_not1_saveexec_b32 s23, s23
; %bb.3621:                             ;   in Loop: Header=BB12_3286 Depth=2
	v_and_b32_e32 v5, 0xffff, v4
	v_or_b32_e32 v6, 0x10000, v4
	s_delay_alu instid0(VALU_DEP_2) | instskip(NEXT) | instid1(VALU_DEP_2)
	v_cmp_eq_u32_e32 vcc_lo, 0, v5
	v_cndmask_b32_e32 v116, v6, v4, vcc_lo
; %bb.3622:                             ;   in Loop: Header=BB12_3286 Depth=2
	s_or_b32 exec_lo, exec_lo, s23
	v_and_b32_e32 v4, 0xffff0000, v85
	s_mov_b32 s23, exec_lo
                                        ; implicit-def: $vgpr85
	s_delay_alu instid0(VALU_DEP_1) | instskip(NEXT) | instid1(VALU_DEP_1)
	v_mul_f32_e32 v4, v42, v4
	v_and_b32_e32 v5, 0x7f800000, v4
	s_delay_alu instid0(VALU_DEP_1)
	v_cmpx_ne_u32_e32 0x7f800000, v5
	s_xor_b32 s23, exec_lo, s23
; %bb.3623:                             ;   in Loop: Header=BB12_3286 Depth=2
	v_bfe_u32 v5, v4, 16, 1
	s_delay_alu instid0(VALU_DEP_1)
	v_add3_u32 v85, v4, v5, 0x7fff
                                        ; implicit-def: $vgpr4
; %bb.3624:                             ;   in Loop: Header=BB12_3286 Depth=2
	s_and_not1_saveexec_b32 s23, s23
; %bb.3625:                             ;   in Loop: Header=BB12_3286 Depth=2
	v_and_b32_e32 v5, 0xffff, v4
	v_or_b32_e32 v6, 0x10000, v4
	s_delay_alu instid0(VALU_DEP_2) | instskip(NEXT) | instid1(VALU_DEP_2)
	v_cmp_eq_u32_e32 vcc_lo, 0, v5
	v_cndmask_b32_e32 v85, v6, v4, vcc_lo
; %bb.3626:                             ;   in Loop: Header=BB12_3286 Depth=2
	s_or_b32 exec_lo, exec_lo, s23
	v_lshlrev_b32_e32 v4, 16, v86
	s_mov_b32 s23, exec_lo
                                        ; implicit-def: $vgpr117
	s_delay_alu instid0(VALU_DEP_1) | instskip(NEXT) | instid1(VALU_DEP_1)
	v_mul_f32_e32 v4, v42, v4
	v_and_b32_e32 v5, 0x7f800000, v4
	s_delay_alu instid0(VALU_DEP_1)
	v_cmpx_ne_u32_e32 0x7f800000, v5
	s_xor_b32 s23, exec_lo, s23
; %bb.3627:                             ;   in Loop: Header=BB12_3286 Depth=2
	v_bfe_u32 v5, v4, 16, 1
	s_delay_alu instid0(VALU_DEP_1)
	v_add3_u32 v117, v4, v5, 0x7fff
                                        ; implicit-def: $vgpr4
; %bb.3628:                             ;   in Loop: Header=BB12_3286 Depth=2
	s_and_not1_saveexec_b32 s23, s23
; %bb.3629:                             ;   in Loop: Header=BB12_3286 Depth=2
	v_and_b32_e32 v5, 0xffff, v4
	v_or_b32_e32 v6, 0x10000, v4
	s_delay_alu instid0(VALU_DEP_2) | instskip(NEXT) | instid1(VALU_DEP_2)
	v_cmp_eq_u32_e32 vcc_lo, 0, v5
	v_cndmask_b32_e32 v117, v6, v4, vcc_lo
; %bb.3630:                             ;   in Loop: Header=BB12_3286 Depth=2
	s_or_b32 exec_lo, exec_lo, s23
	v_and_b32_e32 v4, 0xffff0000, v86
	s_mov_b32 s23, exec_lo
                                        ; implicit-def: $vgpr86
	s_delay_alu instid0(VALU_DEP_1) | instskip(NEXT) | instid1(VALU_DEP_1)
	v_mul_f32_e32 v4, v42, v4
	v_and_b32_e32 v5, 0x7f800000, v4
	s_delay_alu instid0(VALU_DEP_1)
	v_cmpx_ne_u32_e32 0x7f800000, v5
	s_xor_b32 s23, exec_lo, s23
; %bb.3631:                             ;   in Loop: Header=BB12_3286 Depth=2
	v_bfe_u32 v5, v4, 16, 1
	s_delay_alu instid0(VALU_DEP_1)
	v_add3_u32 v86, v4, v5, 0x7fff
                                        ; implicit-def: $vgpr4
; %bb.3632:                             ;   in Loop: Header=BB12_3286 Depth=2
	s_and_not1_saveexec_b32 s23, s23
; %bb.3633:                             ;   in Loop: Header=BB12_3286 Depth=2
	v_and_b32_e32 v5, 0xffff, v4
	v_or_b32_e32 v6, 0x10000, v4
	s_delay_alu instid0(VALU_DEP_2) | instskip(NEXT) | instid1(VALU_DEP_2)
	v_cmp_eq_u32_e32 vcc_lo, 0, v5
	v_cndmask_b32_e32 v86, v6, v4, vcc_lo
; %bb.3634:                             ;   in Loop: Header=BB12_3286 Depth=2
	s_or_b32 exec_lo, exec_lo, s23
	v_lshlrev_b32_e32 v4, 16, v87
	s_mov_b32 s23, exec_lo
                                        ; implicit-def: $vgpr94
	s_delay_alu instid0(VALU_DEP_1) | instskip(NEXT) | instid1(VALU_DEP_1)
	v_mul_f32_e32 v4, v42, v4
	v_and_b32_e32 v5, 0x7f800000, v4
	s_delay_alu instid0(VALU_DEP_1)
	v_cmpx_ne_u32_e32 0x7f800000, v5
	s_xor_b32 s23, exec_lo, s23
; %bb.3635:                             ;   in Loop: Header=BB12_3286 Depth=2
	v_bfe_u32 v5, v4, 16, 1
	s_delay_alu instid0(VALU_DEP_1)
	v_add3_u32 v94, v4, v5, 0x7fff
                                        ; implicit-def: $vgpr4
; %bb.3636:                             ;   in Loop: Header=BB12_3286 Depth=2
	s_and_not1_saveexec_b32 s23, s23
; %bb.3637:                             ;   in Loop: Header=BB12_3286 Depth=2
	v_and_b32_e32 v5, 0xffff, v4
	v_or_b32_e32 v6, 0x10000, v4
	s_delay_alu instid0(VALU_DEP_2) | instskip(NEXT) | instid1(VALU_DEP_2)
	v_cmp_eq_u32_e32 vcc_lo, 0, v5
	v_cndmask_b32_e32 v94, v6, v4, vcc_lo
; %bb.3638:                             ;   in Loop: Header=BB12_3286 Depth=2
	s_or_b32 exec_lo, exec_lo, s23
	v_and_b32_e32 v4, 0xffff0000, v87
	s_mov_b32 s23, exec_lo
                                        ; implicit-def: $vgpr87
	s_delay_alu instid0(VALU_DEP_1) | instskip(NEXT) | instid1(VALU_DEP_1)
	v_mul_f32_e32 v4, v42, v4
	v_and_b32_e32 v5, 0x7f800000, v4
	s_delay_alu instid0(VALU_DEP_1)
	v_cmpx_ne_u32_e32 0x7f800000, v5
	s_xor_b32 s23, exec_lo, s23
; %bb.3639:                             ;   in Loop: Header=BB12_3286 Depth=2
	v_bfe_u32 v5, v4, 16, 1
	s_delay_alu instid0(VALU_DEP_1)
	v_add3_u32 v87, v4, v5, 0x7fff
                                        ; implicit-def: $vgpr4
; %bb.3640:                             ;   in Loop: Header=BB12_3286 Depth=2
	s_and_not1_saveexec_b32 s23, s23
; %bb.3641:                             ;   in Loop: Header=BB12_3286 Depth=2
	v_and_b32_e32 v5, 0xffff, v4
	v_or_b32_e32 v6, 0x10000, v4
	s_delay_alu instid0(VALU_DEP_2) | instskip(NEXT) | instid1(VALU_DEP_2)
	v_cmp_eq_u32_e32 vcc_lo, 0, v5
	v_cndmask_b32_e32 v87, v6, v4, vcc_lo
; %bb.3642:                             ;   in Loop: Header=BB12_3286 Depth=2
	s_or_b32 exec_lo, exec_lo, s23
	s_wait_loadcnt 0x4
	v_lshlrev_b32_e32 v4, 16, v80
	s_mov_b32 s23, exec_lo
                                        ; implicit-def: $vgpr95
	s_delay_alu instid0(VALU_DEP_1) | instskip(NEXT) | instid1(VALU_DEP_1)
	v_mul_f32_e32 v4, v42, v4
	v_and_b32_e32 v5, 0x7f800000, v4
	s_delay_alu instid0(VALU_DEP_1)
	v_cmpx_ne_u32_e32 0x7f800000, v5
	s_xor_b32 s23, exec_lo, s23
; %bb.3643:                             ;   in Loop: Header=BB12_3286 Depth=2
	v_bfe_u32 v5, v4, 16, 1
	s_delay_alu instid0(VALU_DEP_1)
	v_add3_u32 v95, v4, v5, 0x7fff
                                        ; implicit-def: $vgpr4
; %bb.3644:                             ;   in Loop: Header=BB12_3286 Depth=2
	s_and_not1_saveexec_b32 s23, s23
; %bb.3645:                             ;   in Loop: Header=BB12_3286 Depth=2
	v_and_b32_e32 v5, 0xffff, v4
	v_or_b32_e32 v6, 0x10000, v4
	s_delay_alu instid0(VALU_DEP_2) | instskip(NEXT) | instid1(VALU_DEP_2)
	v_cmp_eq_u32_e32 vcc_lo, 0, v5
	v_cndmask_b32_e32 v95, v6, v4, vcc_lo
; %bb.3646:                             ;   in Loop: Header=BB12_3286 Depth=2
	s_or_b32 exec_lo, exec_lo, s23
	v_and_b32_e32 v4, 0xffff0000, v80
	s_mov_b32 s23, exec_lo
                                        ; implicit-def: $vgpr80
	s_delay_alu instid0(VALU_DEP_1) | instskip(NEXT) | instid1(VALU_DEP_1)
	v_mul_f32_e32 v4, v42, v4
	v_and_b32_e32 v5, 0x7f800000, v4
	s_delay_alu instid0(VALU_DEP_1)
	v_cmpx_ne_u32_e32 0x7f800000, v5
	s_xor_b32 s23, exec_lo, s23
; %bb.3647:                             ;   in Loop: Header=BB12_3286 Depth=2
	v_bfe_u32 v5, v4, 16, 1
	s_delay_alu instid0(VALU_DEP_1)
	v_add3_u32 v80, v4, v5, 0x7fff
                                        ; implicit-def: $vgpr4
; %bb.3648:                             ;   in Loop: Header=BB12_3286 Depth=2
	s_and_not1_saveexec_b32 s23, s23
; %bb.3649:                             ;   in Loop: Header=BB12_3286 Depth=2
	v_and_b32_e32 v5, 0xffff, v4
	v_or_b32_e32 v6, 0x10000, v4
	s_delay_alu instid0(VALU_DEP_2) | instskip(NEXT) | instid1(VALU_DEP_2)
	v_cmp_eq_u32_e32 vcc_lo, 0, v5
	v_cndmask_b32_e32 v80, v6, v4, vcc_lo
; %bb.3650:                             ;   in Loop: Header=BB12_3286 Depth=2
	s_or_b32 exec_lo, exec_lo, s23
	v_lshlrev_b32_e32 v4, 16, v81
	s_mov_b32 s23, exec_lo
                                        ; implicit-def: $vgpr126
	s_delay_alu instid0(VALU_DEP_1) | instskip(NEXT) | instid1(VALU_DEP_1)
	v_mul_f32_e32 v4, v42, v4
	v_and_b32_e32 v5, 0x7f800000, v4
	s_delay_alu instid0(VALU_DEP_1)
	v_cmpx_ne_u32_e32 0x7f800000, v5
	s_xor_b32 s23, exec_lo, s23
; %bb.3651:                             ;   in Loop: Header=BB12_3286 Depth=2
	v_bfe_u32 v5, v4, 16, 1
	s_delay_alu instid0(VALU_DEP_1)
	v_add3_u32 v126, v4, v5, 0x7fff
                                        ; implicit-def: $vgpr4
; %bb.3652:                             ;   in Loop: Header=BB12_3286 Depth=2
	s_and_not1_saveexec_b32 s23, s23
; %bb.3653:                             ;   in Loop: Header=BB12_3286 Depth=2
	v_and_b32_e32 v5, 0xffff, v4
	v_or_b32_e32 v6, 0x10000, v4
	s_delay_alu instid0(VALU_DEP_2) | instskip(NEXT) | instid1(VALU_DEP_2)
	v_cmp_eq_u32_e32 vcc_lo, 0, v5
	v_cndmask_b32_e32 v126, v6, v4, vcc_lo
; %bb.3654:                             ;   in Loop: Header=BB12_3286 Depth=2
	s_or_b32 exec_lo, exec_lo, s23
	v_and_b32_e32 v4, 0xffff0000, v81
	s_mov_b32 s23, exec_lo
                                        ; implicit-def: $vgpr81
	s_delay_alu instid0(VALU_DEP_1) | instskip(NEXT) | instid1(VALU_DEP_1)
	v_mul_f32_e32 v4, v42, v4
	v_and_b32_e32 v5, 0x7f800000, v4
	s_delay_alu instid0(VALU_DEP_1)
	v_cmpx_ne_u32_e32 0x7f800000, v5
	s_xor_b32 s23, exec_lo, s23
; %bb.3655:                             ;   in Loop: Header=BB12_3286 Depth=2
	v_bfe_u32 v5, v4, 16, 1
	s_delay_alu instid0(VALU_DEP_1)
	v_add3_u32 v81, v4, v5, 0x7fff
                                        ; implicit-def: $vgpr4
; %bb.3656:                             ;   in Loop: Header=BB12_3286 Depth=2
	s_and_not1_saveexec_b32 s23, s23
; %bb.3657:                             ;   in Loop: Header=BB12_3286 Depth=2
	v_and_b32_e32 v5, 0xffff, v4
	v_or_b32_e32 v6, 0x10000, v4
	s_delay_alu instid0(VALU_DEP_2) | instskip(NEXT) | instid1(VALU_DEP_2)
	v_cmp_eq_u32_e32 vcc_lo, 0, v5
	v_cndmask_b32_e32 v81, v6, v4, vcc_lo
; %bb.3658:                             ;   in Loop: Header=BB12_3286 Depth=2
	s_or_b32 exec_lo, exec_lo, s23
	v_lshlrev_b32_e32 v4, 16, v82
	s_mov_b32 s23, exec_lo
                                        ; implicit-def: $vgpr62
	s_delay_alu instid0(VALU_DEP_1) | instskip(NEXT) | instid1(VALU_DEP_1)
	v_mul_f32_e32 v4, v42, v4
	v_and_b32_e32 v5, 0x7f800000, v4
	s_delay_alu instid0(VALU_DEP_1)
	v_cmpx_ne_u32_e32 0x7f800000, v5
	s_xor_b32 s23, exec_lo, s23
; %bb.3659:                             ;   in Loop: Header=BB12_3286 Depth=2
	v_bfe_u32 v5, v4, 16, 1
	s_delay_alu instid0(VALU_DEP_1)
	v_add3_u32 v62, v4, v5, 0x7fff
                                        ; implicit-def: $vgpr4
; %bb.3660:                             ;   in Loop: Header=BB12_3286 Depth=2
	s_and_not1_saveexec_b32 s23, s23
; %bb.3661:                             ;   in Loop: Header=BB12_3286 Depth=2
	v_and_b32_e32 v5, 0xffff, v4
	v_or_b32_e32 v6, 0x10000, v4
	s_delay_alu instid0(VALU_DEP_2) | instskip(NEXT) | instid1(VALU_DEP_2)
	v_cmp_eq_u32_e32 vcc_lo, 0, v5
	v_cndmask_b32_e32 v62, v6, v4, vcc_lo
; %bb.3662:                             ;   in Loop: Header=BB12_3286 Depth=2
	s_or_b32 exec_lo, exec_lo, s23
	v_and_b32_e32 v4, 0xffff0000, v82
	s_mov_b32 s23, exec_lo
                                        ; implicit-def: $vgpr82
	s_delay_alu instid0(VALU_DEP_1) | instskip(NEXT) | instid1(VALU_DEP_1)
	v_mul_f32_e32 v4, v42, v4
	v_and_b32_e32 v5, 0x7f800000, v4
	s_delay_alu instid0(VALU_DEP_1)
	v_cmpx_ne_u32_e32 0x7f800000, v5
	s_xor_b32 s23, exec_lo, s23
; %bb.3663:                             ;   in Loop: Header=BB12_3286 Depth=2
	v_bfe_u32 v5, v4, 16, 1
	s_delay_alu instid0(VALU_DEP_1)
	v_add3_u32 v82, v4, v5, 0x7fff
                                        ; implicit-def: $vgpr4
; %bb.3664:                             ;   in Loop: Header=BB12_3286 Depth=2
	s_and_not1_saveexec_b32 s23, s23
; %bb.3665:                             ;   in Loop: Header=BB12_3286 Depth=2
	v_and_b32_e32 v5, 0xffff, v4
	v_or_b32_e32 v6, 0x10000, v4
	s_delay_alu instid0(VALU_DEP_2) | instskip(NEXT) | instid1(VALU_DEP_2)
	v_cmp_eq_u32_e32 vcc_lo, 0, v5
	v_cndmask_b32_e32 v82, v6, v4, vcc_lo
; %bb.3666:                             ;   in Loop: Header=BB12_3286 Depth=2
	s_or_b32 exec_lo, exec_lo, s23
	v_lshlrev_b32_e32 v4, 16, v83
	s_mov_b32 s23, exec_lo
                                        ; implicit-def: $vgpr31
	s_delay_alu instid0(VALU_DEP_1) | instskip(NEXT) | instid1(VALU_DEP_1)
	v_mul_f32_e32 v4, v42, v4
	v_and_b32_e32 v5, 0x7f800000, v4
	s_delay_alu instid0(VALU_DEP_1)
	v_cmpx_ne_u32_e32 0x7f800000, v5
	s_xor_b32 s23, exec_lo, s23
; %bb.3667:                             ;   in Loop: Header=BB12_3286 Depth=2
	v_bfe_u32 v5, v4, 16, 1
	s_delay_alu instid0(VALU_DEP_1)
	v_add3_u32 v31, v4, v5, 0x7fff
                                        ; implicit-def: $vgpr4
; %bb.3668:                             ;   in Loop: Header=BB12_3286 Depth=2
	s_and_not1_saveexec_b32 s23, s23
; %bb.3669:                             ;   in Loop: Header=BB12_3286 Depth=2
	v_and_b32_e32 v5, 0xffff, v4
	v_or_b32_e32 v6, 0x10000, v4
	s_delay_alu instid0(VALU_DEP_2) | instskip(NEXT) | instid1(VALU_DEP_2)
	v_cmp_eq_u32_e32 vcc_lo, 0, v5
	v_cndmask_b32_e32 v31, v6, v4, vcc_lo
; %bb.3670:                             ;   in Loop: Header=BB12_3286 Depth=2
	s_or_b32 exec_lo, exec_lo, s23
	v_and_b32_e32 v4, 0xffff0000, v83
	s_mov_b32 s23, exec_lo
                                        ; implicit-def: $vgpr83
	s_delay_alu instid0(VALU_DEP_1) | instskip(NEXT) | instid1(VALU_DEP_1)
	v_mul_f32_e32 v4, v42, v4
	v_and_b32_e32 v5, 0x7f800000, v4
	s_delay_alu instid0(VALU_DEP_1)
	v_cmpx_ne_u32_e32 0x7f800000, v5
	s_xor_b32 s23, exec_lo, s23
; %bb.3671:                             ;   in Loop: Header=BB12_3286 Depth=2
	v_bfe_u32 v5, v4, 16, 1
	s_delay_alu instid0(VALU_DEP_1)
	v_add3_u32 v83, v4, v5, 0x7fff
                                        ; implicit-def: $vgpr4
; %bb.3672:                             ;   in Loop: Header=BB12_3286 Depth=2
	s_and_not1_saveexec_b32 s23, s23
; %bb.3673:                             ;   in Loop: Header=BB12_3286 Depth=2
	v_and_b32_e32 v5, 0xffff, v4
	v_or_b32_e32 v6, 0x10000, v4
	s_delay_alu instid0(VALU_DEP_2) | instskip(NEXT) | instid1(VALU_DEP_2)
	v_cmp_eq_u32_e32 vcc_lo, 0, v5
	v_cndmask_b32_e32 v83, v6, v4, vcc_lo
; %bb.3674:                             ;   in Loop: Header=BB12_3286 Depth=2
	s_or_b32 exec_lo, exec_lo, s23
	s_wait_loadcnt 0x3
	v_lshlrev_b32_e32 v4, 16, v64
	s_mov_b32 s23, exec_lo
                                        ; implicit-def: $vgpr76
	s_delay_alu instid0(VALU_DEP_1) | instskip(NEXT) | instid1(VALU_DEP_1)
	v_mul_f32_e32 v4, v42, v4
	v_and_b32_e32 v5, 0x7f800000, v4
	s_delay_alu instid0(VALU_DEP_1)
	v_cmpx_ne_u32_e32 0x7f800000, v5
	s_xor_b32 s23, exec_lo, s23
; %bb.3675:                             ;   in Loop: Header=BB12_3286 Depth=2
	v_bfe_u32 v5, v4, 16, 1
	s_delay_alu instid0(VALU_DEP_1)
	v_add3_u32 v76, v4, v5, 0x7fff
                                        ; implicit-def: $vgpr4
; %bb.3676:                             ;   in Loop: Header=BB12_3286 Depth=2
	s_and_not1_saveexec_b32 s23, s23
; %bb.3677:                             ;   in Loop: Header=BB12_3286 Depth=2
	v_and_b32_e32 v5, 0xffff, v4
	v_or_b32_e32 v6, 0x10000, v4
	s_delay_alu instid0(VALU_DEP_2) | instskip(NEXT) | instid1(VALU_DEP_2)
	v_cmp_eq_u32_e32 vcc_lo, 0, v5
	v_cndmask_b32_e32 v76, v6, v4, vcc_lo
; %bb.3678:                             ;   in Loop: Header=BB12_3286 Depth=2
	s_or_b32 exec_lo, exec_lo, s23
	v_and_b32_e32 v4, 0xffff0000, v64
	s_mov_b32 s23, exec_lo
                                        ; implicit-def: $vgpr64
	s_delay_alu instid0(VALU_DEP_1) | instskip(NEXT) | instid1(VALU_DEP_1)
	v_mul_f32_e32 v4, v42, v4
	v_and_b32_e32 v5, 0x7f800000, v4
	s_delay_alu instid0(VALU_DEP_1)
	v_cmpx_ne_u32_e32 0x7f800000, v5
	s_xor_b32 s23, exec_lo, s23
; %bb.3679:                             ;   in Loop: Header=BB12_3286 Depth=2
	v_bfe_u32 v5, v4, 16, 1
	s_delay_alu instid0(VALU_DEP_1)
	v_add3_u32 v64, v4, v5, 0x7fff
                                        ; implicit-def: $vgpr4
; %bb.3680:                             ;   in Loop: Header=BB12_3286 Depth=2
	s_and_not1_saveexec_b32 s23, s23
; %bb.3681:                             ;   in Loop: Header=BB12_3286 Depth=2
	v_and_b32_e32 v5, 0xffff, v4
	v_or_b32_e32 v6, 0x10000, v4
	s_delay_alu instid0(VALU_DEP_2) | instskip(NEXT) | instid1(VALU_DEP_2)
	v_cmp_eq_u32_e32 vcc_lo, 0, v5
	v_cndmask_b32_e32 v64, v6, v4, vcc_lo
; %bb.3682:                             ;   in Loop: Header=BB12_3286 Depth=2
	s_or_b32 exec_lo, exec_lo, s23
	v_lshlrev_b32_e32 v4, 16, v65
	s_mov_b32 s23, exec_lo
                                        ; implicit-def: $vgpr77
	s_delay_alu instid0(VALU_DEP_1) | instskip(NEXT) | instid1(VALU_DEP_1)
	v_mul_f32_e32 v4, v42, v4
	v_and_b32_e32 v5, 0x7f800000, v4
	s_delay_alu instid0(VALU_DEP_1)
	v_cmpx_ne_u32_e32 0x7f800000, v5
	s_xor_b32 s23, exec_lo, s23
; %bb.3683:                             ;   in Loop: Header=BB12_3286 Depth=2
	v_bfe_u32 v5, v4, 16, 1
	s_delay_alu instid0(VALU_DEP_1)
	v_add3_u32 v77, v4, v5, 0x7fff
                                        ; implicit-def: $vgpr4
; %bb.3684:                             ;   in Loop: Header=BB12_3286 Depth=2
	s_and_not1_saveexec_b32 s23, s23
; %bb.3685:                             ;   in Loop: Header=BB12_3286 Depth=2
	v_and_b32_e32 v5, 0xffff, v4
	v_or_b32_e32 v6, 0x10000, v4
	s_delay_alu instid0(VALU_DEP_2) | instskip(NEXT) | instid1(VALU_DEP_2)
	v_cmp_eq_u32_e32 vcc_lo, 0, v5
	v_cndmask_b32_e32 v77, v6, v4, vcc_lo
; %bb.3686:                             ;   in Loop: Header=BB12_3286 Depth=2
	s_or_b32 exec_lo, exec_lo, s23
	v_and_b32_e32 v4, 0xffff0000, v65
	s_mov_b32 s23, exec_lo
                                        ; implicit-def: $vgpr65
	s_delay_alu instid0(VALU_DEP_1) | instskip(NEXT) | instid1(VALU_DEP_1)
	v_mul_f32_e32 v4, v42, v4
	v_and_b32_e32 v5, 0x7f800000, v4
	s_delay_alu instid0(VALU_DEP_1)
	v_cmpx_ne_u32_e32 0x7f800000, v5
	s_xor_b32 s23, exec_lo, s23
; %bb.3687:                             ;   in Loop: Header=BB12_3286 Depth=2
	v_bfe_u32 v5, v4, 16, 1
	s_delay_alu instid0(VALU_DEP_1)
	v_add3_u32 v65, v4, v5, 0x7fff
                                        ; implicit-def: $vgpr4
; %bb.3688:                             ;   in Loop: Header=BB12_3286 Depth=2
	s_and_not1_saveexec_b32 s23, s23
; %bb.3689:                             ;   in Loop: Header=BB12_3286 Depth=2
	v_and_b32_e32 v5, 0xffff, v4
	v_or_b32_e32 v6, 0x10000, v4
	s_delay_alu instid0(VALU_DEP_2) | instskip(NEXT) | instid1(VALU_DEP_2)
	v_cmp_eq_u32_e32 vcc_lo, 0, v5
	v_cndmask_b32_e32 v65, v6, v4, vcc_lo
; %bb.3690:                             ;   in Loop: Header=BB12_3286 Depth=2
	s_or_b32 exec_lo, exec_lo, s23
	v_lshlrev_b32_e32 v4, 16, v66
	s_mov_b32 s23, exec_lo
                                        ; implicit-def: $vgpr111
	s_delay_alu instid0(VALU_DEP_1) | instskip(NEXT) | instid1(VALU_DEP_1)
	v_mul_f32_e32 v4, v42, v4
	v_and_b32_e32 v5, 0x7f800000, v4
	s_delay_alu instid0(VALU_DEP_1)
	v_cmpx_ne_u32_e32 0x7f800000, v5
	s_xor_b32 s23, exec_lo, s23
; %bb.3691:                             ;   in Loop: Header=BB12_3286 Depth=2
	v_bfe_u32 v5, v4, 16, 1
	s_delay_alu instid0(VALU_DEP_1)
	v_add3_u32 v111, v4, v5, 0x7fff
                                        ; implicit-def: $vgpr4
; %bb.3692:                             ;   in Loop: Header=BB12_3286 Depth=2
	s_and_not1_saveexec_b32 s23, s23
; %bb.3693:                             ;   in Loop: Header=BB12_3286 Depth=2
	v_and_b32_e32 v5, 0xffff, v4
	v_or_b32_e32 v6, 0x10000, v4
	s_delay_alu instid0(VALU_DEP_2) | instskip(NEXT) | instid1(VALU_DEP_2)
	v_cmp_eq_u32_e32 vcc_lo, 0, v5
	v_cndmask_b32_e32 v111, v6, v4, vcc_lo
; %bb.3694:                             ;   in Loop: Header=BB12_3286 Depth=2
	s_or_b32 exec_lo, exec_lo, s23
	v_and_b32_e32 v4, 0xffff0000, v66
	s_mov_b32 s23, exec_lo
                                        ; implicit-def: $vgpr66
	s_delay_alu instid0(VALU_DEP_1) | instskip(NEXT) | instid1(VALU_DEP_1)
	v_mul_f32_e32 v4, v42, v4
	v_and_b32_e32 v5, 0x7f800000, v4
	s_delay_alu instid0(VALU_DEP_1)
	v_cmpx_ne_u32_e32 0x7f800000, v5
	s_xor_b32 s23, exec_lo, s23
; %bb.3695:                             ;   in Loop: Header=BB12_3286 Depth=2
	v_bfe_u32 v5, v4, 16, 1
	s_delay_alu instid0(VALU_DEP_1)
	v_add3_u32 v66, v4, v5, 0x7fff
                                        ; implicit-def: $vgpr4
; %bb.3696:                             ;   in Loop: Header=BB12_3286 Depth=2
	s_and_not1_saveexec_b32 s23, s23
; %bb.3697:                             ;   in Loop: Header=BB12_3286 Depth=2
	v_and_b32_e32 v5, 0xffff, v4
	v_or_b32_e32 v6, 0x10000, v4
	s_delay_alu instid0(VALU_DEP_2) | instskip(NEXT) | instid1(VALU_DEP_2)
	v_cmp_eq_u32_e32 vcc_lo, 0, v5
	v_cndmask_b32_e32 v66, v6, v4, vcc_lo
; %bb.3698:                             ;   in Loop: Header=BB12_3286 Depth=2
	s_or_b32 exec_lo, exec_lo, s23
	v_lshlrev_b32_e32 v4, 16, v67
	s_mov_b32 s23, exec_lo
                                        ; implicit-def: $vgpr120
	s_delay_alu instid0(VALU_DEP_1) | instskip(NEXT) | instid1(VALU_DEP_1)
	v_mul_f32_e32 v4, v42, v4
	v_and_b32_e32 v5, 0x7f800000, v4
	s_delay_alu instid0(VALU_DEP_1)
	v_cmpx_ne_u32_e32 0x7f800000, v5
	s_xor_b32 s23, exec_lo, s23
; %bb.3699:                             ;   in Loop: Header=BB12_3286 Depth=2
	v_bfe_u32 v5, v4, 16, 1
	s_delay_alu instid0(VALU_DEP_1)
	v_add3_u32 v120, v4, v5, 0x7fff
                                        ; implicit-def: $vgpr4
; %bb.3700:                             ;   in Loop: Header=BB12_3286 Depth=2
	s_and_not1_saveexec_b32 s23, s23
; %bb.3701:                             ;   in Loop: Header=BB12_3286 Depth=2
	v_and_b32_e32 v5, 0xffff, v4
	v_or_b32_e32 v6, 0x10000, v4
	s_delay_alu instid0(VALU_DEP_2) | instskip(NEXT) | instid1(VALU_DEP_2)
	v_cmp_eq_u32_e32 vcc_lo, 0, v5
	v_cndmask_b32_e32 v120, v6, v4, vcc_lo
; %bb.3702:                             ;   in Loop: Header=BB12_3286 Depth=2
	s_or_b32 exec_lo, exec_lo, s23
	v_and_b32_e32 v4, 0xffff0000, v67
	s_mov_b32 s23, exec_lo
                                        ; implicit-def: $vgpr67
	s_delay_alu instid0(VALU_DEP_1) | instskip(NEXT) | instid1(VALU_DEP_1)
	v_mul_f32_e32 v4, v42, v4
	v_and_b32_e32 v5, 0x7f800000, v4
	s_delay_alu instid0(VALU_DEP_1)
	v_cmpx_ne_u32_e32 0x7f800000, v5
	s_xor_b32 s23, exec_lo, s23
; %bb.3703:                             ;   in Loop: Header=BB12_3286 Depth=2
	v_bfe_u32 v5, v4, 16, 1
	s_delay_alu instid0(VALU_DEP_1)
	v_add3_u32 v67, v4, v5, 0x7fff
                                        ; implicit-def: $vgpr4
; %bb.3704:                             ;   in Loop: Header=BB12_3286 Depth=2
	s_and_not1_saveexec_b32 s23, s23
; %bb.3705:                             ;   in Loop: Header=BB12_3286 Depth=2
	v_and_b32_e32 v5, 0xffff, v4
	v_or_b32_e32 v6, 0x10000, v4
	s_delay_alu instid0(VALU_DEP_2) | instskip(NEXT) | instid1(VALU_DEP_2)
	v_cmp_eq_u32_e32 vcc_lo, 0, v5
	v_cndmask_b32_e32 v67, v6, v4, vcc_lo
; %bb.3706:                             ;   in Loop: Header=BB12_3286 Depth=2
	s_or_b32 exec_lo, exec_lo, s23
	s_wait_loadcnt 0x2
	v_lshlrev_b32_e32 v4, 16, v52
	s_mov_b32 s23, exec_lo
                                        ; implicit-def: $vgpr121
	s_delay_alu instid0(VALU_DEP_1) | instskip(NEXT) | instid1(VALU_DEP_1)
	v_mul_f32_e32 v4, v42, v4
	v_and_b32_e32 v5, 0x7f800000, v4
	s_delay_alu instid0(VALU_DEP_1)
	v_cmpx_ne_u32_e32 0x7f800000, v5
	s_xor_b32 s23, exec_lo, s23
; %bb.3707:                             ;   in Loop: Header=BB12_3286 Depth=2
	v_bfe_u32 v5, v4, 16, 1
	s_delay_alu instid0(VALU_DEP_1)
	v_add3_u32 v121, v4, v5, 0x7fff
                                        ; implicit-def: $vgpr4
; %bb.3708:                             ;   in Loop: Header=BB12_3286 Depth=2
	s_and_not1_saveexec_b32 s23, s23
; %bb.3709:                             ;   in Loop: Header=BB12_3286 Depth=2
	v_and_b32_e32 v5, 0xffff, v4
	v_or_b32_e32 v6, 0x10000, v4
	s_delay_alu instid0(VALU_DEP_2) | instskip(NEXT) | instid1(VALU_DEP_2)
	v_cmp_eq_u32_e32 vcc_lo, 0, v5
	v_cndmask_b32_e32 v121, v6, v4, vcc_lo
; %bb.3710:                             ;   in Loop: Header=BB12_3286 Depth=2
	s_or_b32 exec_lo, exec_lo, s23
	v_and_b32_e32 v4, 0xffff0000, v52
	s_mov_b32 s23, exec_lo
                                        ; implicit-def: $vgpr52
	s_delay_alu instid0(VALU_DEP_1) | instskip(NEXT) | instid1(VALU_DEP_1)
	v_mul_f32_e32 v4, v42, v4
	v_and_b32_e32 v5, 0x7f800000, v4
	s_delay_alu instid0(VALU_DEP_1)
	v_cmpx_ne_u32_e32 0x7f800000, v5
	s_xor_b32 s23, exec_lo, s23
; %bb.3711:                             ;   in Loop: Header=BB12_3286 Depth=2
	v_bfe_u32 v5, v4, 16, 1
	s_delay_alu instid0(VALU_DEP_1)
	v_add3_u32 v52, v4, v5, 0x7fff
                                        ; implicit-def: $vgpr4
; %bb.3712:                             ;   in Loop: Header=BB12_3286 Depth=2
	s_and_not1_saveexec_b32 s23, s23
; %bb.3713:                             ;   in Loop: Header=BB12_3286 Depth=2
	v_and_b32_e32 v5, 0xffff, v4
	v_or_b32_e32 v6, 0x10000, v4
	s_delay_alu instid0(VALU_DEP_2) | instskip(NEXT) | instid1(VALU_DEP_2)
	v_cmp_eq_u32_e32 vcc_lo, 0, v5
	v_cndmask_b32_e32 v52, v6, v4, vcc_lo
; %bb.3714:                             ;   in Loop: Header=BB12_3286 Depth=2
	s_or_b32 exec_lo, exec_lo, s23
	v_lshlrev_b32_e32 v4, 16, v53
	s_mov_b32 s23, exec_lo
                                        ; implicit-def: $vgpr58
	s_delay_alu instid0(VALU_DEP_1) | instskip(NEXT) | instid1(VALU_DEP_1)
	v_mul_f32_e32 v4, v42, v4
	v_and_b32_e32 v5, 0x7f800000, v4
	s_delay_alu instid0(VALU_DEP_1)
	v_cmpx_ne_u32_e32 0x7f800000, v5
	s_xor_b32 s23, exec_lo, s23
; %bb.3715:                             ;   in Loop: Header=BB12_3286 Depth=2
	v_bfe_u32 v5, v4, 16, 1
	s_delay_alu instid0(VALU_DEP_1)
	v_add3_u32 v58, v4, v5, 0x7fff
                                        ; implicit-def: $vgpr4
; %bb.3716:                             ;   in Loop: Header=BB12_3286 Depth=2
	s_and_not1_saveexec_b32 s23, s23
; %bb.3717:                             ;   in Loop: Header=BB12_3286 Depth=2
	v_and_b32_e32 v5, 0xffff, v4
	v_or_b32_e32 v6, 0x10000, v4
	s_delay_alu instid0(VALU_DEP_2) | instskip(NEXT) | instid1(VALU_DEP_2)
	v_cmp_eq_u32_e32 vcc_lo, 0, v5
	v_cndmask_b32_e32 v58, v6, v4, vcc_lo
; %bb.3718:                             ;   in Loop: Header=BB12_3286 Depth=2
	s_or_b32 exec_lo, exec_lo, s23
	v_and_b32_e32 v4, 0xffff0000, v53
	s_mov_b32 s23, exec_lo
                                        ; implicit-def: $vgpr53
	s_delay_alu instid0(VALU_DEP_1) | instskip(NEXT) | instid1(VALU_DEP_1)
	v_mul_f32_e32 v4, v42, v4
	v_and_b32_e32 v5, 0x7f800000, v4
	s_delay_alu instid0(VALU_DEP_1)
	v_cmpx_ne_u32_e32 0x7f800000, v5
	s_xor_b32 s23, exec_lo, s23
; %bb.3719:                             ;   in Loop: Header=BB12_3286 Depth=2
	v_bfe_u32 v5, v4, 16, 1
	s_delay_alu instid0(VALU_DEP_1)
	v_add3_u32 v53, v4, v5, 0x7fff
                                        ; implicit-def: $vgpr4
; %bb.3720:                             ;   in Loop: Header=BB12_3286 Depth=2
	s_and_not1_saveexec_b32 s23, s23
; %bb.3721:                             ;   in Loop: Header=BB12_3286 Depth=2
	v_and_b32_e32 v5, 0xffff, v4
	v_or_b32_e32 v6, 0x10000, v4
	s_delay_alu instid0(VALU_DEP_2) | instskip(NEXT) | instid1(VALU_DEP_2)
	v_cmp_eq_u32_e32 vcc_lo, 0, v5
	v_cndmask_b32_e32 v53, v6, v4, vcc_lo
; %bb.3722:                             ;   in Loop: Header=BB12_3286 Depth=2
	s_or_b32 exec_lo, exec_lo, s23
	v_lshlrev_b32_e32 v4, 16, v54
	s_mov_b32 s23, exec_lo
                                        ; implicit-def: $vgpr59
	s_delay_alu instid0(VALU_DEP_1) | instskip(NEXT) | instid1(VALU_DEP_1)
	v_mul_f32_e32 v4, v42, v4
	v_and_b32_e32 v5, 0x7f800000, v4
	s_delay_alu instid0(VALU_DEP_1)
	v_cmpx_ne_u32_e32 0x7f800000, v5
	s_xor_b32 s23, exec_lo, s23
; %bb.3723:                             ;   in Loop: Header=BB12_3286 Depth=2
	v_bfe_u32 v5, v4, 16, 1
	s_delay_alu instid0(VALU_DEP_1)
	v_add3_u32 v59, v4, v5, 0x7fff
                                        ; implicit-def: $vgpr4
; %bb.3724:                             ;   in Loop: Header=BB12_3286 Depth=2
	s_and_not1_saveexec_b32 s23, s23
; %bb.3725:                             ;   in Loop: Header=BB12_3286 Depth=2
	v_and_b32_e32 v5, 0xffff, v4
	v_or_b32_e32 v6, 0x10000, v4
	s_delay_alu instid0(VALU_DEP_2) | instskip(NEXT) | instid1(VALU_DEP_2)
	v_cmp_eq_u32_e32 vcc_lo, 0, v5
	v_cndmask_b32_e32 v59, v6, v4, vcc_lo
; %bb.3726:                             ;   in Loop: Header=BB12_3286 Depth=2
	s_or_b32 exec_lo, exec_lo, s23
	v_and_b32_e32 v4, 0xffff0000, v54
	s_mov_b32 s23, exec_lo
                                        ; implicit-def: $vgpr54
	s_delay_alu instid0(VALU_DEP_1) | instskip(NEXT) | instid1(VALU_DEP_1)
	v_mul_f32_e32 v4, v42, v4
	v_and_b32_e32 v5, 0x7f800000, v4
	s_delay_alu instid0(VALU_DEP_1)
	v_cmpx_ne_u32_e32 0x7f800000, v5
	s_xor_b32 s23, exec_lo, s23
; %bb.3727:                             ;   in Loop: Header=BB12_3286 Depth=2
	v_bfe_u32 v5, v4, 16, 1
	s_delay_alu instid0(VALU_DEP_1)
	v_add3_u32 v54, v4, v5, 0x7fff
                                        ; implicit-def: $vgpr4
; %bb.3728:                             ;   in Loop: Header=BB12_3286 Depth=2
	s_and_not1_saveexec_b32 s23, s23
; %bb.3729:                             ;   in Loop: Header=BB12_3286 Depth=2
	v_and_b32_e32 v5, 0xffff, v4
	v_or_b32_e32 v6, 0x10000, v4
	s_delay_alu instid0(VALU_DEP_2) | instskip(NEXT) | instid1(VALU_DEP_2)
	v_cmp_eq_u32_e32 vcc_lo, 0, v5
	v_cndmask_b32_e32 v54, v6, v4, vcc_lo
; %bb.3730:                             ;   in Loop: Header=BB12_3286 Depth=2
	s_or_b32 exec_lo, exec_lo, s23
	v_lshlrev_b32_e32 v4, 16, v55
	s_delay_alu instid0(VALU_DEP_1) | instskip(NEXT) | instid1(VALU_DEP_1)
	v_mul_f32_e32 v5, v42, v4
	v_and_b32_e32 v4, 0x7f800000, v5
	s_delay_alu instid0(VALU_DEP_1) | instskip(SKIP_1) | instid1(SALU_CYCLE_1)
	v_cmp_ne_u32_e32 vcc_lo, 0x7f800000, v4
                                        ; implicit-def: $vgpr4
	s_and_saveexec_b32 s23, vcc_lo
	s_xor_b32 s23, exec_lo, s23
; %bb.3731:                             ;   in Loop: Header=BB12_3286 Depth=2
	v_bfe_u32 v4, v5, 16, 1
	s_delay_alu instid0(VALU_DEP_1)
	v_add3_u32 v4, v5, v4, 0x7fff
                                        ; implicit-def: $vgpr5
; %bb.3732:                             ;   in Loop: Header=BB12_3286 Depth=2
	s_and_not1_saveexec_b32 s23, s23
; %bb.3733:                             ;   in Loop: Header=BB12_3286 Depth=2
	v_and_b32_e32 v4, 0xffff, v5
	v_or_b32_e32 v6, 0x10000, v5
	s_delay_alu instid0(VALU_DEP_2) | instskip(NEXT) | instid1(VALU_DEP_2)
	v_cmp_eq_u32_e32 vcc_lo, 0, v4
	v_cndmask_b32_e32 v4, v6, v5, vcc_lo
; %bb.3734:                             ;   in Loop: Header=BB12_3286 Depth=2
	s_or_b32 exec_lo, exec_lo, s23
	v_and_b32_e32 v5, 0xffff0000, v55
	s_delay_alu instid0(VALU_DEP_1) | instskip(NEXT) | instid1(VALU_DEP_1)
	v_mul_f32_e32 v6, v42, v5
	v_and_b32_e32 v5, 0x7f800000, v6
	s_delay_alu instid0(VALU_DEP_1) | instskip(SKIP_1) | instid1(SALU_CYCLE_1)
	v_cmp_ne_u32_e32 vcc_lo, 0x7f800000, v5
                                        ; implicit-def: $vgpr5
	s_and_saveexec_b32 s23, vcc_lo
	s_xor_b32 s23, exec_lo, s23
; %bb.3735:                             ;   in Loop: Header=BB12_3286 Depth=2
	v_bfe_u32 v5, v6, 16, 1
	s_delay_alu instid0(VALU_DEP_1)
	v_add3_u32 v5, v6, v5, 0x7fff
                                        ; implicit-def: $vgpr6
; %bb.3736:                             ;   in Loop: Header=BB12_3286 Depth=2
	s_and_not1_saveexec_b32 s23, s23
; %bb.3737:                             ;   in Loop: Header=BB12_3286 Depth=2
	v_and_b32_e32 v5, 0xffff, v6
	v_or_b32_e32 v7, 0x10000, v6
	s_delay_alu instid0(VALU_DEP_2) | instskip(NEXT) | instid1(VALU_DEP_2)
	v_cmp_eq_u32_e32 vcc_lo, 0, v5
	v_cndmask_b32_e32 v5, v7, v6, vcc_lo
; %bb.3738:                             ;   in Loop: Header=BB12_3286 Depth=2
	s_or_b32 exec_lo, exec_lo, s23
	s_wait_loadcnt 0x1
	v_lshlrev_b32_e32 v6, 16, v36
	s_mov_b32 s23, exec_lo
                                        ; implicit-def: $vgpr55
	s_delay_alu instid0(VALU_DEP_1) | instskip(NEXT) | instid1(VALU_DEP_1)
	v_mul_f32_e32 v6, v42, v6
	v_and_b32_e32 v7, 0x7f800000, v6
	s_delay_alu instid0(VALU_DEP_1)
	v_cmpx_ne_u32_e32 0x7f800000, v7
	s_xor_b32 s23, exec_lo, s23
; %bb.3739:                             ;   in Loop: Header=BB12_3286 Depth=2
	v_bfe_u32 v7, v6, 16, 1
	s_delay_alu instid0(VALU_DEP_1)
	v_add3_u32 v55, v6, v7, 0x7fff
                                        ; implicit-def: $vgpr6
; %bb.3740:                             ;   in Loop: Header=BB12_3286 Depth=2
	s_and_not1_saveexec_b32 s23, s23
; %bb.3741:                             ;   in Loop: Header=BB12_3286 Depth=2
	v_and_b32_e32 v7, 0xffff, v6
	v_or_b32_e32 v8, 0x10000, v6
	s_delay_alu instid0(VALU_DEP_2) | instskip(NEXT) | instid1(VALU_DEP_2)
	v_cmp_eq_u32_e32 vcc_lo, 0, v7
	v_cndmask_b32_e32 v55, v8, v6, vcc_lo
; %bb.3742:                             ;   in Loop: Header=BB12_3286 Depth=2
	s_or_b32 exec_lo, exec_lo, s23
	v_and_b32_e32 v6, 0xffff0000, v36
	s_mov_b32 s23, exec_lo
                                        ; implicit-def: $vgpr36
	s_delay_alu instid0(VALU_DEP_1) | instskip(NEXT) | instid1(VALU_DEP_1)
	v_mul_f32_e32 v6, v42, v6
	v_and_b32_e32 v7, 0x7f800000, v6
	s_delay_alu instid0(VALU_DEP_1)
	v_cmpx_ne_u32_e32 0x7f800000, v7
	s_xor_b32 s23, exec_lo, s23
; %bb.3743:                             ;   in Loop: Header=BB12_3286 Depth=2
	v_bfe_u32 v7, v6, 16, 1
	s_delay_alu instid0(VALU_DEP_1)
	v_add3_u32 v36, v6, v7, 0x7fff
                                        ; implicit-def: $vgpr6
; %bb.3744:                             ;   in Loop: Header=BB12_3286 Depth=2
	s_and_not1_saveexec_b32 s23, s23
; %bb.3745:                             ;   in Loop: Header=BB12_3286 Depth=2
	v_and_b32_e32 v7, 0xffff, v6
	v_or_b32_e32 v8, 0x10000, v6
	s_delay_alu instid0(VALU_DEP_2) | instskip(NEXT) | instid1(VALU_DEP_2)
	v_cmp_eq_u32_e32 vcc_lo, 0, v7
	v_cndmask_b32_e32 v36, v8, v6, vcc_lo
; %bb.3746:                             ;   in Loop: Header=BB12_3286 Depth=2
	s_or_b32 exec_lo, exec_lo, s23
	v_lshlrev_b32_e32 v6, 16, v37
	s_mov_b32 s23, exec_lo
                                        ; implicit-def: $vgpr106
	s_delay_alu instid0(VALU_DEP_1) | instskip(NEXT) | instid1(VALU_DEP_1)
	v_mul_f32_e32 v6, v42, v6
	v_and_b32_e32 v7, 0x7f800000, v6
	s_delay_alu instid0(VALU_DEP_1)
	v_cmpx_ne_u32_e32 0x7f800000, v7
	s_xor_b32 s23, exec_lo, s23
; %bb.3747:                             ;   in Loop: Header=BB12_3286 Depth=2
	v_bfe_u32 v7, v6, 16, 1
	s_delay_alu instid0(VALU_DEP_1)
	v_add3_u32 v106, v6, v7, 0x7fff
                                        ; implicit-def: $vgpr6
; %bb.3748:                             ;   in Loop: Header=BB12_3286 Depth=2
	s_and_not1_saveexec_b32 s23, s23
; %bb.3749:                             ;   in Loop: Header=BB12_3286 Depth=2
	v_and_b32_e32 v7, 0xffff, v6
	v_or_b32_e32 v8, 0x10000, v6
	s_delay_alu instid0(VALU_DEP_2) | instskip(NEXT) | instid1(VALU_DEP_2)
	v_cmp_eq_u32_e32 vcc_lo, 0, v7
	v_cndmask_b32_e32 v106, v8, v6, vcc_lo
; %bb.3750:                             ;   in Loop: Header=BB12_3286 Depth=2
	s_or_b32 exec_lo, exec_lo, s23
	v_and_b32_e32 v6, 0xffff0000, v37
	s_mov_b32 s23, exec_lo
                                        ; implicit-def: $vgpr37
	s_delay_alu instid0(VALU_DEP_1) | instskip(NEXT) | instid1(VALU_DEP_1)
	v_mul_f32_e32 v6, v42, v6
	v_and_b32_e32 v7, 0x7f800000, v6
	s_delay_alu instid0(VALU_DEP_1)
	v_cmpx_ne_u32_e32 0x7f800000, v7
	s_xor_b32 s23, exec_lo, s23
; %bb.3751:                             ;   in Loop: Header=BB12_3286 Depth=2
	v_bfe_u32 v7, v6, 16, 1
	s_delay_alu instid0(VALU_DEP_1)
	v_add3_u32 v37, v6, v7, 0x7fff
                                        ; implicit-def: $vgpr6
; %bb.3752:                             ;   in Loop: Header=BB12_3286 Depth=2
	s_and_not1_saveexec_b32 s23, s23
; %bb.3753:                             ;   in Loop: Header=BB12_3286 Depth=2
	v_and_b32_e32 v7, 0xffff, v6
	v_or_b32_e32 v8, 0x10000, v6
	s_delay_alu instid0(VALU_DEP_2) | instskip(NEXT) | instid1(VALU_DEP_2)
	v_cmp_eq_u32_e32 vcc_lo, 0, v7
	v_cndmask_b32_e32 v37, v8, v6, vcc_lo
; %bb.3754:                             ;   in Loop: Header=BB12_3286 Depth=2
	s_or_b32 exec_lo, exec_lo, s23
	v_lshlrev_b32_e32 v6, 16, v38
	s_mov_b32 s23, exec_lo
                                        ; implicit-def: $vgpr107
	s_delay_alu instid0(VALU_DEP_1) | instskip(NEXT) | instid1(VALU_DEP_1)
	v_mul_f32_e32 v6, v42, v6
	v_and_b32_e32 v7, 0x7f800000, v6
	s_delay_alu instid0(VALU_DEP_1)
	v_cmpx_ne_u32_e32 0x7f800000, v7
	s_xor_b32 s23, exec_lo, s23
; %bb.3755:                             ;   in Loop: Header=BB12_3286 Depth=2
	v_bfe_u32 v7, v6, 16, 1
	s_delay_alu instid0(VALU_DEP_1)
	v_add3_u32 v107, v6, v7, 0x7fff
                                        ; implicit-def: $vgpr6
; %bb.3756:                             ;   in Loop: Header=BB12_3286 Depth=2
	s_and_not1_saveexec_b32 s23, s23
; %bb.3757:                             ;   in Loop: Header=BB12_3286 Depth=2
	v_and_b32_e32 v7, 0xffff, v6
	v_or_b32_e32 v8, 0x10000, v6
	s_delay_alu instid0(VALU_DEP_2) | instskip(NEXT) | instid1(VALU_DEP_2)
	v_cmp_eq_u32_e32 vcc_lo, 0, v7
	v_cndmask_b32_e32 v107, v8, v6, vcc_lo
; %bb.3758:                             ;   in Loop: Header=BB12_3286 Depth=2
	s_or_b32 exec_lo, exec_lo, s23
	v_and_b32_e32 v6, 0xffff0000, v38
	s_mov_b32 s23, exec_lo
                                        ; implicit-def: $vgpr38
	s_delay_alu instid0(VALU_DEP_1) | instskip(NEXT) | instid1(VALU_DEP_1)
	v_mul_f32_e32 v6, v42, v6
	v_and_b32_e32 v7, 0x7f800000, v6
	s_delay_alu instid0(VALU_DEP_1)
	v_cmpx_ne_u32_e32 0x7f800000, v7
	s_xor_b32 s23, exec_lo, s23
; %bb.3759:                             ;   in Loop: Header=BB12_3286 Depth=2
	v_bfe_u32 v7, v6, 16, 1
	s_delay_alu instid0(VALU_DEP_1)
	v_add3_u32 v38, v6, v7, 0x7fff
                                        ; implicit-def: $vgpr6
; %bb.3760:                             ;   in Loop: Header=BB12_3286 Depth=2
	s_and_not1_saveexec_b32 s23, s23
; %bb.3761:                             ;   in Loop: Header=BB12_3286 Depth=2
	v_and_b32_e32 v7, 0xffff, v6
	v_or_b32_e32 v8, 0x10000, v6
	s_delay_alu instid0(VALU_DEP_2) | instskip(NEXT) | instid1(VALU_DEP_2)
	v_cmp_eq_u32_e32 vcc_lo, 0, v7
	v_cndmask_b32_e32 v38, v8, v6, vcc_lo
; %bb.3762:                             ;   in Loop: Header=BB12_3286 Depth=2
	s_or_b32 exec_lo, exec_lo, s23
	v_lshlrev_b32_e32 v6, 16, v39
	s_mov_b32 s23, exec_lo
                                        ; implicit-def: $vgpr123
	s_delay_alu instid0(VALU_DEP_1) | instskip(NEXT) | instid1(VALU_DEP_1)
	v_mul_f32_e32 v6, v42, v6
	v_and_b32_e32 v7, 0x7f800000, v6
	s_delay_alu instid0(VALU_DEP_1)
	v_cmpx_ne_u32_e32 0x7f800000, v7
	s_xor_b32 s23, exec_lo, s23
; %bb.3763:                             ;   in Loop: Header=BB12_3286 Depth=2
	v_bfe_u32 v7, v6, 16, 1
	s_delay_alu instid0(VALU_DEP_1)
	v_add3_u32 v123, v6, v7, 0x7fff
                                        ; implicit-def: $vgpr6
; %bb.3764:                             ;   in Loop: Header=BB12_3286 Depth=2
	s_and_not1_saveexec_b32 s23, s23
; %bb.3765:                             ;   in Loop: Header=BB12_3286 Depth=2
	v_and_b32_e32 v7, 0xffff, v6
	v_or_b32_e32 v8, 0x10000, v6
	s_delay_alu instid0(VALU_DEP_2) | instskip(NEXT) | instid1(VALU_DEP_2)
	v_cmp_eq_u32_e32 vcc_lo, 0, v7
	v_cndmask_b32_e32 v123, v8, v6, vcc_lo
; %bb.3766:                             ;   in Loop: Header=BB12_3286 Depth=2
	s_or_b32 exec_lo, exec_lo, s23
	v_and_b32_e32 v6, 0xffff0000, v39
	s_mov_b32 s23, exec_lo
                                        ; implicit-def: $vgpr39
	s_delay_alu instid0(VALU_DEP_1) | instskip(NEXT) | instid1(VALU_DEP_1)
	v_mul_f32_e32 v6, v42, v6
	v_and_b32_e32 v7, 0x7f800000, v6
	s_delay_alu instid0(VALU_DEP_1)
	v_cmpx_ne_u32_e32 0x7f800000, v7
	s_xor_b32 s23, exec_lo, s23
; %bb.3767:                             ;   in Loop: Header=BB12_3286 Depth=2
	v_bfe_u32 v7, v6, 16, 1
	s_delay_alu instid0(VALU_DEP_1)
	v_add3_u32 v39, v6, v7, 0x7fff
                                        ; implicit-def: $vgpr6
; %bb.3768:                             ;   in Loop: Header=BB12_3286 Depth=2
	s_and_not1_saveexec_b32 s23, s23
; %bb.3769:                             ;   in Loop: Header=BB12_3286 Depth=2
	v_and_b32_e32 v7, 0xffff, v6
	v_or_b32_e32 v8, 0x10000, v6
	s_delay_alu instid0(VALU_DEP_2) | instskip(NEXT) | instid1(VALU_DEP_2)
	v_cmp_eq_u32_e32 vcc_lo, 0, v7
	v_cndmask_b32_e32 v39, v8, v6, vcc_lo
; %bb.3770:                             ;   in Loop: Header=BB12_3286 Depth=2
	s_or_b32 exec_lo, exec_lo, s23
	s_wait_loadcnt 0x0
	v_lshlrev_b32_e32 v6, 16, v32
	s_mov_b32 s23, exec_lo
                                        ; implicit-def: $vgpr122
	s_delay_alu instid0(VALU_DEP_1) | instskip(NEXT) | instid1(VALU_DEP_1)
	v_mul_f32_e32 v6, v42, v6
	v_and_b32_e32 v7, 0x7f800000, v6
	s_delay_alu instid0(VALU_DEP_1)
	v_cmpx_ne_u32_e32 0x7f800000, v7
	s_xor_b32 s23, exec_lo, s23
; %bb.3771:                             ;   in Loop: Header=BB12_3286 Depth=2
	v_bfe_u32 v7, v6, 16, 1
	s_delay_alu instid0(VALU_DEP_1)
	v_add3_u32 v122, v6, v7, 0x7fff
                                        ; implicit-def: $vgpr6
; %bb.3772:                             ;   in Loop: Header=BB12_3286 Depth=2
	s_and_not1_saveexec_b32 s23, s23
; %bb.3773:                             ;   in Loop: Header=BB12_3286 Depth=2
	v_and_b32_e32 v7, 0xffff, v6
	v_or_b32_e32 v8, 0x10000, v6
	s_delay_alu instid0(VALU_DEP_2) | instskip(NEXT) | instid1(VALU_DEP_2)
	v_cmp_eq_u32_e32 vcc_lo, 0, v7
	v_cndmask_b32_e32 v122, v8, v6, vcc_lo
; %bb.3774:                             ;   in Loop: Header=BB12_3286 Depth=2
	s_or_b32 exec_lo, exec_lo, s23
	v_and_b32_e32 v6, 0xffff0000, v32
	s_mov_b32 s23, exec_lo
                                        ; implicit-def: $vgpr56
	s_delay_alu instid0(VALU_DEP_1) | instskip(NEXT) | instid1(VALU_DEP_1)
	v_mul_f32_e32 v6, v42, v6
	v_and_b32_e32 v7, 0x7f800000, v6
	s_delay_alu instid0(VALU_DEP_1)
	v_cmpx_ne_u32_e32 0x7f800000, v7
	s_xor_b32 s23, exec_lo, s23
; %bb.3775:                             ;   in Loop: Header=BB12_3286 Depth=2
	v_bfe_u32 v7, v6, 16, 1
	s_delay_alu instid0(VALU_DEP_1)
	v_add3_u32 v56, v6, v7, 0x7fff
                                        ; implicit-def: $vgpr6
; %bb.3776:                             ;   in Loop: Header=BB12_3286 Depth=2
	s_and_not1_saveexec_b32 s23, s23
; %bb.3777:                             ;   in Loop: Header=BB12_3286 Depth=2
	v_and_b32_e32 v7, 0xffff, v6
	v_or_b32_e32 v8, 0x10000, v6
	s_delay_alu instid0(VALU_DEP_2) | instskip(NEXT) | instid1(VALU_DEP_2)
	v_cmp_eq_u32_e32 vcc_lo, 0, v7
	v_cndmask_b32_e32 v56, v8, v6, vcc_lo
; %bb.3778:                             ;   in Loop: Header=BB12_3286 Depth=2
	s_or_b32 exec_lo, exec_lo, s23
	v_lshlrev_b32_e32 v6, 16, v33
	s_mov_b32 s23, exec_lo
                                        ; implicit-def: $vgpr57
	s_delay_alu instid0(VALU_DEP_1) | instskip(NEXT) | instid1(VALU_DEP_1)
	v_mul_f32_e32 v6, v42, v6
	v_and_b32_e32 v7, 0x7f800000, v6
	s_delay_alu instid0(VALU_DEP_1)
	v_cmpx_ne_u32_e32 0x7f800000, v7
	s_xor_b32 s23, exec_lo, s23
; %bb.3779:                             ;   in Loop: Header=BB12_3286 Depth=2
	v_bfe_u32 v7, v6, 16, 1
	s_delay_alu instid0(VALU_DEP_1)
	v_add3_u32 v57, v6, v7, 0x7fff
                                        ; implicit-def: $vgpr6
; %bb.3780:                             ;   in Loop: Header=BB12_3286 Depth=2
	s_and_not1_saveexec_b32 s23, s23
; %bb.3781:                             ;   in Loop: Header=BB12_3286 Depth=2
	v_and_b32_e32 v7, 0xffff, v6
	v_or_b32_e32 v8, 0x10000, v6
	s_delay_alu instid0(VALU_DEP_2) | instskip(NEXT) | instid1(VALU_DEP_2)
	v_cmp_eq_u32_e32 vcc_lo, 0, v7
	v_cndmask_b32_e32 v57, v8, v6, vcc_lo
; %bb.3782:                             ;   in Loop: Header=BB12_3286 Depth=2
	s_or_b32 exec_lo, exec_lo, s23
	v_and_b32_e32 v6, 0xffff0000, v33
	s_mov_b32 s23, exec_lo
                                        ; implicit-def: $vgpr88
	s_delay_alu instid0(VALU_DEP_1) | instskip(NEXT) | instid1(VALU_DEP_1)
	v_mul_f32_e32 v6, v42, v6
	v_and_b32_e32 v7, 0x7f800000, v6
	s_delay_alu instid0(VALU_DEP_1)
	v_cmpx_ne_u32_e32 0x7f800000, v7
	s_xor_b32 s23, exec_lo, s23
; %bb.3783:                             ;   in Loop: Header=BB12_3286 Depth=2
	v_bfe_u32 v7, v6, 16, 1
	s_delay_alu instid0(VALU_DEP_1)
	v_add3_u32 v88, v6, v7, 0x7fff
                                        ; implicit-def: $vgpr6
; %bb.3784:                             ;   in Loop: Header=BB12_3286 Depth=2
	s_and_not1_saveexec_b32 s23, s23
; %bb.3785:                             ;   in Loop: Header=BB12_3286 Depth=2
	v_and_b32_e32 v7, 0xffff, v6
	v_or_b32_e32 v8, 0x10000, v6
	s_delay_alu instid0(VALU_DEP_2) | instskip(NEXT) | instid1(VALU_DEP_2)
	v_cmp_eq_u32_e32 vcc_lo, 0, v7
	v_cndmask_b32_e32 v88, v8, v6, vcc_lo
; %bb.3786:                             ;   in Loop: Header=BB12_3286 Depth=2
	s_or_b32 exec_lo, exec_lo, s23
	v_lshlrev_b32_e32 v6, 16, v34
	s_mov_b32 s23, exec_lo
                                        ; implicit-def: $vgpr89
	s_delay_alu instid0(VALU_DEP_1) | instskip(NEXT) | instid1(VALU_DEP_1)
	v_mul_f32_e32 v6, v42, v6
	v_and_b32_e32 v7, 0x7f800000, v6
	s_delay_alu instid0(VALU_DEP_1)
	v_cmpx_ne_u32_e32 0x7f800000, v7
	s_xor_b32 s23, exec_lo, s23
; %bb.3787:                             ;   in Loop: Header=BB12_3286 Depth=2
	v_bfe_u32 v7, v6, 16, 1
	s_delay_alu instid0(VALU_DEP_1)
	v_add3_u32 v89, v6, v7, 0x7fff
                                        ; implicit-def: $vgpr6
; %bb.3788:                             ;   in Loop: Header=BB12_3286 Depth=2
	s_and_not1_saveexec_b32 s23, s23
; %bb.3789:                             ;   in Loop: Header=BB12_3286 Depth=2
	v_and_b32_e32 v7, 0xffff, v6
	v_or_b32_e32 v8, 0x10000, v6
	s_delay_alu instid0(VALU_DEP_2) | instskip(NEXT) | instid1(VALU_DEP_2)
	v_cmp_eq_u32_e32 vcc_lo, 0, v7
	v_cndmask_b32_e32 v89, v8, v6, vcc_lo
; %bb.3790:                             ;   in Loop: Header=BB12_3286 Depth=2
	s_or_b32 exec_lo, exec_lo, s23
	v_and_b32_e32 v6, 0xffff0000, v34
	s_mov_b32 s23, exec_lo
                                        ; implicit-def: $vgpr63
	s_delay_alu instid0(VALU_DEP_1) | instskip(NEXT) | instid1(VALU_DEP_1)
	v_mul_f32_e32 v6, v42, v6
	v_and_b32_e32 v7, 0x7f800000, v6
	s_delay_alu instid0(VALU_DEP_1)
	v_cmpx_ne_u32_e32 0x7f800000, v7
	s_xor_b32 s23, exec_lo, s23
; %bb.3791:                             ;   in Loop: Header=BB12_3286 Depth=2
	v_bfe_u32 v7, v6, 16, 1
	s_delay_alu instid0(VALU_DEP_1)
	v_add3_u32 v63, v6, v7, 0x7fff
                                        ; implicit-def: $vgpr6
; %bb.3792:                             ;   in Loop: Header=BB12_3286 Depth=2
	s_and_not1_saveexec_b32 s23, s23
; %bb.3793:                             ;   in Loop: Header=BB12_3286 Depth=2
	v_and_b32_e32 v7, 0xffff, v6
	v_or_b32_e32 v8, 0x10000, v6
	s_delay_alu instid0(VALU_DEP_2) | instskip(NEXT) | instid1(VALU_DEP_2)
	v_cmp_eq_u32_e32 vcc_lo, 0, v7
	v_cndmask_b32_e32 v63, v8, v6, vcc_lo
; %bb.3794:                             ;   in Loop: Header=BB12_3286 Depth=2
	s_or_b32 exec_lo, exec_lo, s23
	v_lshlrev_b32_e32 v6, 16, v35
	s_delay_alu instid0(VALU_DEP_1) | instskip(NEXT) | instid1(VALU_DEP_1)
	v_mul_f32_e32 v7, v42, v6
	v_and_b32_e32 v6, 0x7f800000, v7
	s_delay_alu instid0(VALU_DEP_1) | instskip(SKIP_1) | instid1(SALU_CYCLE_1)
	v_cmp_ne_u32_e32 vcc_lo, 0x7f800000, v6
                                        ; implicit-def: $vgpr6
	s_and_saveexec_b32 s23, vcc_lo
	s_xor_b32 s23, exec_lo, s23
; %bb.3795:                             ;   in Loop: Header=BB12_3286 Depth=2
	v_bfe_u32 v6, v7, 16, 1
	s_delay_alu instid0(VALU_DEP_1)
	v_add3_u32 v6, v7, v6, 0x7fff
                                        ; implicit-def: $vgpr7
; %bb.3796:                             ;   in Loop: Header=BB12_3286 Depth=2
	s_and_not1_saveexec_b32 s23, s23
; %bb.3797:                             ;   in Loop: Header=BB12_3286 Depth=2
	v_and_b32_e32 v6, 0xffff, v7
	v_or_b32_e32 v8, 0x10000, v7
	s_delay_alu instid0(VALU_DEP_2) | instskip(NEXT) | instid1(VALU_DEP_2)
	v_cmp_eq_u32_e32 vcc_lo, 0, v6
	v_cndmask_b32_e32 v6, v8, v7, vcc_lo
; %bb.3798:                             ;   in Loop: Header=BB12_3286 Depth=2
	s_or_b32 exec_lo, exec_lo, s23
	v_and_b32_e32 v7, 0xffff0000, v35
	s_delay_alu instid0(VALU_DEP_1) | instskip(NEXT) | instid1(VALU_DEP_1)
	v_mul_f32_e32 v8, v42, v7
	v_and_b32_e32 v7, 0x7f800000, v8
	s_delay_alu instid0(VALU_DEP_1) | instskip(SKIP_1) | instid1(SALU_CYCLE_1)
	v_cmp_ne_u32_e32 vcc_lo, 0x7f800000, v7
                                        ; implicit-def: $vgpr7
	s_and_saveexec_b32 s23, vcc_lo
	s_xor_b32 s23, exec_lo, s23
; %bb.3799:                             ;   in Loop: Header=BB12_3286 Depth=2
	v_bfe_u32 v7, v8, 16, 1
	s_delay_alu instid0(VALU_DEP_1)
	v_add3_u32 v7, v8, v7, 0x7fff
                                        ; implicit-def: $vgpr8
; %bb.3800:                             ;   in Loop: Header=BB12_3286 Depth=2
	s_and_not1_saveexec_b32 s23, s23
	s_cbranch_execz .LBB12_3285
; %bb.3801:                             ;   in Loop: Header=BB12_3286 Depth=2
	v_and_b32_e32 v7, 0xffff, v8
	v_or_b32_e32 v9, 0x10000, v8
	s_delay_alu instid0(VALU_DEP_2) | instskip(NEXT) | instid1(VALU_DEP_2)
	v_cmp_eq_u32_e32 vcc_lo, 0, v7
	v_cndmask_b32_e32 v7, v9, v8, vcc_lo
	s_branch .LBB12_3285
.LBB12_3802:                            ;   in Loop: Header=BB12_3209 Depth=1
	scratch_load_b32 v2, off, s33 offset:344 ; 4-byte Folded Reload
	v_mov_b32_e32 v13, v101
	s_wait_xcnt 0x0
	s_and_saveexec_b32 s10, s19
	s_cbranch_execnz .LBB12_4175
	s_branch .LBB12_4399
.LBB12_3803:                            ;   in Loop: Header=BB12_3209 Depth=1
	s_or_b32 exec_lo, exec_lo, s20
	s_clause 0x3
	scratch_load_b32 v101, off, s33 offset:436
	scratch_load_b32 v116, off, s33 offset:440
	;; [unrolled: 1-line block ×4, first 2 shown]
	v_dual_lshlrev_b32 v102, 9, v72 :: v_dual_lshlrev_b32 v103, 6, v72
	v_mov_b32_e32 v117, 1
	s_and_b32 s20, s21, exec_lo
.LBB12_3804:                            ;   in Loop: Header=BB12_3209 Depth=1
	s_wait_xcnt 0x0
	s_or_b32 exec_lo, exec_lo, s10
	s_and_saveexec_b32 s10, s20
	s_cbranch_execz .LBB12_4062
; %bb.3805:                             ;   in Loop: Header=BB12_3209 Depth=1
	s_trap 2
	ds_load_b32 v0, v0
	s_mov_b32 s20, exec_lo
	s_wait_dscnt 0x0
	v_lshlrev_b32_e32 v3, 16, v0
	s_delay_alu instid0(VALU_DEP_1) | instskip(NEXT) | instid1(VALU_DEP_1)
	v_dual_lshlrev_b32 v2, 16, v96 :: v_dual_mov_b32 v0, v3
	v_pk_mul_f32 v[32:33], v[0:1], v[2:3]
                                        ; implicit-def: $vgpr2
	s_delay_alu instid0(VALU_DEP_1) | instskip(NEXT) | instid1(VALU_DEP_1)
	v_and_b32_e32 v0, 0x7f800000, v32
	v_cmpx_ne_u32_e32 0x7f800000, v0
	s_xor_b32 s20, exec_lo, s20
; %bb.3806:                             ;   in Loop: Header=BB12_3209 Depth=1
	v_bfe_u32 v0, v32, 16, 1
	s_delay_alu instid0(VALU_DEP_1)
	v_add3_u32 v2, v32, v0, 0x7fff
                                        ; implicit-def: $vgpr32_vgpr33
; %bb.3807:                             ;   in Loop: Header=BB12_3209 Depth=1
	s_and_not1_saveexec_b32 s20, s20
; %bb.3808:                             ;   in Loop: Header=BB12_3209 Depth=1
	v_and_b32_e32 v0, 0xffff, v32
	v_or_b32_e32 v1, 0x10000, v32
	s_delay_alu instid0(VALU_DEP_2) | instskip(NEXT) | instid1(VALU_DEP_2)
	v_cmp_eq_u32_e32 vcc_lo, 0, v0
	v_cndmask_b32_e32 v2, v1, v32, vcc_lo
; %bb.3809:                             ;   in Loop: Header=BB12_3209 Depth=1
	s_or_b32 exec_lo, exec_lo, s20
	v_and_b32_e32 v0, 0xffff0000, v96
	s_mov_b32 s20, exec_lo
                                        ; implicit-def: $vgpr32
	s_delay_alu instid0(VALU_DEP_1) | instskip(NEXT) | instid1(VALU_DEP_1)
	v_mul_f32_e32 v0, v3, v0
	v_and_b32_e32 v1, 0x7f800000, v0
	s_delay_alu instid0(VALU_DEP_1)
	v_cmpx_ne_u32_e32 0x7f800000, v1
	s_xor_b32 s20, exec_lo, s20
; %bb.3810:                             ;   in Loop: Header=BB12_3209 Depth=1
	v_bfe_u32 v1, v0, 16, 1
	s_delay_alu instid0(VALU_DEP_1)
	v_add3_u32 v32, v0, v1, 0x7fff
                                        ; implicit-def: $vgpr0
; %bb.3811:                             ;   in Loop: Header=BB12_3209 Depth=1
	s_and_not1_saveexec_b32 s20, s20
; %bb.3812:                             ;   in Loop: Header=BB12_3209 Depth=1
	v_and_b32_e32 v1, 0xffff, v0
	v_or_b32_e32 v4, 0x10000, v0
	s_delay_alu instid0(VALU_DEP_2) | instskip(NEXT) | instid1(VALU_DEP_2)
	v_cmp_eq_u32_e32 vcc_lo, 0, v1
	v_cndmask_b32_e32 v32, v4, v0, vcc_lo
; %bb.3813:                             ;   in Loop: Header=BB12_3209 Depth=1
	s_or_b32 exec_lo, exec_lo, s20
	v_lshlrev_b32_e32 v0, 16, v97
	s_mov_b32 s20, exec_lo
                                        ; implicit-def: $vgpr33
	s_delay_alu instid0(VALU_DEP_1) | instskip(NEXT) | instid1(VALU_DEP_1)
	v_mul_f32_e32 v0, v3, v0
	v_and_b32_e32 v1, 0x7f800000, v0
	s_delay_alu instid0(VALU_DEP_1)
	v_cmpx_ne_u32_e32 0x7f800000, v1
	s_xor_b32 s20, exec_lo, s20
; %bb.3814:                             ;   in Loop: Header=BB12_3209 Depth=1
	v_bfe_u32 v1, v0, 16, 1
	s_delay_alu instid0(VALU_DEP_1)
	v_add3_u32 v33, v0, v1, 0x7fff
                                        ; implicit-def: $vgpr0
; %bb.3815:                             ;   in Loop: Header=BB12_3209 Depth=1
	s_and_not1_saveexec_b32 s20, s20
; %bb.3816:                             ;   in Loop: Header=BB12_3209 Depth=1
	v_and_b32_e32 v1, 0xffff, v0
	v_or_b32_e32 v4, 0x10000, v0
	s_delay_alu instid0(VALU_DEP_2) | instskip(NEXT) | instid1(VALU_DEP_2)
	v_cmp_eq_u32_e32 vcc_lo, 0, v1
	v_cndmask_b32_e32 v33, v4, v0, vcc_lo
; %bb.3817:                             ;   in Loop: Header=BB12_3209 Depth=1
	s_or_b32 exec_lo, exec_lo, s20
	v_and_b32_e32 v0, 0xffff0000, v97
	s_mov_b32 s20, exec_lo
                                        ; implicit-def: $vgpr34
	s_delay_alu instid0(VALU_DEP_1) | instskip(NEXT) | instid1(VALU_DEP_1)
	v_mul_f32_e32 v0, v3, v0
	v_and_b32_e32 v1, 0x7f800000, v0
	s_delay_alu instid0(VALU_DEP_1)
	v_cmpx_ne_u32_e32 0x7f800000, v1
	s_xor_b32 s20, exec_lo, s20
; %bb.3818:                             ;   in Loop: Header=BB12_3209 Depth=1
	v_bfe_u32 v1, v0, 16, 1
	s_delay_alu instid0(VALU_DEP_1)
	v_add3_u32 v34, v0, v1, 0x7fff
                                        ; implicit-def: $vgpr0
; %bb.3819:                             ;   in Loop: Header=BB12_3209 Depth=1
	s_and_not1_saveexec_b32 s20, s20
; %bb.3820:                             ;   in Loop: Header=BB12_3209 Depth=1
	v_and_b32_e32 v1, 0xffff, v0
	v_or_b32_e32 v4, 0x10000, v0
	s_delay_alu instid0(VALU_DEP_2) | instskip(NEXT) | instid1(VALU_DEP_2)
	v_cmp_eq_u32_e32 vcc_lo, 0, v1
	v_cndmask_b32_e32 v34, v4, v0, vcc_lo
; %bb.3821:                             ;   in Loop: Header=BB12_3209 Depth=1
	s_or_b32 exec_lo, exec_lo, s20
	v_lshlrev_b32_e32 v0, 16, v98
	s_mov_b32 s20, exec_lo
                                        ; implicit-def: $vgpr35
	s_delay_alu instid0(VALU_DEP_1) | instskip(NEXT) | instid1(VALU_DEP_1)
	v_mul_f32_e32 v0, v3, v0
	v_and_b32_e32 v1, 0x7f800000, v0
	s_delay_alu instid0(VALU_DEP_1)
	v_cmpx_ne_u32_e32 0x7f800000, v1
	s_xor_b32 s20, exec_lo, s20
; %bb.3822:                             ;   in Loop: Header=BB12_3209 Depth=1
	v_bfe_u32 v1, v0, 16, 1
	s_delay_alu instid0(VALU_DEP_1)
	v_add3_u32 v35, v0, v1, 0x7fff
                                        ; implicit-def: $vgpr0
; %bb.3823:                             ;   in Loop: Header=BB12_3209 Depth=1
	s_and_not1_saveexec_b32 s20, s20
; %bb.3824:                             ;   in Loop: Header=BB12_3209 Depth=1
	v_and_b32_e32 v1, 0xffff, v0
	v_or_b32_e32 v4, 0x10000, v0
	s_delay_alu instid0(VALU_DEP_2) | instskip(NEXT) | instid1(VALU_DEP_2)
	v_cmp_eq_u32_e32 vcc_lo, 0, v1
	v_cndmask_b32_e32 v35, v4, v0, vcc_lo
; %bb.3825:                             ;   in Loop: Header=BB12_3209 Depth=1
	s_or_b32 exec_lo, exec_lo, s20
	v_and_b32_e32 v0, 0xffff0000, v98
	s_mov_b32 s20, exec_lo
                                        ; implicit-def: $vgpr36
	s_delay_alu instid0(VALU_DEP_1) | instskip(NEXT) | instid1(VALU_DEP_1)
	v_mul_f32_e32 v0, v3, v0
	v_and_b32_e32 v1, 0x7f800000, v0
	s_delay_alu instid0(VALU_DEP_1)
	v_cmpx_ne_u32_e32 0x7f800000, v1
	s_xor_b32 s20, exec_lo, s20
; %bb.3826:                             ;   in Loop: Header=BB12_3209 Depth=1
	v_bfe_u32 v1, v0, 16, 1
	s_delay_alu instid0(VALU_DEP_1)
	v_add3_u32 v36, v0, v1, 0x7fff
                                        ; implicit-def: $vgpr0
; %bb.3827:                             ;   in Loop: Header=BB12_3209 Depth=1
	s_and_not1_saveexec_b32 s20, s20
; %bb.3828:                             ;   in Loop: Header=BB12_3209 Depth=1
	v_and_b32_e32 v1, 0xffff, v0
	v_or_b32_e32 v4, 0x10000, v0
	s_delay_alu instid0(VALU_DEP_2) | instskip(NEXT) | instid1(VALU_DEP_2)
	v_cmp_eq_u32_e32 vcc_lo, 0, v1
	v_cndmask_b32_e32 v36, v4, v0, vcc_lo
; %bb.3829:                             ;   in Loop: Header=BB12_3209 Depth=1
	s_or_b32 exec_lo, exec_lo, s20
	v_lshlrev_b32_e32 v0, 16, v99
	s_mov_b32 s20, exec_lo
                                        ; implicit-def: $vgpr37
	s_delay_alu instid0(VALU_DEP_1) | instskip(NEXT) | instid1(VALU_DEP_1)
	v_mul_f32_e32 v0, v3, v0
	v_and_b32_e32 v1, 0x7f800000, v0
	s_delay_alu instid0(VALU_DEP_1)
	v_cmpx_ne_u32_e32 0x7f800000, v1
	s_xor_b32 s20, exec_lo, s20
; %bb.3830:                             ;   in Loop: Header=BB12_3209 Depth=1
	v_bfe_u32 v1, v0, 16, 1
	s_delay_alu instid0(VALU_DEP_1)
	v_add3_u32 v37, v0, v1, 0x7fff
                                        ; implicit-def: $vgpr0
; %bb.3831:                             ;   in Loop: Header=BB12_3209 Depth=1
	s_and_not1_saveexec_b32 s20, s20
; %bb.3832:                             ;   in Loop: Header=BB12_3209 Depth=1
	v_and_b32_e32 v1, 0xffff, v0
	v_or_b32_e32 v4, 0x10000, v0
	s_delay_alu instid0(VALU_DEP_2) | instskip(NEXT) | instid1(VALU_DEP_2)
	v_cmp_eq_u32_e32 vcc_lo, 0, v1
	v_cndmask_b32_e32 v37, v4, v0, vcc_lo
; %bb.3833:                             ;   in Loop: Header=BB12_3209 Depth=1
	s_or_b32 exec_lo, exec_lo, s20
	v_and_b32_e32 v0, 0xffff0000, v99
	s_mov_b32 s20, exec_lo
                                        ; implicit-def: $vgpr38
	s_delay_alu instid0(VALU_DEP_1) | instskip(NEXT) | instid1(VALU_DEP_1)
	v_mul_f32_e32 v0, v3, v0
	v_and_b32_e32 v1, 0x7f800000, v0
	s_delay_alu instid0(VALU_DEP_1)
	v_cmpx_ne_u32_e32 0x7f800000, v1
	s_xor_b32 s20, exec_lo, s20
; %bb.3834:                             ;   in Loop: Header=BB12_3209 Depth=1
	v_bfe_u32 v1, v0, 16, 1
	s_delay_alu instid0(VALU_DEP_1)
	v_add3_u32 v38, v0, v1, 0x7fff
                                        ; implicit-def: $vgpr0
; %bb.3835:                             ;   in Loop: Header=BB12_3209 Depth=1
	s_and_not1_saveexec_b32 s20, s20
; %bb.3836:                             ;   in Loop: Header=BB12_3209 Depth=1
	v_and_b32_e32 v1, 0xffff, v0
	v_or_b32_e32 v4, 0x10000, v0
	s_delay_alu instid0(VALU_DEP_2) | instskip(NEXT) | instid1(VALU_DEP_2)
	v_cmp_eq_u32_e32 vcc_lo, 0, v1
	v_cndmask_b32_e32 v38, v4, v0, vcc_lo
; %bb.3837:                             ;   in Loop: Header=BB12_3209 Depth=1
	s_or_b32 exec_lo, exec_lo, s20
	v_lshlrev_b32_e32 v0, 16, v68
	s_mov_b32 s20, exec_lo
                                        ; implicit-def: $vgpr39
	s_delay_alu instid0(VALU_DEP_1) | instskip(NEXT) | instid1(VALU_DEP_1)
	v_mul_f32_e32 v0, v3, v0
	v_and_b32_e32 v1, 0x7f800000, v0
	s_delay_alu instid0(VALU_DEP_1)
	v_cmpx_ne_u32_e32 0x7f800000, v1
	s_xor_b32 s20, exec_lo, s20
; %bb.3838:                             ;   in Loop: Header=BB12_3209 Depth=1
	v_bfe_u32 v1, v0, 16, 1
	s_delay_alu instid0(VALU_DEP_1)
	v_add3_u32 v39, v0, v1, 0x7fff
                                        ; implicit-def: $vgpr0
; %bb.3839:                             ;   in Loop: Header=BB12_3209 Depth=1
	s_and_not1_saveexec_b32 s20, s20
; %bb.3840:                             ;   in Loop: Header=BB12_3209 Depth=1
	v_and_b32_e32 v1, 0xffff, v0
	v_or_b32_e32 v4, 0x10000, v0
	s_delay_alu instid0(VALU_DEP_2) | instskip(NEXT) | instid1(VALU_DEP_2)
	v_cmp_eq_u32_e32 vcc_lo, 0, v1
	v_cndmask_b32_e32 v39, v4, v0, vcc_lo
; %bb.3841:                             ;   in Loop: Header=BB12_3209 Depth=1
	s_or_b32 exec_lo, exec_lo, s20
	v_and_b32_e32 v0, 0xffff0000, v68
	s_mov_b32 s20, exec_lo
                                        ; implicit-def: $vgpr52
	s_delay_alu instid0(VALU_DEP_1) | instskip(NEXT) | instid1(VALU_DEP_1)
	v_mul_f32_e32 v0, v3, v0
	v_and_b32_e32 v1, 0x7f800000, v0
	s_delay_alu instid0(VALU_DEP_1)
	v_cmpx_ne_u32_e32 0x7f800000, v1
	s_xor_b32 s20, exec_lo, s20
; %bb.3842:                             ;   in Loop: Header=BB12_3209 Depth=1
	v_bfe_u32 v1, v0, 16, 1
	s_delay_alu instid0(VALU_DEP_1)
	v_add3_u32 v52, v0, v1, 0x7fff
                                        ; implicit-def: $vgpr0
; %bb.3843:                             ;   in Loop: Header=BB12_3209 Depth=1
	s_and_not1_saveexec_b32 s20, s20
; %bb.3844:                             ;   in Loop: Header=BB12_3209 Depth=1
	v_and_b32_e32 v1, 0xffff, v0
	v_or_b32_e32 v4, 0x10000, v0
	s_delay_alu instid0(VALU_DEP_2) | instskip(NEXT) | instid1(VALU_DEP_2)
	v_cmp_eq_u32_e32 vcc_lo, 0, v1
	v_cndmask_b32_e32 v52, v4, v0, vcc_lo
; %bb.3845:                             ;   in Loop: Header=BB12_3209 Depth=1
	s_or_b32 exec_lo, exec_lo, s20
	v_lshlrev_b32_e32 v0, 16, v69
	s_mov_b32 s20, exec_lo
                                        ; implicit-def: $vgpr53
	s_delay_alu instid0(VALU_DEP_1) | instskip(NEXT) | instid1(VALU_DEP_1)
	v_mul_f32_e32 v0, v3, v0
	v_and_b32_e32 v1, 0x7f800000, v0
	s_delay_alu instid0(VALU_DEP_1)
	v_cmpx_ne_u32_e32 0x7f800000, v1
	s_xor_b32 s20, exec_lo, s20
; %bb.3846:                             ;   in Loop: Header=BB12_3209 Depth=1
	v_bfe_u32 v1, v0, 16, 1
	s_delay_alu instid0(VALU_DEP_1)
	v_add3_u32 v53, v0, v1, 0x7fff
                                        ; implicit-def: $vgpr0
; %bb.3847:                             ;   in Loop: Header=BB12_3209 Depth=1
	s_and_not1_saveexec_b32 s20, s20
; %bb.3848:                             ;   in Loop: Header=BB12_3209 Depth=1
	v_and_b32_e32 v1, 0xffff, v0
	v_or_b32_e32 v4, 0x10000, v0
	s_delay_alu instid0(VALU_DEP_2) | instskip(NEXT) | instid1(VALU_DEP_2)
	v_cmp_eq_u32_e32 vcc_lo, 0, v1
	v_cndmask_b32_e32 v53, v4, v0, vcc_lo
; %bb.3849:                             ;   in Loop: Header=BB12_3209 Depth=1
	s_or_b32 exec_lo, exec_lo, s20
	v_and_b32_e32 v0, 0xffff0000, v69
	s_mov_b32 s20, exec_lo
                                        ; implicit-def: $vgpr54
	s_delay_alu instid0(VALU_DEP_1) | instskip(NEXT) | instid1(VALU_DEP_1)
	v_mul_f32_e32 v0, v3, v0
	v_and_b32_e32 v1, 0x7f800000, v0
	s_delay_alu instid0(VALU_DEP_1)
	v_cmpx_ne_u32_e32 0x7f800000, v1
	s_xor_b32 s20, exec_lo, s20
; %bb.3850:                             ;   in Loop: Header=BB12_3209 Depth=1
	v_bfe_u32 v1, v0, 16, 1
	s_delay_alu instid0(VALU_DEP_1)
	v_add3_u32 v54, v0, v1, 0x7fff
                                        ; implicit-def: $vgpr0
; %bb.3851:                             ;   in Loop: Header=BB12_3209 Depth=1
	s_and_not1_saveexec_b32 s20, s20
; %bb.3852:                             ;   in Loop: Header=BB12_3209 Depth=1
	v_and_b32_e32 v1, 0xffff, v0
	v_or_b32_e32 v4, 0x10000, v0
	s_delay_alu instid0(VALU_DEP_2) | instskip(NEXT) | instid1(VALU_DEP_2)
	v_cmp_eq_u32_e32 vcc_lo, 0, v1
	v_cndmask_b32_e32 v54, v4, v0, vcc_lo
; %bb.3853:                             ;   in Loop: Header=BB12_3209 Depth=1
	s_or_b32 exec_lo, exec_lo, s20
	v_lshlrev_b32_e32 v0, 16, v70
	s_mov_b32 s20, exec_lo
                                        ; implicit-def: $vgpr55
	s_delay_alu instid0(VALU_DEP_1) | instskip(NEXT) | instid1(VALU_DEP_1)
	v_mul_f32_e32 v0, v3, v0
	v_and_b32_e32 v1, 0x7f800000, v0
	s_delay_alu instid0(VALU_DEP_1)
	v_cmpx_ne_u32_e32 0x7f800000, v1
	s_xor_b32 s20, exec_lo, s20
; %bb.3854:                             ;   in Loop: Header=BB12_3209 Depth=1
	v_bfe_u32 v1, v0, 16, 1
	s_delay_alu instid0(VALU_DEP_1)
	v_add3_u32 v55, v0, v1, 0x7fff
                                        ; implicit-def: $vgpr0
; %bb.3855:                             ;   in Loop: Header=BB12_3209 Depth=1
	s_and_not1_saveexec_b32 s20, s20
; %bb.3856:                             ;   in Loop: Header=BB12_3209 Depth=1
	v_and_b32_e32 v1, 0xffff, v0
	v_or_b32_e32 v4, 0x10000, v0
	s_delay_alu instid0(VALU_DEP_2) | instskip(NEXT) | instid1(VALU_DEP_2)
	v_cmp_eq_u32_e32 vcc_lo, 0, v1
	v_cndmask_b32_e32 v55, v4, v0, vcc_lo
; %bb.3857:                             ;   in Loop: Header=BB12_3209 Depth=1
	s_or_b32 exec_lo, exec_lo, s20
	v_and_b32_e32 v0, 0xffff0000, v70
	s_mov_b32 s20, exec_lo
                                        ; implicit-def: $vgpr64
	s_delay_alu instid0(VALU_DEP_1) | instskip(NEXT) | instid1(VALU_DEP_1)
	v_mul_f32_e32 v0, v3, v0
	v_and_b32_e32 v1, 0x7f800000, v0
	s_delay_alu instid0(VALU_DEP_1)
	v_cmpx_ne_u32_e32 0x7f800000, v1
	s_xor_b32 s20, exec_lo, s20
; %bb.3858:                             ;   in Loop: Header=BB12_3209 Depth=1
	v_bfe_u32 v1, v0, 16, 1
	s_delay_alu instid0(VALU_DEP_1)
	v_add3_u32 v64, v0, v1, 0x7fff
                                        ; implicit-def: $vgpr0
; %bb.3859:                             ;   in Loop: Header=BB12_3209 Depth=1
	s_and_not1_saveexec_b32 s20, s20
; %bb.3860:                             ;   in Loop: Header=BB12_3209 Depth=1
	v_and_b32_e32 v1, 0xffff, v0
	v_or_b32_e32 v4, 0x10000, v0
	s_delay_alu instid0(VALU_DEP_2) | instskip(NEXT) | instid1(VALU_DEP_2)
	v_cmp_eq_u32_e32 vcc_lo, 0, v1
	v_cndmask_b32_e32 v64, v4, v0, vcc_lo
; %bb.3861:                             ;   in Loop: Header=BB12_3209 Depth=1
	s_or_b32 exec_lo, exec_lo, s20
	v_lshlrev_b32_e32 v0, 16, v71
	s_delay_alu instid0(VALU_DEP_1) | instskip(NEXT) | instid1(VALU_DEP_1)
	v_mul_f32_e32 v1, v3, v0
	v_and_b32_e32 v0, 0x7f800000, v1
	s_delay_alu instid0(VALU_DEP_1) | instskip(SKIP_1) | instid1(SALU_CYCLE_1)
	v_cmp_ne_u32_e32 vcc_lo, 0x7f800000, v0
                                        ; implicit-def: $vgpr0
	s_and_saveexec_b32 s20, vcc_lo
	s_xor_b32 s20, exec_lo, s20
; %bb.3862:                             ;   in Loop: Header=BB12_3209 Depth=1
	v_bfe_u32 v0, v1, 16, 1
	s_delay_alu instid0(VALU_DEP_1)
	v_add3_u32 v0, v1, v0, 0x7fff
                                        ; implicit-def: $vgpr1
; %bb.3863:                             ;   in Loop: Header=BB12_3209 Depth=1
	s_and_not1_saveexec_b32 s20, s20
; %bb.3864:                             ;   in Loop: Header=BB12_3209 Depth=1
	v_and_b32_e32 v0, 0xffff, v1
	v_or_b32_e32 v4, 0x10000, v1
	s_delay_alu instid0(VALU_DEP_2) | instskip(NEXT) | instid1(VALU_DEP_2)
	v_cmp_eq_u32_e32 vcc_lo, 0, v0
	v_cndmask_b32_e32 v0, v4, v1, vcc_lo
; %bb.3865:                             ;   in Loop: Header=BB12_3209 Depth=1
	s_or_b32 exec_lo, exec_lo, s20
	v_and_b32_e32 v1, 0xffff0000, v71
	s_delay_alu instid0(VALU_DEP_1) | instskip(NEXT) | instid1(VALU_DEP_1)
	v_mul_f32_e32 v4, v3, v1
	v_and_b32_e32 v1, 0x7f800000, v4
	s_delay_alu instid0(VALU_DEP_1) | instskip(SKIP_1) | instid1(SALU_CYCLE_1)
	v_cmp_ne_u32_e32 vcc_lo, 0x7f800000, v1
                                        ; implicit-def: $vgpr1
	s_and_saveexec_b32 s20, vcc_lo
	s_xor_b32 s20, exec_lo, s20
; %bb.3866:                             ;   in Loop: Header=BB12_3209 Depth=1
	v_bfe_u32 v1, v4, 16, 1
	s_delay_alu instid0(VALU_DEP_1)
	v_add3_u32 v1, v4, v1, 0x7fff
                                        ; implicit-def: $vgpr4
; %bb.3867:                             ;   in Loop: Header=BB12_3209 Depth=1
	s_and_not1_saveexec_b32 s20, s20
; %bb.3868:                             ;   in Loop: Header=BB12_3209 Depth=1
	v_and_b32_e32 v1, 0xffff, v4
	v_or_b32_e32 v5, 0x10000, v4
	s_delay_alu instid0(VALU_DEP_2) | instskip(NEXT) | instid1(VALU_DEP_2)
	v_cmp_eq_u32_e32 vcc_lo, 0, v1
	v_cndmask_b32_e32 v1, v5, v4, vcc_lo
; %bb.3869:                             ;   in Loop: Header=BB12_3209 Depth=1
	s_or_b32 exec_lo, exec_lo, s20
	v_lshlrev_b32_e32 v4, 16, v48
	s_mov_b32 s20, exec_lo
                                        ; implicit-def: $vgpr65
	s_delay_alu instid0(VALU_DEP_1) | instskip(NEXT) | instid1(VALU_DEP_1)
	v_mul_f32_e32 v4, v3, v4
	v_and_b32_e32 v5, 0x7f800000, v4
	s_delay_alu instid0(VALU_DEP_1)
	v_cmpx_ne_u32_e32 0x7f800000, v5
	s_xor_b32 s20, exec_lo, s20
; %bb.3870:                             ;   in Loop: Header=BB12_3209 Depth=1
	v_bfe_u32 v5, v4, 16, 1
	s_delay_alu instid0(VALU_DEP_1)
	v_add3_u32 v65, v4, v5, 0x7fff
                                        ; implicit-def: $vgpr4
; %bb.3871:                             ;   in Loop: Header=BB12_3209 Depth=1
	s_and_not1_saveexec_b32 s20, s20
; %bb.3872:                             ;   in Loop: Header=BB12_3209 Depth=1
	v_and_b32_e32 v5, 0xffff, v4
	v_or_b32_e32 v6, 0x10000, v4
	s_delay_alu instid0(VALU_DEP_2) | instskip(NEXT) | instid1(VALU_DEP_2)
	v_cmp_eq_u32_e32 vcc_lo, 0, v5
	v_cndmask_b32_e32 v65, v6, v4, vcc_lo
; %bb.3873:                             ;   in Loop: Header=BB12_3209 Depth=1
	s_or_b32 exec_lo, exec_lo, s20
	v_and_b32_e32 v4, 0xffff0000, v48
	s_mov_b32 s20, exec_lo
                                        ; implicit-def: $vgpr48
	s_delay_alu instid0(VALU_DEP_1) | instskip(NEXT) | instid1(VALU_DEP_1)
	v_mul_f32_e32 v4, v3, v4
	v_and_b32_e32 v5, 0x7f800000, v4
	s_delay_alu instid0(VALU_DEP_1)
	v_cmpx_ne_u32_e32 0x7f800000, v5
	s_xor_b32 s20, exec_lo, s20
; %bb.3874:                             ;   in Loop: Header=BB12_3209 Depth=1
	v_bfe_u32 v5, v4, 16, 1
	s_delay_alu instid0(VALU_DEP_1)
	v_add3_u32 v48, v4, v5, 0x7fff
                                        ; implicit-def: $vgpr4
; %bb.3875:                             ;   in Loop: Header=BB12_3209 Depth=1
	s_and_not1_saveexec_b32 s20, s20
; %bb.3876:                             ;   in Loop: Header=BB12_3209 Depth=1
	v_and_b32_e32 v5, 0xffff, v4
	v_or_b32_e32 v6, 0x10000, v4
	s_delay_alu instid0(VALU_DEP_2) | instskip(NEXT) | instid1(VALU_DEP_2)
	v_cmp_eq_u32_e32 vcc_lo, 0, v5
	v_cndmask_b32_e32 v48, v6, v4, vcc_lo
; %bb.3877:                             ;   in Loop: Header=BB12_3209 Depth=1
	s_or_b32 exec_lo, exec_lo, s20
	v_lshlrev_b32_e32 v4, 16, v49
	s_mov_b32 s20, exec_lo
                                        ; implicit-def: $vgpr66
	s_delay_alu instid0(VALU_DEP_1) | instskip(NEXT) | instid1(VALU_DEP_1)
	v_mul_f32_e32 v4, v3, v4
	v_and_b32_e32 v5, 0x7f800000, v4
	s_delay_alu instid0(VALU_DEP_1)
	v_cmpx_ne_u32_e32 0x7f800000, v5
	s_xor_b32 s20, exec_lo, s20
; %bb.3878:                             ;   in Loop: Header=BB12_3209 Depth=1
	v_bfe_u32 v5, v4, 16, 1
	s_delay_alu instid0(VALU_DEP_1)
	v_add3_u32 v66, v4, v5, 0x7fff
                                        ; implicit-def: $vgpr4
; %bb.3879:                             ;   in Loop: Header=BB12_3209 Depth=1
	s_and_not1_saveexec_b32 s20, s20
; %bb.3880:                             ;   in Loop: Header=BB12_3209 Depth=1
	v_and_b32_e32 v5, 0xffff, v4
	v_or_b32_e32 v6, 0x10000, v4
	s_delay_alu instid0(VALU_DEP_2) | instskip(NEXT) | instid1(VALU_DEP_2)
	v_cmp_eq_u32_e32 vcc_lo, 0, v5
	v_cndmask_b32_e32 v66, v6, v4, vcc_lo
; %bb.3881:                             ;   in Loop: Header=BB12_3209 Depth=1
	s_or_b32 exec_lo, exec_lo, s20
	v_and_b32_e32 v4, 0xffff0000, v49
	s_mov_b32 s20, exec_lo
                                        ; implicit-def: $vgpr49
	s_delay_alu instid0(VALU_DEP_1) | instskip(NEXT) | instid1(VALU_DEP_1)
	v_mul_f32_e32 v4, v3, v4
	v_and_b32_e32 v5, 0x7f800000, v4
	s_delay_alu instid0(VALU_DEP_1)
	v_cmpx_ne_u32_e32 0x7f800000, v5
	s_xor_b32 s20, exec_lo, s20
; %bb.3882:                             ;   in Loop: Header=BB12_3209 Depth=1
	v_bfe_u32 v5, v4, 16, 1
	s_delay_alu instid0(VALU_DEP_1)
	v_add3_u32 v49, v4, v5, 0x7fff
                                        ; implicit-def: $vgpr4
; %bb.3883:                             ;   in Loop: Header=BB12_3209 Depth=1
	s_and_not1_saveexec_b32 s20, s20
; %bb.3884:                             ;   in Loop: Header=BB12_3209 Depth=1
	v_and_b32_e32 v5, 0xffff, v4
	v_or_b32_e32 v6, 0x10000, v4
	s_delay_alu instid0(VALU_DEP_2) | instskip(NEXT) | instid1(VALU_DEP_2)
	v_cmp_eq_u32_e32 vcc_lo, 0, v5
	v_cndmask_b32_e32 v49, v6, v4, vcc_lo
; %bb.3885:                             ;   in Loop: Header=BB12_3209 Depth=1
	s_or_b32 exec_lo, exec_lo, s20
	v_lshlrev_b32_e32 v4, 16, v50
	s_mov_b32 s20, exec_lo
                                        ; implicit-def: $vgpr67
	s_delay_alu instid0(VALU_DEP_1) | instskip(NEXT) | instid1(VALU_DEP_1)
	v_mul_f32_e32 v4, v3, v4
	v_and_b32_e32 v5, 0x7f800000, v4
	s_delay_alu instid0(VALU_DEP_1)
	v_cmpx_ne_u32_e32 0x7f800000, v5
	s_xor_b32 s20, exec_lo, s20
; %bb.3886:                             ;   in Loop: Header=BB12_3209 Depth=1
	v_bfe_u32 v5, v4, 16, 1
	s_delay_alu instid0(VALU_DEP_1)
	v_add3_u32 v67, v4, v5, 0x7fff
                                        ; implicit-def: $vgpr4
; %bb.3887:                             ;   in Loop: Header=BB12_3209 Depth=1
	s_and_not1_saveexec_b32 s20, s20
; %bb.3888:                             ;   in Loop: Header=BB12_3209 Depth=1
	v_and_b32_e32 v5, 0xffff, v4
	v_or_b32_e32 v6, 0x10000, v4
	s_delay_alu instid0(VALU_DEP_2) | instskip(NEXT) | instid1(VALU_DEP_2)
	v_cmp_eq_u32_e32 vcc_lo, 0, v5
	v_cndmask_b32_e32 v67, v6, v4, vcc_lo
; %bb.3889:                             ;   in Loop: Header=BB12_3209 Depth=1
	s_or_b32 exec_lo, exec_lo, s20
	v_and_b32_e32 v4, 0xffff0000, v50
	s_mov_b32 s20, exec_lo
                                        ; implicit-def: $vgpr50
	s_delay_alu instid0(VALU_DEP_1) | instskip(NEXT) | instid1(VALU_DEP_1)
	v_mul_f32_e32 v4, v3, v4
	v_and_b32_e32 v5, 0x7f800000, v4
	s_delay_alu instid0(VALU_DEP_1)
	v_cmpx_ne_u32_e32 0x7f800000, v5
	s_xor_b32 s20, exec_lo, s20
; %bb.3890:                             ;   in Loop: Header=BB12_3209 Depth=1
	v_bfe_u32 v5, v4, 16, 1
	s_delay_alu instid0(VALU_DEP_1)
	v_add3_u32 v50, v4, v5, 0x7fff
                                        ; implicit-def: $vgpr4
; %bb.3891:                             ;   in Loop: Header=BB12_3209 Depth=1
	s_and_not1_saveexec_b32 s20, s20
; %bb.3892:                             ;   in Loop: Header=BB12_3209 Depth=1
	v_and_b32_e32 v5, 0xffff, v4
	v_or_b32_e32 v6, 0x10000, v4
	s_delay_alu instid0(VALU_DEP_2) | instskip(NEXT) | instid1(VALU_DEP_2)
	v_cmp_eq_u32_e32 vcc_lo, 0, v5
	v_cndmask_b32_e32 v50, v6, v4, vcc_lo
; %bb.3893:                             ;   in Loop: Header=BB12_3209 Depth=1
	s_or_b32 exec_lo, exec_lo, s20
	v_lshlrev_b32_e32 v4, 16, v51
	s_mov_b32 s20, exec_lo
                                        ; implicit-def: $vgpr68
	s_delay_alu instid0(VALU_DEP_1) | instskip(NEXT) | instid1(VALU_DEP_1)
	v_mul_f32_e32 v4, v3, v4
	v_and_b32_e32 v5, 0x7f800000, v4
	s_delay_alu instid0(VALU_DEP_1)
	v_cmpx_ne_u32_e32 0x7f800000, v5
	s_xor_b32 s20, exec_lo, s20
; %bb.3894:                             ;   in Loop: Header=BB12_3209 Depth=1
	v_bfe_u32 v5, v4, 16, 1
	s_delay_alu instid0(VALU_DEP_1)
	v_add3_u32 v68, v4, v5, 0x7fff
                                        ; implicit-def: $vgpr4
; %bb.3895:                             ;   in Loop: Header=BB12_3209 Depth=1
	s_and_not1_saveexec_b32 s20, s20
; %bb.3896:                             ;   in Loop: Header=BB12_3209 Depth=1
	v_and_b32_e32 v5, 0xffff, v4
	v_or_b32_e32 v6, 0x10000, v4
	s_delay_alu instid0(VALU_DEP_2) | instskip(NEXT) | instid1(VALU_DEP_2)
	v_cmp_eq_u32_e32 vcc_lo, 0, v5
	v_cndmask_b32_e32 v68, v6, v4, vcc_lo
; %bb.3897:                             ;   in Loop: Header=BB12_3209 Depth=1
	s_or_b32 exec_lo, exec_lo, s20
	v_and_b32_e32 v4, 0xffff0000, v51
	s_mov_b32 s20, exec_lo
                                        ; implicit-def: $vgpr51
	s_delay_alu instid0(VALU_DEP_1) | instskip(NEXT) | instid1(VALU_DEP_1)
	v_mul_f32_e32 v4, v3, v4
	v_and_b32_e32 v5, 0x7f800000, v4
	s_delay_alu instid0(VALU_DEP_1)
	v_cmpx_ne_u32_e32 0x7f800000, v5
	s_xor_b32 s20, exec_lo, s20
; %bb.3898:                             ;   in Loop: Header=BB12_3209 Depth=1
	v_bfe_u32 v5, v4, 16, 1
	s_delay_alu instid0(VALU_DEP_1)
	v_add3_u32 v51, v4, v5, 0x7fff
                                        ; implicit-def: $vgpr4
; %bb.3899:                             ;   in Loop: Header=BB12_3209 Depth=1
	s_and_not1_saveexec_b32 s20, s20
; %bb.3900:                             ;   in Loop: Header=BB12_3209 Depth=1
	v_and_b32_e32 v5, 0xffff, v4
	v_or_b32_e32 v6, 0x10000, v4
	s_delay_alu instid0(VALU_DEP_2) | instskip(NEXT) | instid1(VALU_DEP_2)
	v_cmp_eq_u32_e32 vcc_lo, 0, v5
	v_cndmask_b32_e32 v51, v6, v4, vcc_lo
; %bb.3901:                             ;   in Loop: Header=BB12_3209 Depth=1
	s_or_b32 exec_lo, exec_lo, s20
	v_lshlrev_b32_e32 v4, 16, v26
	s_mov_b32 s20, exec_lo
                                        ; implicit-def: $vgpr69
	s_delay_alu instid0(VALU_DEP_1) | instskip(NEXT) | instid1(VALU_DEP_1)
	v_mul_f32_e32 v4, v3, v4
	v_and_b32_e32 v5, 0x7f800000, v4
	s_delay_alu instid0(VALU_DEP_1)
	v_cmpx_ne_u32_e32 0x7f800000, v5
	s_xor_b32 s20, exec_lo, s20
; %bb.3902:                             ;   in Loop: Header=BB12_3209 Depth=1
	v_bfe_u32 v5, v4, 16, 1
	s_delay_alu instid0(VALU_DEP_1)
	v_add3_u32 v69, v4, v5, 0x7fff
                                        ; implicit-def: $vgpr4
; %bb.3903:                             ;   in Loop: Header=BB12_3209 Depth=1
	s_and_not1_saveexec_b32 s20, s20
; %bb.3904:                             ;   in Loop: Header=BB12_3209 Depth=1
	v_and_b32_e32 v5, 0xffff, v4
	v_or_b32_e32 v6, 0x10000, v4
	s_delay_alu instid0(VALU_DEP_2) | instskip(NEXT) | instid1(VALU_DEP_2)
	v_cmp_eq_u32_e32 vcc_lo, 0, v5
	v_cndmask_b32_e32 v69, v6, v4, vcc_lo
; %bb.3905:                             ;   in Loop: Header=BB12_3209 Depth=1
	s_or_b32 exec_lo, exec_lo, s20
	v_and_b32_e32 v4, 0xffff0000, v26
	s_mov_b32 s20, exec_lo
                                        ; implicit-def: $vgpr26
	s_delay_alu instid0(VALU_DEP_1) | instskip(NEXT) | instid1(VALU_DEP_1)
	v_mul_f32_e32 v4, v3, v4
	v_and_b32_e32 v5, 0x7f800000, v4
	s_delay_alu instid0(VALU_DEP_1)
	v_cmpx_ne_u32_e32 0x7f800000, v5
	s_xor_b32 s20, exec_lo, s20
; %bb.3906:                             ;   in Loop: Header=BB12_3209 Depth=1
	v_bfe_u32 v5, v4, 16, 1
	s_delay_alu instid0(VALU_DEP_1)
	v_add3_u32 v26, v4, v5, 0x7fff
                                        ; implicit-def: $vgpr4
; %bb.3907:                             ;   in Loop: Header=BB12_3209 Depth=1
	s_and_not1_saveexec_b32 s20, s20
; %bb.3908:                             ;   in Loop: Header=BB12_3209 Depth=1
	v_and_b32_e32 v5, 0xffff, v4
	v_or_b32_e32 v6, 0x10000, v4
	s_delay_alu instid0(VALU_DEP_2) | instskip(NEXT) | instid1(VALU_DEP_2)
	v_cmp_eq_u32_e32 vcc_lo, 0, v5
	v_cndmask_b32_e32 v26, v6, v4, vcc_lo
; %bb.3909:                             ;   in Loop: Header=BB12_3209 Depth=1
	s_or_b32 exec_lo, exec_lo, s20
	v_lshlrev_b32_e32 v4, 16, v27
	s_mov_b32 s20, exec_lo
                                        ; implicit-def: $vgpr70
	s_delay_alu instid0(VALU_DEP_1) | instskip(NEXT) | instid1(VALU_DEP_1)
	v_mul_f32_e32 v4, v3, v4
	v_and_b32_e32 v5, 0x7f800000, v4
	s_delay_alu instid0(VALU_DEP_1)
	v_cmpx_ne_u32_e32 0x7f800000, v5
	s_xor_b32 s20, exec_lo, s20
; %bb.3910:                             ;   in Loop: Header=BB12_3209 Depth=1
	v_bfe_u32 v5, v4, 16, 1
	s_delay_alu instid0(VALU_DEP_1)
	v_add3_u32 v70, v4, v5, 0x7fff
                                        ; implicit-def: $vgpr4
; %bb.3911:                             ;   in Loop: Header=BB12_3209 Depth=1
	s_and_not1_saveexec_b32 s20, s20
; %bb.3912:                             ;   in Loop: Header=BB12_3209 Depth=1
	v_and_b32_e32 v5, 0xffff, v4
	v_or_b32_e32 v6, 0x10000, v4
	s_delay_alu instid0(VALU_DEP_2) | instskip(NEXT) | instid1(VALU_DEP_2)
	v_cmp_eq_u32_e32 vcc_lo, 0, v5
	v_cndmask_b32_e32 v70, v6, v4, vcc_lo
; %bb.3913:                             ;   in Loop: Header=BB12_3209 Depth=1
	s_or_b32 exec_lo, exec_lo, s20
	v_and_b32_e32 v4, 0xffff0000, v27
	s_mov_b32 s20, exec_lo
                                        ; implicit-def: $vgpr27
	s_delay_alu instid0(VALU_DEP_1) | instskip(NEXT) | instid1(VALU_DEP_1)
	v_mul_f32_e32 v4, v3, v4
	v_and_b32_e32 v5, 0x7f800000, v4
	s_delay_alu instid0(VALU_DEP_1)
	v_cmpx_ne_u32_e32 0x7f800000, v5
	s_xor_b32 s20, exec_lo, s20
; %bb.3914:                             ;   in Loop: Header=BB12_3209 Depth=1
	v_bfe_u32 v5, v4, 16, 1
	s_delay_alu instid0(VALU_DEP_1)
	v_add3_u32 v27, v4, v5, 0x7fff
                                        ; implicit-def: $vgpr4
; %bb.3915:                             ;   in Loop: Header=BB12_3209 Depth=1
	s_and_not1_saveexec_b32 s20, s20
; %bb.3916:                             ;   in Loop: Header=BB12_3209 Depth=1
	v_and_b32_e32 v5, 0xffff, v4
	v_or_b32_e32 v6, 0x10000, v4
	s_delay_alu instid0(VALU_DEP_2) | instskip(NEXT) | instid1(VALU_DEP_2)
	v_cmp_eq_u32_e32 vcc_lo, 0, v5
	v_cndmask_b32_e32 v27, v6, v4, vcc_lo
; %bb.3917:                             ;   in Loop: Header=BB12_3209 Depth=1
	s_or_b32 exec_lo, exec_lo, s20
	v_lshlrev_b32_e32 v4, 16, v28
	s_mov_b32 s20, exec_lo
                                        ; implicit-def: $vgpr71
	s_delay_alu instid0(VALU_DEP_1) | instskip(NEXT) | instid1(VALU_DEP_1)
	v_mul_f32_e32 v4, v3, v4
	v_and_b32_e32 v5, 0x7f800000, v4
	s_delay_alu instid0(VALU_DEP_1)
	v_cmpx_ne_u32_e32 0x7f800000, v5
	s_xor_b32 s20, exec_lo, s20
; %bb.3918:                             ;   in Loop: Header=BB12_3209 Depth=1
	v_bfe_u32 v5, v4, 16, 1
	s_delay_alu instid0(VALU_DEP_1)
	v_add3_u32 v71, v4, v5, 0x7fff
                                        ; implicit-def: $vgpr4
; %bb.3919:                             ;   in Loop: Header=BB12_3209 Depth=1
	s_and_not1_saveexec_b32 s20, s20
; %bb.3920:                             ;   in Loop: Header=BB12_3209 Depth=1
	v_and_b32_e32 v5, 0xffff, v4
	v_or_b32_e32 v6, 0x10000, v4
	s_delay_alu instid0(VALU_DEP_2) | instskip(NEXT) | instid1(VALU_DEP_2)
	v_cmp_eq_u32_e32 vcc_lo, 0, v5
	v_cndmask_b32_e32 v71, v6, v4, vcc_lo
; %bb.3921:                             ;   in Loop: Header=BB12_3209 Depth=1
	s_or_b32 exec_lo, exec_lo, s20
	v_and_b32_e32 v4, 0xffff0000, v28
	s_mov_b32 s20, exec_lo
                                        ; implicit-def: $vgpr28
	s_delay_alu instid0(VALU_DEP_1) | instskip(NEXT) | instid1(VALU_DEP_1)
	v_mul_f32_e32 v4, v3, v4
	v_and_b32_e32 v5, 0x7f800000, v4
	s_delay_alu instid0(VALU_DEP_1)
	v_cmpx_ne_u32_e32 0x7f800000, v5
	s_xor_b32 s20, exec_lo, s20
; %bb.3922:                             ;   in Loop: Header=BB12_3209 Depth=1
	v_bfe_u32 v5, v4, 16, 1
	s_delay_alu instid0(VALU_DEP_1)
	v_add3_u32 v28, v4, v5, 0x7fff
                                        ; implicit-def: $vgpr4
; %bb.3923:                             ;   in Loop: Header=BB12_3209 Depth=1
	s_and_not1_saveexec_b32 s20, s20
; %bb.3924:                             ;   in Loop: Header=BB12_3209 Depth=1
	v_and_b32_e32 v5, 0xffff, v4
	v_or_b32_e32 v6, 0x10000, v4
	s_delay_alu instid0(VALU_DEP_2) | instskip(NEXT) | instid1(VALU_DEP_2)
	v_cmp_eq_u32_e32 vcc_lo, 0, v5
	v_cndmask_b32_e32 v28, v6, v4, vcc_lo
; %bb.3925:                             ;   in Loop: Header=BB12_3209 Depth=1
	s_or_b32 exec_lo, exec_lo, s20
	v_lshlrev_b32_e32 v4, 16, v29
	s_mov_b32 s20, exec_lo
                                        ; implicit-def: $vgpr31
	s_delay_alu instid0(VALU_DEP_1) | instskip(NEXT) | instid1(VALU_DEP_1)
	v_mul_f32_e32 v4, v3, v4
	v_and_b32_e32 v5, 0x7f800000, v4
	s_delay_alu instid0(VALU_DEP_1)
	v_cmpx_ne_u32_e32 0x7f800000, v5
	s_xor_b32 s20, exec_lo, s20
; %bb.3926:                             ;   in Loop: Header=BB12_3209 Depth=1
	v_bfe_u32 v5, v4, 16, 1
	s_delay_alu instid0(VALU_DEP_1)
	v_add3_u32 v31, v4, v5, 0x7fff
                                        ; implicit-def: $vgpr4
; %bb.3927:                             ;   in Loop: Header=BB12_3209 Depth=1
	s_and_not1_saveexec_b32 s20, s20
; %bb.3928:                             ;   in Loop: Header=BB12_3209 Depth=1
	v_and_b32_e32 v5, 0xffff, v4
	v_or_b32_e32 v6, 0x10000, v4
	s_delay_alu instid0(VALU_DEP_2) | instskip(NEXT) | instid1(VALU_DEP_2)
	v_cmp_eq_u32_e32 vcc_lo, 0, v5
	v_cndmask_b32_e32 v31, v6, v4, vcc_lo
; %bb.3929:                             ;   in Loop: Header=BB12_3209 Depth=1
	s_or_b32 exec_lo, exec_lo, s20
	v_and_b32_e32 v4, 0xffff0000, v29
	s_mov_b32 s20, exec_lo
                                        ; implicit-def: $vgpr29
	s_delay_alu instid0(VALU_DEP_1) | instskip(NEXT) | instid1(VALU_DEP_1)
	v_mul_f32_e32 v4, v3, v4
	v_and_b32_e32 v5, 0x7f800000, v4
	s_delay_alu instid0(VALU_DEP_1)
	v_cmpx_ne_u32_e32 0x7f800000, v5
	s_xor_b32 s20, exec_lo, s20
; %bb.3930:                             ;   in Loop: Header=BB12_3209 Depth=1
	v_bfe_u32 v5, v4, 16, 1
	s_delay_alu instid0(VALU_DEP_1)
	v_add3_u32 v29, v4, v5, 0x7fff
                                        ; implicit-def: $vgpr4
; %bb.3931:                             ;   in Loop: Header=BB12_3209 Depth=1
	s_and_not1_saveexec_b32 s20, s20
; %bb.3932:                             ;   in Loop: Header=BB12_3209 Depth=1
	v_and_b32_e32 v5, 0xffff, v4
	v_or_b32_e32 v6, 0x10000, v4
	s_delay_alu instid0(VALU_DEP_2) | instskip(NEXT) | instid1(VALU_DEP_2)
	v_cmp_eq_u32_e32 vcc_lo, 0, v5
	v_cndmask_b32_e32 v29, v6, v4, vcc_lo
; %bb.3933:                             ;   in Loop: Header=BB12_3209 Depth=1
	s_or_b32 exec_lo, exec_lo, s20
	v_lshlrev_b32_e32 v4, 16, v22
	s_mov_b32 s20, exec_lo
                                        ; implicit-def: $vgpr80
	s_delay_alu instid0(VALU_DEP_1) | instskip(NEXT) | instid1(VALU_DEP_1)
	v_mul_f32_e32 v4, v3, v4
	v_and_b32_e32 v5, 0x7f800000, v4
	s_delay_alu instid0(VALU_DEP_1)
	v_cmpx_ne_u32_e32 0x7f800000, v5
	s_xor_b32 s20, exec_lo, s20
; %bb.3934:                             ;   in Loop: Header=BB12_3209 Depth=1
	v_bfe_u32 v5, v4, 16, 1
	s_delay_alu instid0(VALU_DEP_1)
	v_add3_u32 v80, v4, v5, 0x7fff
                                        ; implicit-def: $vgpr4
; %bb.3935:                             ;   in Loop: Header=BB12_3209 Depth=1
	s_and_not1_saveexec_b32 s20, s20
; %bb.3936:                             ;   in Loop: Header=BB12_3209 Depth=1
	v_and_b32_e32 v5, 0xffff, v4
	v_or_b32_e32 v6, 0x10000, v4
	s_delay_alu instid0(VALU_DEP_2) | instskip(NEXT) | instid1(VALU_DEP_2)
	v_cmp_eq_u32_e32 vcc_lo, 0, v5
	v_cndmask_b32_e32 v80, v6, v4, vcc_lo
; %bb.3937:                             ;   in Loop: Header=BB12_3209 Depth=1
	s_or_b32 exec_lo, exec_lo, s20
	v_and_b32_e32 v4, 0xffff0000, v22
	s_mov_b32 s20, exec_lo
                                        ; implicit-def: $vgpr22
	s_delay_alu instid0(VALU_DEP_1) | instskip(NEXT) | instid1(VALU_DEP_1)
	v_mul_f32_e32 v4, v3, v4
	v_and_b32_e32 v5, 0x7f800000, v4
	s_delay_alu instid0(VALU_DEP_1)
	v_cmpx_ne_u32_e32 0x7f800000, v5
	s_xor_b32 s20, exec_lo, s20
; %bb.3938:                             ;   in Loop: Header=BB12_3209 Depth=1
	v_bfe_u32 v5, v4, 16, 1
	s_delay_alu instid0(VALU_DEP_1)
	v_add3_u32 v22, v4, v5, 0x7fff
                                        ; implicit-def: $vgpr4
; %bb.3939:                             ;   in Loop: Header=BB12_3209 Depth=1
	s_and_not1_saveexec_b32 s20, s20
; %bb.3940:                             ;   in Loop: Header=BB12_3209 Depth=1
	v_and_b32_e32 v5, 0xffff, v4
	v_or_b32_e32 v6, 0x10000, v4
	s_delay_alu instid0(VALU_DEP_2) | instskip(NEXT) | instid1(VALU_DEP_2)
	v_cmp_eq_u32_e32 vcc_lo, 0, v5
	v_cndmask_b32_e32 v22, v6, v4, vcc_lo
; %bb.3941:                             ;   in Loop: Header=BB12_3209 Depth=1
	s_or_b32 exec_lo, exec_lo, s20
	v_lshlrev_b32_e32 v4, 16, v23
	s_mov_b32 s20, exec_lo
                                        ; implicit-def: $vgpr81
	s_delay_alu instid0(VALU_DEP_1) | instskip(NEXT) | instid1(VALU_DEP_1)
	v_mul_f32_e32 v4, v3, v4
	v_and_b32_e32 v5, 0x7f800000, v4
	s_delay_alu instid0(VALU_DEP_1)
	v_cmpx_ne_u32_e32 0x7f800000, v5
	s_xor_b32 s20, exec_lo, s20
; %bb.3942:                             ;   in Loop: Header=BB12_3209 Depth=1
	v_bfe_u32 v5, v4, 16, 1
	s_delay_alu instid0(VALU_DEP_1)
	v_add3_u32 v81, v4, v5, 0x7fff
                                        ; implicit-def: $vgpr4
; %bb.3943:                             ;   in Loop: Header=BB12_3209 Depth=1
	s_and_not1_saveexec_b32 s20, s20
; %bb.3944:                             ;   in Loop: Header=BB12_3209 Depth=1
	v_and_b32_e32 v5, 0xffff, v4
	v_or_b32_e32 v6, 0x10000, v4
	s_delay_alu instid0(VALU_DEP_2) | instskip(NEXT) | instid1(VALU_DEP_2)
	v_cmp_eq_u32_e32 vcc_lo, 0, v5
	v_cndmask_b32_e32 v81, v6, v4, vcc_lo
; %bb.3945:                             ;   in Loop: Header=BB12_3209 Depth=1
	s_or_b32 exec_lo, exec_lo, s20
	v_and_b32_e32 v4, 0xffff0000, v23
	s_mov_b32 s20, exec_lo
                                        ; implicit-def: $vgpr23
	s_delay_alu instid0(VALU_DEP_1) | instskip(NEXT) | instid1(VALU_DEP_1)
	v_mul_f32_e32 v4, v3, v4
	v_and_b32_e32 v5, 0x7f800000, v4
	s_delay_alu instid0(VALU_DEP_1)
	v_cmpx_ne_u32_e32 0x7f800000, v5
	s_xor_b32 s20, exec_lo, s20
; %bb.3946:                             ;   in Loop: Header=BB12_3209 Depth=1
	v_bfe_u32 v5, v4, 16, 1
	s_delay_alu instid0(VALU_DEP_1)
	v_add3_u32 v23, v4, v5, 0x7fff
                                        ; implicit-def: $vgpr4
; %bb.3947:                             ;   in Loop: Header=BB12_3209 Depth=1
	s_and_not1_saveexec_b32 s20, s20
; %bb.3948:                             ;   in Loop: Header=BB12_3209 Depth=1
	v_and_b32_e32 v5, 0xffff, v4
	v_or_b32_e32 v6, 0x10000, v4
	s_delay_alu instid0(VALU_DEP_2) | instskip(NEXT) | instid1(VALU_DEP_2)
	v_cmp_eq_u32_e32 vcc_lo, 0, v5
	v_cndmask_b32_e32 v23, v6, v4, vcc_lo
; %bb.3949:                             ;   in Loop: Header=BB12_3209 Depth=1
	s_or_b32 exec_lo, exec_lo, s20
	v_lshlrev_b32_e32 v4, 16, v24
	s_mov_b32 s20, exec_lo
                                        ; implicit-def: $vgpr82
	s_delay_alu instid0(VALU_DEP_1) | instskip(NEXT) | instid1(VALU_DEP_1)
	v_mul_f32_e32 v4, v3, v4
	v_and_b32_e32 v5, 0x7f800000, v4
	s_delay_alu instid0(VALU_DEP_1)
	v_cmpx_ne_u32_e32 0x7f800000, v5
	s_xor_b32 s20, exec_lo, s20
; %bb.3950:                             ;   in Loop: Header=BB12_3209 Depth=1
	v_bfe_u32 v5, v4, 16, 1
	s_delay_alu instid0(VALU_DEP_1)
	v_add3_u32 v82, v4, v5, 0x7fff
                                        ; implicit-def: $vgpr4
; %bb.3951:                             ;   in Loop: Header=BB12_3209 Depth=1
	s_and_not1_saveexec_b32 s20, s20
; %bb.3952:                             ;   in Loop: Header=BB12_3209 Depth=1
	v_and_b32_e32 v5, 0xffff, v4
	v_or_b32_e32 v6, 0x10000, v4
	s_delay_alu instid0(VALU_DEP_2) | instskip(NEXT) | instid1(VALU_DEP_2)
	v_cmp_eq_u32_e32 vcc_lo, 0, v5
	v_cndmask_b32_e32 v82, v6, v4, vcc_lo
; %bb.3953:                             ;   in Loop: Header=BB12_3209 Depth=1
	s_or_b32 exec_lo, exec_lo, s20
	v_and_b32_e32 v4, 0xffff0000, v24
	s_mov_b32 s20, exec_lo
                                        ; implicit-def: $vgpr24
	s_delay_alu instid0(VALU_DEP_1) | instskip(NEXT) | instid1(VALU_DEP_1)
	v_mul_f32_e32 v4, v3, v4
	v_and_b32_e32 v5, 0x7f800000, v4
	s_delay_alu instid0(VALU_DEP_1)
	v_cmpx_ne_u32_e32 0x7f800000, v5
	s_xor_b32 s20, exec_lo, s20
; %bb.3954:                             ;   in Loop: Header=BB12_3209 Depth=1
	v_bfe_u32 v5, v4, 16, 1
	s_delay_alu instid0(VALU_DEP_1)
	v_add3_u32 v24, v4, v5, 0x7fff
                                        ; implicit-def: $vgpr4
; %bb.3955:                             ;   in Loop: Header=BB12_3209 Depth=1
	s_and_not1_saveexec_b32 s20, s20
; %bb.3956:                             ;   in Loop: Header=BB12_3209 Depth=1
	v_and_b32_e32 v5, 0xffff, v4
	v_or_b32_e32 v6, 0x10000, v4
	s_delay_alu instid0(VALU_DEP_2) | instskip(NEXT) | instid1(VALU_DEP_2)
	v_cmp_eq_u32_e32 vcc_lo, 0, v5
	v_cndmask_b32_e32 v24, v6, v4, vcc_lo
; %bb.3957:                             ;   in Loop: Header=BB12_3209 Depth=1
	s_or_b32 exec_lo, exec_lo, s20
	v_lshlrev_b32_e32 v4, 16, v25
	s_mov_b32 s20, exec_lo
                                        ; implicit-def: $vgpr83
	s_delay_alu instid0(VALU_DEP_1) | instskip(NEXT) | instid1(VALU_DEP_1)
	v_mul_f32_e32 v4, v3, v4
	v_and_b32_e32 v5, 0x7f800000, v4
	s_delay_alu instid0(VALU_DEP_1)
	v_cmpx_ne_u32_e32 0x7f800000, v5
	s_xor_b32 s20, exec_lo, s20
; %bb.3958:                             ;   in Loop: Header=BB12_3209 Depth=1
	v_bfe_u32 v5, v4, 16, 1
	s_delay_alu instid0(VALU_DEP_1)
	v_add3_u32 v83, v4, v5, 0x7fff
                                        ; implicit-def: $vgpr4
; %bb.3959:                             ;   in Loop: Header=BB12_3209 Depth=1
	s_and_not1_saveexec_b32 s20, s20
; %bb.3960:                             ;   in Loop: Header=BB12_3209 Depth=1
	v_and_b32_e32 v5, 0xffff, v4
	v_or_b32_e32 v6, 0x10000, v4
	s_delay_alu instid0(VALU_DEP_2) | instskip(NEXT) | instid1(VALU_DEP_2)
	v_cmp_eq_u32_e32 vcc_lo, 0, v5
	v_cndmask_b32_e32 v83, v6, v4, vcc_lo
; %bb.3961:                             ;   in Loop: Header=BB12_3209 Depth=1
	s_or_b32 exec_lo, exec_lo, s20
	v_and_b32_e32 v4, 0xffff0000, v25
	s_mov_b32 s20, exec_lo
                                        ; implicit-def: $vgpr25
	s_delay_alu instid0(VALU_DEP_1) | instskip(NEXT) | instid1(VALU_DEP_1)
	v_mul_f32_e32 v4, v3, v4
	v_and_b32_e32 v5, 0x7f800000, v4
	s_delay_alu instid0(VALU_DEP_1)
	v_cmpx_ne_u32_e32 0x7f800000, v5
	s_xor_b32 s20, exec_lo, s20
; %bb.3962:                             ;   in Loop: Header=BB12_3209 Depth=1
	v_bfe_u32 v5, v4, 16, 1
	s_delay_alu instid0(VALU_DEP_1)
	v_add3_u32 v25, v4, v5, 0x7fff
                                        ; implicit-def: $vgpr4
; %bb.3963:                             ;   in Loop: Header=BB12_3209 Depth=1
	s_and_not1_saveexec_b32 s20, s20
; %bb.3964:                             ;   in Loop: Header=BB12_3209 Depth=1
	v_and_b32_e32 v5, 0xffff, v4
	v_or_b32_e32 v6, 0x10000, v4
	s_delay_alu instid0(VALU_DEP_2) | instskip(NEXT) | instid1(VALU_DEP_2)
	v_cmp_eq_u32_e32 vcc_lo, 0, v5
	v_cndmask_b32_e32 v25, v6, v4, vcc_lo
; %bb.3965:                             ;   in Loop: Header=BB12_3209 Depth=1
	s_or_b32 exec_lo, exec_lo, s20
	v_lshlrev_b32_e32 v4, 16, v18
	s_mov_b32 s20, exec_lo
                                        ; implicit-def: $vgpr84
	s_delay_alu instid0(VALU_DEP_1) | instskip(NEXT) | instid1(VALU_DEP_1)
	v_mul_f32_e32 v4, v3, v4
	v_and_b32_e32 v5, 0x7f800000, v4
	s_delay_alu instid0(VALU_DEP_1)
	v_cmpx_ne_u32_e32 0x7f800000, v5
	s_xor_b32 s20, exec_lo, s20
; %bb.3966:                             ;   in Loop: Header=BB12_3209 Depth=1
	v_bfe_u32 v5, v4, 16, 1
	s_delay_alu instid0(VALU_DEP_1)
	v_add3_u32 v84, v4, v5, 0x7fff
                                        ; implicit-def: $vgpr4
; %bb.3967:                             ;   in Loop: Header=BB12_3209 Depth=1
	s_and_not1_saveexec_b32 s20, s20
; %bb.3968:                             ;   in Loop: Header=BB12_3209 Depth=1
	v_and_b32_e32 v5, 0xffff, v4
	v_or_b32_e32 v6, 0x10000, v4
	s_delay_alu instid0(VALU_DEP_2) | instskip(NEXT) | instid1(VALU_DEP_2)
	v_cmp_eq_u32_e32 vcc_lo, 0, v5
	v_cndmask_b32_e32 v84, v6, v4, vcc_lo
; %bb.3969:                             ;   in Loop: Header=BB12_3209 Depth=1
	s_or_b32 exec_lo, exec_lo, s20
	v_and_b32_e32 v4, 0xffff0000, v18
	s_mov_b32 s20, exec_lo
                                        ; implicit-def: $vgpr18
	s_delay_alu instid0(VALU_DEP_1) | instskip(NEXT) | instid1(VALU_DEP_1)
	v_mul_f32_e32 v4, v3, v4
	v_and_b32_e32 v5, 0x7f800000, v4
	s_delay_alu instid0(VALU_DEP_1)
	v_cmpx_ne_u32_e32 0x7f800000, v5
	s_xor_b32 s20, exec_lo, s20
; %bb.3970:                             ;   in Loop: Header=BB12_3209 Depth=1
	v_bfe_u32 v5, v4, 16, 1
	s_delay_alu instid0(VALU_DEP_1)
	v_add3_u32 v18, v4, v5, 0x7fff
                                        ; implicit-def: $vgpr4
; %bb.3971:                             ;   in Loop: Header=BB12_3209 Depth=1
	s_and_not1_saveexec_b32 s20, s20
; %bb.3972:                             ;   in Loop: Header=BB12_3209 Depth=1
	v_and_b32_e32 v5, 0xffff, v4
	v_or_b32_e32 v6, 0x10000, v4
	s_delay_alu instid0(VALU_DEP_2) | instskip(NEXT) | instid1(VALU_DEP_2)
	v_cmp_eq_u32_e32 vcc_lo, 0, v5
	v_cndmask_b32_e32 v18, v6, v4, vcc_lo
; %bb.3973:                             ;   in Loop: Header=BB12_3209 Depth=1
	s_or_b32 exec_lo, exec_lo, s20
	v_lshlrev_b32_e32 v4, 16, v19
	s_mov_b32 s20, exec_lo
                                        ; implicit-def: $vgpr85
	s_delay_alu instid0(VALU_DEP_1) | instskip(NEXT) | instid1(VALU_DEP_1)
	v_mul_f32_e32 v4, v3, v4
	v_and_b32_e32 v5, 0x7f800000, v4
	s_delay_alu instid0(VALU_DEP_1)
	v_cmpx_ne_u32_e32 0x7f800000, v5
	s_xor_b32 s20, exec_lo, s20
; %bb.3974:                             ;   in Loop: Header=BB12_3209 Depth=1
	v_bfe_u32 v5, v4, 16, 1
	s_delay_alu instid0(VALU_DEP_1)
	v_add3_u32 v85, v4, v5, 0x7fff
                                        ; implicit-def: $vgpr4
; %bb.3975:                             ;   in Loop: Header=BB12_3209 Depth=1
	s_and_not1_saveexec_b32 s20, s20
; %bb.3976:                             ;   in Loop: Header=BB12_3209 Depth=1
	v_and_b32_e32 v5, 0xffff, v4
	v_or_b32_e32 v6, 0x10000, v4
	s_delay_alu instid0(VALU_DEP_2) | instskip(NEXT) | instid1(VALU_DEP_2)
	v_cmp_eq_u32_e32 vcc_lo, 0, v5
	v_cndmask_b32_e32 v85, v6, v4, vcc_lo
; %bb.3977:                             ;   in Loop: Header=BB12_3209 Depth=1
	s_or_b32 exec_lo, exec_lo, s20
	v_and_b32_e32 v4, 0xffff0000, v19
	s_mov_b32 s20, exec_lo
                                        ; implicit-def: $vgpr19
	s_delay_alu instid0(VALU_DEP_1) | instskip(NEXT) | instid1(VALU_DEP_1)
	v_mul_f32_e32 v4, v3, v4
	v_and_b32_e32 v5, 0x7f800000, v4
	s_delay_alu instid0(VALU_DEP_1)
	v_cmpx_ne_u32_e32 0x7f800000, v5
	s_xor_b32 s20, exec_lo, s20
; %bb.3978:                             ;   in Loop: Header=BB12_3209 Depth=1
	v_bfe_u32 v5, v4, 16, 1
	s_delay_alu instid0(VALU_DEP_1)
	v_add3_u32 v19, v4, v5, 0x7fff
                                        ; implicit-def: $vgpr4
; %bb.3979:                             ;   in Loop: Header=BB12_3209 Depth=1
	s_and_not1_saveexec_b32 s20, s20
; %bb.3980:                             ;   in Loop: Header=BB12_3209 Depth=1
	v_and_b32_e32 v5, 0xffff, v4
	v_or_b32_e32 v6, 0x10000, v4
	s_delay_alu instid0(VALU_DEP_2) | instskip(NEXT) | instid1(VALU_DEP_2)
	v_cmp_eq_u32_e32 vcc_lo, 0, v5
	v_cndmask_b32_e32 v19, v6, v4, vcc_lo
; %bb.3981:                             ;   in Loop: Header=BB12_3209 Depth=1
	s_or_b32 exec_lo, exec_lo, s20
	v_lshlrev_b32_e32 v4, 16, v20
	s_mov_b32 s20, exec_lo
                                        ; implicit-def: $vgpr86
	s_delay_alu instid0(VALU_DEP_1) | instskip(NEXT) | instid1(VALU_DEP_1)
	v_mul_f32_e32 v4, v3, v4
	v_and_b32_e32 v5, 0x7f800000, v4
	s_delay_alu instid0(VALU_DEP_1)
	v_cmpx_ne_u32_e32 0x7f800000, v5
	s_xor_b32 s20, exec_lo, s20
; %bb.3982:                             ;   in Loop: Header=BB12_3209 Depth=1
	v_bfe_u32 v5, v4, 16, 1
	s_delay_alu instid0(VALU_DEP_1)
	v_add3_u32 v86, v4, v5, 0x7fff
                                        ; implicit-def: $vgpr4
; %bb.3983:                             ;   in Loop: Header=BB12_3209 Depth=1
	s_and_not1_saveexec_b32 s20, s20
; %bb.3984:                             ;   in Loop: Header=BB12_3209 Depth=1
	v_and_b32_e32 v5, 0xffff, v4
	v_or_b32_e32 v6, 0x10000, v4
	s_delay_alu instid0(VALU_DEP_2) | instskip(NEXT) | instid1(VALU_DEP_2)
	v_cmp_eq_u32_e32 vcc_lo, 0, v5
	v_cndmask_b32_e32 v86, v6, v4, vcc_lo
; %bb.3985:                             ;   in Loop: Header=BB12_3209 Depth=1
	s_or_b32 exec_lo, exec_lo, s20
	v_and_b32_e32 v4, 0xffff0000, v20
	s_mov_b32 s20, exec_lo
                                        ; implicit-def: $vgpr20
	s_delay_alu instid0(VALU_DEP_1) | instskip(NEXT) | instid1(VALU_DEP_1)
	v_mul_f32_e32 v4, v3, v4
	v_and_b32_e32 v5, 0x7f800000, v4
	s_delay_alu instid0(VALU_DEP_1)
	v_cmpx_ne_u32_e32 0x7f800000, v5
	s_xor_b32 s20, exec_lo, s20
; %bb.3986:                             ;   in Loop: Header=BB12_3209 Depth=1
	v_bfe_u32 v5, v4, 16, 1
	s_delay_alu instid0(VALU_DEP_1)
	v_add3_u32 v20, v4, v5, 0x7fff
                                        ; implicit-def: $vgpr4
; %bb.3987:                             ;   in Loop: Header=BB12_3209 Depth=1
	s_and_not1_saveexec_b32 s20, s20
; %bb.3988:                             ;   in Loop: Header=BB12_3209 Depth=1
	v_and_b32_e32 v5, 0xffff, v4
	v_or_b32_e32 v6, 0x10000, v4
	s_delay_alu instid0(VALU_DEP_2) | instskip(NEXT) | instid1(VALU_DEP_2)
	v_cmp_eq_u32_e32 vcc_lo, 0, v5
	v_cndmask_b32_e32 v20, v6, v4, vcc_lo
; %bb.3989:                             ;   in Loop: Header=BB12_3209 Depth=1
	s_or_b32 exec_lo, exec_lo, s20
	v_lshlrev_b32_e32 v4, 16, v21
	s_delay_alu instid0(VALU_DEP_1) | instskip(NEXT) | instid1(VALU_DEP_1)
	v_mul_f32_e32 v5, v3, v4
	v_and_b32_e32 v4, 0x7f800000, v5
	s_delay_alu instid0(VALU_DEP_1) | instskip(SKIP_1) | instid1(SALU_CYCLE_1)
	v_cmp_ne_u32_e32 vcc_lo, 0x7f800000, v4
                                        ; implicit-def: $vgpr4
	s_and_saveexec_b32 s20, vcc_lo
	s_xor_b32 s20, exec_lo, s20
; %bb.3990:                             ;   in Loop: Header=BB12_3209 Depth=1
	v_bfe_u32 v4, v5, 16, 1
	s_delay_alu instid0(VALU_DEP_1)
	v_add3_u32 v4, v5, v4, 0x7fff
                                        ; implicit-def: $vgpr5
; %bb.3991:                             ;   in Loop: Header=BB12_3209 Depth=1
	s_and_not1_saveexec_b32 s20, s20
; %bb.3992:                             ;   in Loop: Header=BB12_3209 Depth=1
	v_and_b32_e32 v4, 0xffff, v5
	v_or_b32_e32 v6, 0x10000, v5
	s_delay_alu instid0(VALU_DEP_2) | instskip(NEXT) | instid1(VALU_DEP_2)
	v_cmp_eq_u32_e32 vcc_lo, 0, v4
	v_cndmask_b32_e32 v4, v6, v5, vcc_lo
; %bb.3993:                             ;   in Loop: Header=BB12_3209 Depth=1
	s_or_b32 exec_lo, exec_lo, s20
	v_and_b32_e32 v5, 0xffff0000, v21
	s_delay_alu instid0(VALU_DEP_1) | instskip(NEXT) | instid1(VALU_DEP_1)
	v_mul_f32_e32 v6, v3, v5
	v_and_b32_e32 v5, 0x7f800000, v6
	s_delay_alu instid0(VALU_DEP_1) | instskip(SKIP_1) | instid1(SALU_CYCLE_1)
	v_cmp_ne_u32_e32 vcc_lo, 0x7f800000, v5
                                        ; implicit-def: $vgpr5
	s_and_saveexec_b32 s20, vcc_lo
	s_xor_b32 s20, exec_lo, s20
; %bb.3994:                             ;   in Loop: Header=BB12_3209 Depth=1
	v_bfe_u32 v5, v6, 16, 1
	s_delay_alu instid0(VALU_DEP_1)
	v_add3_u32 v5, v6, v5, 0x7fff
                                        ; implicit-def: $vgpr6
; %bb.3995:                             ;   in Loop: Header=BB12_3209 Depth=1
	s_and_not1_saveexec_b32 s20, s20
; %bb.3996:                             ;   in Loop: Header=BB12_3209 Depth=1
	v_and_b32_e32 v5, 0xffff, v6
	v_or_b32_e32 v7, 0x10000, v6
	s_delay_alu instid0(VALU_DEP_2) | instskip(NEXT) | instid1(VALU_DEP_2)
	v_cmp_eq_u32_e32 vcc_lo, 0, v5
	v_cndmask_b32_e32 v5, v7, v6, vcc_lo
; %bb.3997:                             ;   in Loop: Header=BB12_3209 Depth=1
	s_or_b32 exec_lo, exec_lo, s20
	v_lshlrev_b32_e32 v6, 16, v14
	s_mov_b32 s20, exec_lo
                                        ; implicit-def: $vgpr21
	s_delay_alu instid0(VALU_DEP_1) | instskip(NEXT) | instid1(VALU_DEP_1)
	v_mul_f32_e32 v6, v3, v6
	v_and_b32_e32 v7, 0x7f800000, v6
	s_delay_alu instid0(VALU_DEP_1)
	v_cmpx_ne_u32_e32 0x7f800000, v7
	s_xor_b32 s20, exec_lo, s20
; %bb.3998:                             ;   in Loop: Header=BB12_3209 Depth=1
	v_bfe_u32 v7, v6, 16, 1
	s_delay_alu instid0(VALU_DEP_1)
	v_add3_u32 v21, v6, v7, 0x7fff
                                        ; implicit-def: $vgpr6
; %bb.3999:                             ;   in Loop: Header=BB12_3209 Depth=1
	s_and_not1_saveexec_b32 s20, s20
; %bb.4000:                             ;   in Loop: Header=BB12_3209 Depth=1
	v_and_b32_e32 v7, 0xffff, v6
	v_or_b32_e32 v8, 0x10000, v6
	s_delay_alu instid0(VALU_DEP_2) | instskip(NEXT) | instid1(VALU_DEP_2)
	v_cmp_eq_u32_e32 vcc_lo, 0, v7
	v_cndmask_b32_e32 v21, v8, v6, vcc_lo
; %bb.4001:                             ;   in Loop: Header=BB12_3209 Depth=1
	s_or_b32 exec_lo, exec_lo, s20
	v_and_b32_e32 v6, 0xffff0000, v14
	s_mov_b32 s20, exec_lo
                                        ; implicit-def: $vgpr14
	s_delay_alu instid0(VALU_DEP_1) | instskip(NEXT) | instid1(VALU_DEP_1)
	v_mul_f32_e32 v6, v3, v6
	v_and_b32_e32 v7, 0x7f800000, v6
	s_delay_alu instid0(VALU_DEP_1)
	v_cmpx_ne_u32_e32 0x7f800000, v7
	s_xor_b32 s20, exec_lo, s20
; %bb.4002:                             ;   in Loop: Header=BB12_3209 Depth=1
	v_bfe_u32 v7, v6, 16, 1
	s_delay_alu instid0(VALU_DEP_1)
	v_add3_u32 v14, v6, v7, 0x7fff
                                        ; implicit-def: $vgpr6
; %bb.4003:                             ;   in Loop: Header=BB12_3209 Depth=1
	s_and_not1_saveexec_b32 s20, s20
; %bb.4004:                             ;   in Loop: Header=BB12_3209 Depth=1
	v_and_b32_e32 v7, 0xffff, v6
	v_or_b32_e32 v8, 0x10000, v6
	s_delay_alu instid0(VALU_DEP_2) | instskip(NEXT) | instid1(VALU_DEP_2)
	v_cmp_eq_u32_e32 vcc_lo, 0, v7
	v_cndmask_b32_e32 v14, v8, v6, vcc_lo
; %bb.4005:                             ;   in Loop: Header=BB12_3209 Depth=1
	s_or_b32 exec_lo, exec_lo, s20
	v_lshlrev_b32_e32 v6, 16, v15
	s_mov_b32 s20, exec_lo
                                        ; implicit-def: $vgpr87
	s_delay_alu instid0(VALU_DEP_1) | instskip(NEXT) | instid1(VALU_DEP_1)
	v_mul_f32_e32 v6, v3, v6
	v_and_b32_e32 v7, 0x7f800000, v6
	s_delay_alu instid0(VALU_DEP_1)
	v_cmpx_ne_u32_e32 0x7f800000, v7
	s_xor_b32 s20, exec_lo, s20
; %bb.4006:                             ;   in Loop: Header=BB12_3209 Depth=1
	v_bfe_u32 v7, v6, 16, 1
	s_delay_alu instid0(VALU_DEP_1)
	v_add3_u32 v87, v6, v7, 0x7fff
                                        ; implicit-def: $vgpr6
; %bb.4007:                             ;   in Loop: Header=BB12_3209 Depth=1
	s_and_not1_saveexec_b32 s20, s20
; %bb.4008:                             ;   in Loop: Header=BB12_3209 Depth=1
	v_and_b32_e32 v7, 0xffff, v6
	v_or_b32_e32 v8, 0x10000, v6
	s_delay_alu instid0(VALU_DEP_2) | instskip(NEXT) | instid1(VALU_DEP_2)
	v_cmp_eq_u32_e32 vcc_lo, 0, v7
	v_cndmask_b32_e32 v87, v8, v6, vcc_lo
; %bb.4009:                             ;   in Loop: Header=BB12_3209 Depth=1
	s_or_b32 exec_lo, exec_lo, s20
	v_and_b32_e32 v6, 0xffff0000, v15
	s_mov_b32 s20, exec_lo
                                        ; implicit-def: $vgpr15
	s_delay_alu instid0(VALU_DEP_1) | instskip(NEXT) | instid1(VALU_DEP_1)
	v_mul_f32_e32 v6, v3, v6
	v_and_b32_e32 v7, 0x7f800000, v6
	s_delay_alu instid0(VALU_DEP_1)
	v_cmpx_ne_u32_e32 0x7f800000, v7
	s_xor_b32 s20, exec_lo, s20
; %bb.4010:                             ;   in Loop: Header=BB12_3209 Depth=1
	v_bfe_u32 v7, v6, 16, 1
	s_delay_alu instid0(VALU_DEP_1)
	v_add3_u32 v15, v6, v7, 0x7fff
                                        ; implicit-def: $vgpr6
; %bb.4011:                             ;   in Loop: Header=BB12_3209 Depth=1
	s_and_not1_saveexec_b32 s20, s20
; %bb.4012:                             ;   in Loop: Header=BB12_3209 Depth=1
	v_and_b32_e32 v7, 0xffff, v6
	v_or_b32_e32 v8, 0x10000, v6
	s_delay_alu instid0(VALU_DEP_2) | instskip(NEXT) | instid1(VALU_DEP_2)
	v_cmp_eq_u32_e32 vcc_lo, 0, v7
	v_cndmask_b32_e32 v15, v8, v6, vcc_lo
; %bb.4013:                             ;   in Loop: Header=BB12_3209 Depth=1
	s_or_b32 exec_lo, exec_lo, s20
	v_lshlrev_b32_e32 v6, 16, v16
	s_mov_b32 s20, exec_lo
                                        ; implicit-def: $vgpr96
	s_delay_alu instid0(VALU_DEP_1) | instskip(NEXT) | instid1(VALU_DEP_1)
	v_mul_f32_e32 v6, v3, v6
	v_and_b32_e32 v7, 0x7f800000, v6
	s_delay_alu instid0(VALU_DEP_1)
	v_cmpx_ne_u32_e32 0x7f800000, v7
	s_xor_b32 s20, exec_lo, s20
; %bb.4014:                             ;   in Loop: Header=BB12_3209 Depth=1
	v_bfe_u32 v7, v6, 16, 1
	s_delay_alu instid0(VALU_DEP_1)
	v_add3_u32 v96, v6, v7, 0x7fff
                                        ; implicit-def: $vgpr6
; %bb.4015:                             ;   in Loop: Header=BB12_3209 Depth=1
	s_and_not1_saveexec_b32 s20, s20
; %bb.4016:                             ;   in Loop: Header=BB12_3209 Depth=1
	v_and_b32_e32 v7, 0xffff, v6
	v_or_b32_e32 v8, 0x10000, v6
	s_delay_alu instid0(VALU_DEP_2) | instskip(NEXT) | instid1(VALU_DEP_2)
	v_cmp_eq_u32_e32 vcc_lo, 0, v7
	v_cndmask_b32_e32 v96, v8, v6, vcc_lo
; %bb.4017:                             ;   in Loop: Header=BB12_3209 Depth=1
	s_or_b32 exec_lo, exec_lo, s20
	v_and_b32_e32 v6, 0xffff0000, v16
	s_mov_b32 s20, exec_lo
                                        ; implicit-def: $vgpr16
	s_delay_alu instid0(VALU_DEP_1) | instskip(NEXT) | instid1(VALU_DEP_1)
	v_mul_f32_e32 v6, v3, v6
	v_and_b32_e32 v7, 0x7f800000, v6
	s_delay_alu instid0(VALU_DEP_1)
	v_cmpx_ne_u32_e32 0x7f800000, v7
	s_xor_b32 s20, exec_lo, s20
; %bb.4018:                             ;   in Loop: Header=BB12_3209 Depth=1
	v_bfe_u32 v7, v6, 16, 1
	s_delay_alu instid0(VALU_DEP_1)
	v_add3_u32 v16, v6, v7, 0x7fff
                                        ; implicit-def: $vgpr6
; %bb.4019:                             ;   in Loop: Header=BB12_3209 Depth=1
	s_and_not1_saveexec_b32 s20, s20
; %bb.4020:                             ;   in Loop: Header=BB12_3209 Depth=1
	v_and_b32_e32 v7, 0xffff, v6
	v_or_b32_e32 v8, 0x10000, v6
	s_delay_alu instid0(VALU_DEP_2) | instskip(NEXT) | instid1(VALU_DEP_2)
	v_cmp_eq_u32_e32 vcc_lo, 0, v7
	v_cndmask_b32_e32 v16, v8, v6, vcc_lo
; %bb.4021:                             ;   in Loop: Header=BB12_3209 Depth=1
	s_or_b32 exec_lo, exec_lo, s20
	v_lshlrev_b32_e32 v6, 16, v17
	s_mov_b32 s20, exec_lo
                                        ; implicit-def: $vgpr97
	s_delay_alu instid0(VALU_DEP_1) | instskip(NEXT) | instid1(VALU_DEP_1)
	v_mul_f32_e32 v6, v3, v6
	v_and_b32_e32 v7, 0x7f800000, v6
	s_delay_alu instid0(VALU_DEP_1)
	v_cmpx_ne_u32_e32 0x7f800000, v7
	s_xor_b32 s20, exec_lo, s20
; %bb.4022:                             ;   in Loop: Header=BB12_3209 Depth=1
	v_bfe_u32 v7, v6, 16, 1
	s_delay_alu instid0(VALU_DEP_1)
	v_add3_u32 v97, v6, v7, 0x7fff
                                        ; implicit-def: $vgpr6
; %bb.4023:                             ;   in Loop: Header=BB12_3209 Depth=1
	s_and_not1_saveexec_b32 s20, s20
; %bb.4024:                             ;   in Loop: Header=BB12_3209 Depth=1
	v_and_b32_e32 v7, 0xffff, v6
	v_or_b32_e32 v8, 0x10000, v6
	s_delay_alu instid0(VALU_DEP_2) | instskip(NEXT) | instid1(VALU_DEP_2)
	v_cmp_eq_u32_e32 vcc_lo, 0, v7
	v_cndmask_b32_e32 v97, v8, v6, vcc_lo
; %bb.4025:                             ;   in Loop: Header=BB12_3209 Depth=1
	s_or_b32 exec_lo, exec_lo, s20
	v_and_b32_e32 v6, 0xffff0000, v17
	s_mov_b32 s20, exec_lo
                                        ; implicit-def: $vgpr98
	s_delay_alu instid0(VALU_DEP_1) | instskip(NEXT) | instid1(VALU_DEP_1)
	v_mul_f32_e32 v6, v3, v6
	v_and_b32_e32 v7, 0x7f800000, v6
	s_delay_alu instid0(VALU_DEP_1)
	v_cmpx_ne_u32_e32 0x7f800000, v7
	s_xor_b32 s20, exec_lo, s20
; %bb.4026:                             ;   in Loop: Header=BB12_3209 Depth=1
	v_bfe_u32 v7, v6, 16, 1
	s_delay_alu instid0(VALU_DEP_1)
	v_add3_u32 v98, v6, v7, 0x7fff
                                        ; implicit-def: $vgpr6
; %bb.4027:                             ;   in Loop: Header=BB12_3209 Depth=1
	s_and_not1_saveexec_b32 s20, s20
; %bb.4028:                             ;   in Loop: Header=BB12_3209 Depth=1
	v_and_b32_e32 v7, 0xffff, v6
	v_or_b32_e32 v8, 0x10000, v6
	s_delay_alu instid0(VALU_DEP_2) | instskip(NEXT) | instid1(VALU_DEP_2)
	v_cmp_eq_u32_e32 vcc_lo, 0, v7
	v_cndmask_b32_e32 v98, v8, v6, vcc_lo
; %bb.4029:                             ;   in Loop: Header=BB12_3209 Depth=1
	s_or_b32 exec_lo, exec_lo, s20
	v_lshlrev_b32_e32 v6, 16, v10
	s_mov_b32 s20, exec_lo
                                        ; implicit-def: $vgpr17
	s_delay_alu instid0(VALU_DEP_1) | instskip(NEXT) | instid1(VALU_DEP_1)
	v_mul_f32_e32 v6, v3, v6
	v_and_b32_e32 v7, 0x7f800000, v6
	s_delay_alu instid0(VALU_DEP_1)
	v_cmpx_ne_u32_e32 0x7f800000, v7
	s_xor_b32 s20, exec_lo, s20
; %bb.4030:                             ;   in Loop: Header=BB12_3209 Depth=1
	v_bfe_u32 v7, v6, 16, 1
	s_delay_alu instid0(VALU_DEP_1)
	v_add3_u32 v17, v6, v7, 0x7fff
                                        ; implicit-def: $vgpr6
; %bb.4031:                             ;   in Loop: Header=BB12_3209 Depth=1
	s_and_not1_saveexec_b32 s20, s20
; %bb.4032:                             ;   in Loop: Header=BB12_3209 Depth=1
	v_and_b32_e32 v7, 0xffff, v6
	v_or_b32_e32 v8, 0x10000, v6
	s_delay_alu instid0(VALU_DEP_2) | instskip(NEXT) | instid1(VALU_DEP_2)
	v_cmp_eq_u32_e32 vcc_lo, 0, v7
	v_cndmask_b32_e32 v17, v8, v6, vcc_lo
; %bb.4033:                             ;   in Loop: Header=BB12_3209 Depth=1
	s_or_b32 exec_lo, exec_lo, s20
	v_and_b32_e32 v6, 0xffff0000, v10
	s_mov_b32 s20, exec_lo
                                        ; implicit-def: $vgpr10
	s_delay_alu instid0(VALU_DEP_1) | instskip(NEXT) | instid1(VALU_DEP_1)
	v_mul_f32_e32 v6, v3, v6
	v_and_b32_e32 v7, 0x7f800000, v6
	s_delay_alu instid0(VALU_DEP_1)
	v_cmpx_ne_u32_e32 0x7f800000, v7
	s_xor_b32 s20, exec_lo, s20
; %bb.4034:                             ;   in Loop: Header=BB12_3209 Depth=1
	v_bfe_u32 v7, v6, 16, 1
	s_delay_alu instid0(VALU_DEP_1)
	v_add3_u32 v10, v6, v7, 0x7fff
                                        ; implicit-def: $vgpr6
; %bb.4035:                             ;   in Loop: Header=BB12_3209 Depth=1
	s_and_not1_saveexec_b32 s20, s20
; %bb.4036:                             ;   in Loop: Header=BB12_3209 Depth=1
	v_and_b32_e32 v7, 0xffff, v6
	v_or_b32_e32 v8, 0x10000, v6
	s_delay_alu instid0(VALU_DEP_2) | instskip(NEXT) | instid1(VALU_DEP_2)
	v_cmp_eq_u32_e32 vcc_lo, 0, v7
	v_cndmask_b32_e32 v10, v8, v6, vcc_lo
; %bb.4037:                             ;   in Loop: Header=BB12_3209 Depth=1
	s_or_b32 exec_lo, exec_lo, s20
	v_lshlrev_b32_e32 v6, 16, v11
	s_mov_b32 s20, exec_lo
                                        ; implicit-def: $vgpr99
	s_delay_alu instid0(VALU_DEP_1) | instskip(NEXT) | instid1(VALU_DEP_1)
	v_mul_f32_e32 v6, v3, v6
	v_and_b32_e32 v7, 0x7f800000, v6
	s_delay_alu instid0(VALU_DEP_1)
	v_cmpx_ne_u32_e32 0x7f800000, v7
	s_xor_b32 s20, exec_lo, s20
; %bb.4038:                             ;   in Loop: Header=BB12_3209 Depth=1
	v_bfe_u32 v7, v6, 16, 1
	s_delay_alu instid0(VALU_DEP_1)
	v_add3_u32 v99, v6, v7, 0x7fff
                                        ; implicit-def: $vgpr6
; %bb.4039:                             ;   in Loop: Header=BB12_3209 Depth=1
	s_and_not1_saveexec_b32 s20, s20
; %bb.4040:                             ;   in Loop: Header=BB12_3209 Depth=1
	v_and_b32_e32 v7, 0xffff, v6
	v_or_b32_e32 v8, 0x10000, v6
	s_delay_alu instid0(VALU_DEP_2) | instskip(NEXT) | instid1(VALU_DEP_2)
	v_cmp_eq_u32_e32 vcc_lo, 0, v7
	v_cndmask_b32_e32 v99, v8, v6, vcc_lo
; %bb.4041:                             ;   in Loop: Header=BB12_3209 Depth=1
	s_or_b32 exec_lo, exec_lo, s20
	v_and_b32_e32 v6, 0xffff0000, v11
	s_mov_b32 s20, exec_lo
                                        ; implicit-def: $vgpr11
	s_delay_alu instid0(VALU_DEP_1) | instskip(NEXT) | instid1(VALU_DEP_1)
	v_mul_f32_e32 v6, v3, v6
	v_and_b32_e32 v7, 0x7f800000, v6
	s_delay_alu instid0(VALU_DEP_1)
	v_cmpx_ne_u32_e32 0x7f800000, v7
	s_xor_b32 s20, exec_lo, s20
; %bb.4042:                             ;   in Loop: Header=BB12_3209 Depth=1
	v_bfe_u32 v7, v6, 16, 1
	s_delay_alu instid0(VALU_DEP_1)
	v_add3_u32 v11, v6, v7, 0x7fff
                                        ; implicit-def: $vgpr6
; %bb.4043:                             ;   in Loop: Header=BB12_3209 Depth=1
	s_and_not1_saveexec_b32 s20, s20
; %bb.4044:                             ;   in Loop: Header=BB12_3209 Depth=1
	v_and_b32_e32 v7, 0xffff, v6
	v_or_b32_e32 v8, 0x10000, v6
	s_delay_alu instid0(VALU_DEP_2) | instskip(NEXT) | instid1(VALU_DEP_2)
	v_cmp_eq_u32_e32 vcc_lo, 0, v7
	v_cndmask_b32_e32 v11, v8, v6, vcc_lo
; %bb.4045:                             ;   in Loop: Header=BB12_3209 Depth=1
	s_or_b32 exec_lo, exec_lo, s20
	v_lshlrev_b32_e32 v6, 16, v12
	s_mov_b32 s20, exec_lo
                                        ; implicit-def: $vgpr100
	s_delay_alu instid0(VALU_DEP_1) | instskip(NEXT) | instid1(VALU_DEP_1)
	v_mul_f32_e32 v6, v3, v6
	v_and_b32_e32 v7, 0x7f800000, v6
	s_delay_alu instid0(VALU_DEP_1)
	v_cmpx_ne_u32_e32 0x7f800000, v7
	s_xor_b32 s20, exec_lo, s20
; %bb.4046:                             ;   in Loop: Header=BB12_3209 Depth=1
	v_bfe_u32 v7, v6, 16, 1
	s_delay_alu instid0(VALU_DEP_1)
	v_add3_u32 v100, v6, v7, 0x7fff
                                        ; implicit-def: $vgpr6
; %bb.4047:                             ;   in Loop: Header=BB12_3209 Depth=1
	s_and_not1_saveexec_b32 s20, s20
; %bb.4048:                             ;   in Loop: Header=BB12_3209 Depth=1
	v_and_b32_e32 v7, 0xffff, v6
	v_or_b32_e32 v8, 0x10000, v6
	s_delay_alu instid0(VALU_DEP_2) | instskip(NEXT) | instid1(VALU_DEP_2)
	v_cmp_eq_u32_e32 vcc_lo, 0, v7
	v_cndmask_b32_e32 v100, v8, v6, vcc_lo
; %bb.4049:                             ;   in Loop: Header=BB12_3209 Depth=1
	s_or_b32 exec_lo, exec_lo, s20
	v_and_b32_e32 v6, 0xffff0000, v12
	s_mov_b32 s20, exec_lo
                                        ; implicit-def: $vgpr12
	s_delay_alu instid0(VALU_DEP_1) | instskip(NEXT) | instid1(VALU_DEP_1)
	v_mul_f32_e32 v6, v3, v6
	v_and_b32_e32 v7, 0x7f800000, v6
	s_delay_alu instid0(VALU_DEP_1)
	v_cmpx_ne_u32_e32 0x7f800000, v7
	s_xor_b32 s20, exec_lo, s20
; %bb.4050:                             ;   in Loop: Header=BB12_3209 Depth=1
	v_bfe_u32 v7, v6, 16, 1
	s_delay_alu instid0(VALU_DEP_1)
	v_add3_u32 v12, v6, v7, 0x7fff
                                        ; implicit-def: $vgpr6
; %bb.4051:                             ;   in Loop: Header=BB12_3209 Depth=1
	s_and_not1_saveexec_b32 s20, s20
; %bb.4052:                             ;   in Loop: Header=BB12_3209 Depth=1
	v_and_b32_e32 v7, 0xffff, v6
	v_or_b32_e32 v8, 0x10000, v6
	s_delay_alu instid0(VALU_DEP_2) | instskip(NEXT) | instid1(VALU_DEP_2)
	v_cmp_eq_u32_e32 vcc_lo, 0, v7
	v_cndmask_b32_e32 v12, v8, v6, vcc_lo
; %bb.4053:                             ;   in Loop: Header=BB12_3209 Depth=1
	s_or_b32 exec_lo, exec_lo, s20
	v_lshlrev_b32_e32 v6, 16, v13
	s_delay_alu instid0(VALU_DEP_1) | instskip(NEXT) | instid1(VALU_DEP_1)
	v_mul_f32_e32 v7, v3, v6
	v_and_b32_e32 v6, 0x7f800000, v7
	s_delay_alu instid0(VALU_DEP_1) | instskip(SKIP_1) | instid1(SALU_CYCLE_1)
	v_cmp_ne_u32_e32 vcc_lo, 0x7f800000, v6
                                        ; implicit-def: $vgpr6
	s_and_saveexec_b32 s20, vcc_lo
	s_xor_b32 s20, exec_lo, s20
; %bb.4054:                             ;   in Loop: Header=BB12_3209 Depth=1
	v_bfe_u32 v6, v7, 16, 1
	s_delay_alu instid0(VALU_DEP_1)
	v_add3_u32 v6, v7, v6, 0x7fff
                                        ; implicit-def: $vgpr7
; %bb.4055:                             ;   in Loop: Header=BB12_3209 Depth=1
	s_and_not1_saveexec_b32 s20, s20
; %bb.4056:                             ;   in Loop: Header=BB12_3209 Depth=1
	v_and_b32_e32 v6, 0xffff, v7
	v_or_b32_e32 v8, 0x10000, v7
	s_delay_alu instid0(VALU_DEP_2) | instskip(NEXT) | instid1(VALU_DEP_2)
	v_cmp_eq_u32_e32 vcc_lo, 0, v6
	v_cndmask_b32_e32 v6, v8, v7, vcc_lo
; %bb.4057:                             ;   in Loop: Header=BB12_3209 Depth=1
	s_or_b32 exec_lo, exec_lo, s20
	v_and_b32_e32 v7, 0xffff0000, v13
	s_delay_alu instid0(VALU_DEP_1) | instskip(NEXT) | instid1(VALU_DEP_1)
	v_mul_f32_e32 v7, v3, v7
	v_and_b32_e32 v3, 0x7f800000, v7
	s_delay_alu instid0(VALU_DEP_1) | instskip(SKIP_1) | instid1(SALU_CYCLE_1)
	v_cmp_ne_u32_e32 vcc_lo, 0x7f800000, v3
                                        ; implicit-def: $vgpr3
	s_and_saveexec_b32 s20, vcc_lo
	s_xor_b32 s20, exec_lo, s20
; %bb.4058:                             ;   in Loop: Header=BB12_3209 Depth=1
	v_bfe_u32 v3, v7, 16, 1
	s_delay_alu instid0(VALU_DEP_1)
	v_add3_u32 v3, v7, v3, 0x7fff
                                        ; implicit-def: $vgpr7
; %bb.4059:                             ;   in Loop: Header=BB12_3209 Depth=1
	s_and_not1_saveexec_b32 s20, s20
; %bb.4060:                             ;   in Loop: Header=BB12_3209 Depth=1
	v_and_b32_e32 v3, 0xffff, v7
	v_or_b32_e32 v8, 0x10000, v7
	s_delay_alu instid0(VALU_DEP_2) | instskip(NEXT) | instid1(VALU_DEP_2)
	v_cmp_eq_u32_e32 vcc_lo, 0, v3
	v_cndmask_b32_e32 v3, v8, v7, vcc_lo
; %bb.4061:                             ;   in Loop: Header=BB12_3209 Depth=1
	s_or_b32 exec_lo, exec_lo, s20
	v_dual_lshrrev_b32 v7, 16, v87 :: v_dual_lshrrev_b32 v8, 16, v21
	v_dual_lshrrev_b32 v9, 16, v96 :: v_dual_lshrrev_b32 v13, 16, v97
	v_lshrrev_b32_e32 v4, 16, v4
	s_delay_alu instid0(VALU_DEP_3) | instskip(NEXT) | instid1(VALU_DEP_4)
	v_and_or_b32 v113, 0xffff0000, v15, v7
	v_and_or_b32 v112, 0xffff0000, v14, v8
	v_dual_lshrrev_b32 v7, 16, v85 :: v_dual_lshrrev_b32 v8, 16, v84
	v_lshrrev_b32_e32 v14, 16, v86
	v_and_or_b32 v21, 0xffff0000, v5, v4
	v_dual_lshrrev_b32 v4, 16, v70 :: v_dual_lshrrev_b32 v5, 16, v69
	s_delay_alu instid0(VALU_DEP_4)
	v_and_or_b32 v19, 0xffff0000, v19, v7
	v_and_or_b32 v18, 0xffff0000, v18, v8
	v_dual_lshrrev_b32 v7, 16, v81 :: v_dual_lshrrev_b32 v8, 16, v80
	v_and_or_b32 v114, 0xffff0000, v16, v9
	v_lshrrev_b32_e32 v9, 16, v82
	v_and_or_b32 v27, 0xffff0000, v27, v4
	s_delay_alu instid0(VALU_DEP_4)
	v_and_or_b32 v23, 0xffff0000, v23, v7
	v_and_or_b32 v22, 0xffff0000, v22, v8
	v_lshrrev_b32_e32 v7, 16, v71
	v_dual_lshrrev_b32 v8, 16, v31 :: v_dual_lshrrev_b32 v4, 16, v65
	v_and_or_b32 v115, 0xffff0000, v98, v13
	v_lshrrev_b32_e32 v13, 16, v83
	v_and_or_b32 v24, 0xffff0000, v24, v9
	v_lshrrev_b32_e32 v9, 16, v66
	v_and_or_b32 v26, 0xffff0000, v26, v5
	v_and_or_b32 v28, 0xffff0000, v28, v7
	v_dual_lshrrev_b32 v5, 16, v67 :: v_dual_lshrrev_b32 v7, 16, v68
	v_and_or_b32 v48, 0xffff0000, v48, v4
	v_dual_lshrrev_b32 v4, 16, v55 :: v_dual_lshrrev_b32 v0, 16, v0
	v_and_or_b32 v29, 0xffff0000, v29, v8
	v_lshrrev_b32_e32 v8, 16, v53
	v_and_or_b32 v50, 0xffff0000, v50, v5
	v_and_or_b32 v51, 0xffff0000, v51, v7
	v_dual_lshrrev_b32 v5, 16, v33 :: v_dual_lshrrev_b32 v2, 16, v2
	v_lshrrev_b32_e32 v7, 16, v35
	v_and_or_b32 v55, 0xffff0000, v1, v0
	v_lshrrev_b32_e32 v0, 16, v37
	v_and_or_b32 v49, 0xffff0000, v49, v9
	;; [unrolled: 2-line block ×3, first 2 shown]
	v_and_or_b32 v53, 0xffff0000, v54, v8
	v_and_or_b32 v54, 0xffff0000, v64, v4
	;; [unrolled: 1-line block ×5, first 2 shown]
	v_dual_lshrrev_b32 v1, 16, v99 :: v_dual_lshrrev_b32 v2, 16, v17
	v_dual_lshrrev_b32 v4, 16, v100 :: v_dual_lshrrev_b32 v5, 16, v6
	v_and_or_b32 v17, 0xffff0000, v38, v0
	v_and_or_b32 v52, 0xffff0000, v52, v9
	;; [unrolled: 1-line block ×7, first 2 shown]
	s_clause 0x7
	global_store_b128 v[124:125], v[14:17], off th:TH_STORE_NT
	global_store_b128 v[124:125], v[52:55], off offset:512 th:TH_STORE_NT
	global_store_b128 v[124:125], v[48:51], off offset:1024 th:TH_STORE_NT
	global_store_b128 v[124:125], v[26:29], off offset:1536 th:TH_STORE_NT
	global_store_b128 v[124:125], v[22:25], off offset:2048 th:TH_STORE_NT
	global_store_b128 v[124:125], v[18:21], off offset:2560 th:TH_STORE_NT
	global_store_b128 v[124:125], v[112:115], off offset:3072 th:TH_STORE_NT
	global_store_b128 v[124:125], v[0:3], off offset:3584 th:TH_STORE_NT
.LBB12_4062:                            ;   in Loop: Header=BB12_3209 Depth=1
	s_wait_xcnt 0x0
	s_or_b32 exec_lo, exec_lo, s10
	scratch_load_b32 v0, off, s33 offset:364 th:TH_LOAD_LU ; 4-byte Folded Reload
	s_mov_b32 s20, exec_lo
                                        ; implicit-def: $vgpr12
                                        ; implicit-def: $vgpr2
                                        ; implicit-def: $vgpr13
	s_wait_loadcnt 0x0
	v_lshlrev_b32_e32 v0, 12, v0
	s_wait_xcnt 0x0
	s_delay_alu instid0(VALU_DEP_1)
	v_cmpx_ne_u32_e64 v42, v0
	s_cbranch_execz .LBB12_4174
; %bb.4063:                             ;   in Loop: Header=BB12_3209 Depth=1
	v_lshlrev_b32_e32 v1, 5, v43
	s_mov_b32 s22, 0
                                        ; implicit-def: $vgpr10_vgpr11
	s_delay_alu instid0(VALU_DEP_1) | instskip(NEXT) | instid1(VALU_DEP_1)
	v_dual_sub_nc_u32 v3, v42, v0 :: v_dual_sub_nc_u32 v1, v101, v1
	v_dual_ashrrev_i32 v5, 31, v3 :: v_dual_ashrrev_i32 v2, 31, v1
	s_delay_alu instid0(VALU_DEP_1) | instskip(NEXT) | instid1(VALU_DEP_1)
	v_lshrrev_b32_e32 v2, 27, v2
	v_add_nc_u32_e32 v2, v1, v2
	s_delay_alu instid0(VALU_DEP_1) | instskip(NEXT) | instid1(VALU_DEP_1)
	v_and_b32_e32 v4, 0xffffffe0, v2
	v_dual_sub_nc_u32 v1, v1, v4 :: v_dual_lshrrev_b32 v4, 23, v5
	s_delay_alu instid0(VALU_DEP_1) | instskip(NEXT) | instid1(VALU_DEP_2)
	v_dual_ashrrev_i32 v5, 5, v2 :: v_dual_lshlrev_b32 v2, 4, v1
	v_add_nc_u32_e32 v4, v3, v4
	s_delay_alu instid0(VALU_DEP_2) | instskip(NEXT) | instid1(VALU_DEP_2)
	v_lshl_add_u32 v2, v5, 9, v2
	v_and_b32_e32 v20, 0xfffffe00, v4
	v_ashrrev_i32_e32 v4, 9, v4
	s_delay_alu instid0(VALU_DEP_3) | instskip(NEXT) | instid1(VALU_DEP_3)
	v_dual_add_nc_u32 v12, v2, v0 :: v_dual_sub_nc_u32 v23, v3, v2
	v_sub_nc_u32_e32 v21, v3, v20
	scratch_load_b64 v[2:3], off, s33 offset:348 ; 8-byte Folded Reload
	v_ashrrev_i32_e32 v13, 31, v12
	v_cmp_lt_i32_e64 s10, 15, v23
	v_cmp_lt_i32_e32 vcc_lo, 15, v21
	v_add_co_ci_u32_e64 v4, null, 0, v4, vcc_lo
	s_delay_alu instid0(VALU_DEP_1)
	v_sub_nc_u32_e32 v22, v4, v5
	s_wait_loadcnt 0x0
	v_add_nc_u64_e32 v[2:3], v[12:13], v[2:3]
	s_wait_xcnt 0x0
	s_mov_b32 s21, exec_lo
	s_clause 0x1
	scratch_load_b64 v[26:27], off, s33 offset:368
	scratch_load_b64 v[28:29], off, s33 offset:384
	s_and_b32 s10, s21, s10
	s_wait_xcnt 0x0
	s_mov_b32 exec_lo, s10
	s_cbranch_execz .LBB12_4137
; %bb.4064:                             ;   in Loop: Header=BB12_3209 Depth=1
	s_trap 2
	scratch_load_b64 v[6:7], off, s33 offset:336 ; 8-byte Folded Reload
	ds_load_b32 v4, v0
	s_mov_b32 s24, 0
                                        ; implicit-def: $sgpr23
	s_wait_dscnt 0x0
	v_lshlrev_b32_e32 v24, 16, v4
	s_wait_loadcnt 0x0
	v_add_nc_u64_e32 v[18:19], v[12:13], v[6:7]
                                        ; implicit-def: $vgpr10_vgpr11
	s_branch .LBB12_4066
.LBB12_4065:                            ;   in Loop: Header=BB12_4066 Depth=2
	s_or_b32 exec_lo, exec_lo, s10
	s_delay_alu instid0(VALU_DEP_1) | instskip(SKIP_3) | instid1(SALU_CYCLE_1)
	v_cmp_gt_i32_e64 s10, 16, v23
	s_or_b32 s22, s10, s22
	s_and_not1_b32 s10, s23, exec_lo
	s_and_b32 s23, s24, exec_lo
	s_or_b32 s23, s10, s23
	s_and_not1_b32 exec_lo, exec_lo, s22
	s_cbranch_execz .LBB12_4136
.LBB12_4066:                            ;   Parent Loop BB12_3209 Depth=1
                                        ; =>  This Inner Loop Header: Depth=2
	global_load_b128 v[14:17], v[18:19], off th:TH_LOAD_NT
	s_wait_xcnt 0x0
	s_and_saveexec_b32 s25, s24
	s_cbranch_execz .LBB12_4100
; %bb.4067:                             ;   in Loop: Header=BB12_4066 Depth=2
	v_lshlrev_b32_e32 v4, 16, v10
	s_delay_alu instid0(VALU_DEP_1) | instskip(NEXT) | instid1(VALU_DEP_1)
	v_mul_f32_e32 v5, v24, v4
	v_and_b32_e32 v4, 0x7f800000, v5
	s_delay_alu instid0(VALU_DEP_1) | instskip(SKIP_1) | instid1(SALU_CYCLE_1)
	v_cmp_ne_u32_e64 s10, 0x7f800000, v4
                                        ; implicit-def: $vgpr4
	s_and_saveexec_b32 s24, s10
	s_xor_b32 s10, exec_lo, s24
; %bb.4068:                             ;   in Loop: Header=BB12_4066 Depth=2
	v_bfe_u32 v4, v5, 16, 1
	s_delay_alu instid0(VALU_DEP_1)
	v_add3_u32 v4, v5, v4, 0x7fff
                                        ; implicit-def: $vgpr5
; %bb.4069:                             ;   in Loop: Header=BB12_4066 Depth=2
	s_and_not1_saveexec_b32 s24, s10
; %bb.4070:                             ;   in Loop: Header=BB12_4066 Depth=2
	v_and_b32_e32 v4, 0xffff, v5
	v_or_b32_e32 v6, 0x10000, v5
	s_delay_alu instid0(VALU_DEP_2) | instskip(NEXT) | instid1(VALU_DEP_1)
	v_cmp_eq_u32_e64 s10, 0, v4
	v_cndmask_b32_e64 v4, v6, v5, s10
; %bb.4071:                             ;   in Loop: Header=BB12_4066 Depth=2
	s_or_b32 exec_lo, exec_lo, s24
	v_and_b32_e32 v5, 0xffff0000, v10
	s_delay_alu instid0(VALU_DEP_1) | instskip(NEXT) | instid1(VALU_DEP_1)
	v_mul_f32_e32 v6, v24, v5
	v_and_b32_e32 v5, 0x7f800000, v6
	s_delay_alu instid0(VALU_DEP_1) | instskip(SKIP_1) | instid1(SALU_CYCLE_1)
	v_cmp_ne_u32_e64 s10, 0x7f800000, v5
                                        ; implicit-def: $vgpr5
	s_and_saveexec_b32 s24, s10
	s_xor_b32 s10, exec_lo, s24
; %bb.4072:                             ;   in Loop: Header=BB12_4066 Depth=2
	v_bfe_u32 v5, v6, 16, 1
	s_delay_alu instid0(VALU_DEP_1)
	v_add3_u32 v5, v6, v5, 0x7fff
                                        ; implicit-def: $vgpr6
; %bb.4073:                             ;   in Loop: Header=BB12_4066 Depth=2
	s_and_not1_saveexec_b32 s24, s10
; %bb.4074:                             ;   in Loop: Header=BB12_4066 Depth=2
	v_and_b32_e32 v5, 0xffff, v6
	v_or_b32_e32 v7, 0x10000, v6
	s_delay_alu instid0(VALU_DEP_2) | instskip(NEXT) | instid1(VALU_DEP_1)
	v_cmp_eq_u32_e64 s10, 0, v5
	v_cndmask_b32_e64 v5, v7, v6, s10
; %bb.4075:                             ;   in Loop: Header=BB12_4066 Depth=2
	s_or_b32 exec_lo, exec_lo, s24
	v_lshlrev_b32_e32 v6, 16, v11
                                        ; implicit-def: $vgpr10
	s_delay_alu instid0(VALU_DEP_1) | instskip(NEXT) | instid1(VALU_DEP_1)
	v_mul_f32_e32 v6, v24, v6
	v_and_b32_e32 v7, 0x7f800000, v6
	s_delay_alu instid0(VALU_DEP_1) | instskip(SKIP_1) | instid1(SALU_CYCLE_1)
	v_cmp_ne_u32_e64 s10, 0x7f800000, v7
	s_and_saveexec_b32 s24, s10
	s_xor_b32 s10, exec_lo, s24
; %bb.4076:                             ;   in Loop: Header=BB12_4066 Depth=2
	v_bfe_u32 v7, v6, 16, 1
	s_delay_alu instid0(VALU_DEP_1)
	v_add3_u32 v10, v6, v7, 0x7fff
                                        ; implicit-def: $vgpr6
; %bb.4077:                             ;   in Loop: Header=BB12_4066 Depth=2
	s_and_not1_saveexec_b32 s24, s10
; %bb.4078:                             ;   in Loop: Header=BB12_4066 Depth=2
	v_and_b32_e32 v7, 0xffff, v6
	v_or_b32_e32 v8, 0x10000, v6
	s_delay_alu instid0(VALU_DEP_2) | instskip(NEXT) | instid1(VALU_DEP_1)
	v_cmp_eq_u32_e64 s10, 0, v7
	v_cndmask_b32_e64 v10, v8, v6, s10
; %bb.4079:                             ;   in Loop: Header=BB12_4066 Depth=2
	s_or_b32 exec_lo, exec_lo, s24
	v_and_b32_e32 v6, 0xffff0000, v11
                                        ; implicit-def: $vgpr11
	s_delay_alu instid0(VALU_DEP_1) | instskip(NEXT) | instid1(VALU_DEP_1)
	v_mul_f32_e32 v6, v24, v6
	v_and_b32_e32 v7, 0x7f800000, v6
	s_delay_alu instid0(VALU_DEP_1) | instskip(SKIP_1) | instid1(SALU_CYCLE_1)
	v_cmp_ne_u32_e64 s10, 0x7f800000, v7
	s_and_saveexec_b32 s24, s10
	s_xor_b32 s10, exec_lo, s24
; %bb.4080:                             ;   in Loop: Header=BB12_4066 Depth=2
	v_bfe_u32 v7, v6, 16, 1
	s_delay_alu instid0(VALU_DEP_1)
	v_add3_u32 v11, v6, v7, 0x7fff
                                        ; implicit-def: $vgpr6
; %bb.4081:                             ;   in Loop: Header=BB12_4066 Depth=2
	s_and_not1_saveexec_b32 s24, s10
; %bb.4082:                             ;   in Loop: Header=BB12_4066 Depth=2
	v_and_b32_e32 v7, 0xffff, v6
	v_or_b32_e32 v8, 0x10000, v6
	s_delay_alu instid0(VALU_DEP_2) | instskip(NEXT) | instid1(VALU_DEP_1)
	v_cmp_eq_u32_e64 s10, 0, v7
	v_cndmask_b32_e64 v11, v8, v6, s10
; %bb.4083:                             ;   in Loop: Header=BB12_4066 Depth=2
	s_or_b32 exec_lo, exec_lo, s24
	v_lshlrev_b32_e32 v6, 16, v12
	s_delay_alu instid0(VALU_DEP_1) | instskip(NEXT) | instid1(VALU_DEP_1)
	v_mul_f32_e32 v7, v24, v6
	v_and_b32_e32 v6, 0x7f800000, v7
	s_delay_alu instid0(VALU_DEP_1) | instskip(SKIP_1) | instid1(SALU_CYCLE_1)
	v_cmp_ne_u32_e64 s10, 0x7f800000, v6
                                        ; implicit-def: $vgpr6
	s_and_saveexec_b32 s24, s10
	s_xor_b32 s10, exec_lo, s24
; %bb.4084:                             ;   in Loop: Header=BB12_4066 Depth=2
	v_bfe_u32 v6, v7, 16, 1
	s_delay_alu instid0(VALU_DEP_1)
	v_add3_u32 v6, v7, v6, 0x7fff
                                        ; implicit-def: $vgpr7
; %bb.4085:                             ;   in Loop: Header=BB12_4066 Depth=2
	s_and_not1_saveexec_b32 s24, s10
; %bb.4086:                             ;   in Loop: Header=BB12_4066 Depth=2
	v_and_b32_e32 v6, 0xffff, v7
	v_or_b32_e32 v8, 0x10000, v7
	s_delay_alu instid0(VALU_DEP_2) | instskip(NEXT) | instid1(VALU_DEP_1)
	v_cmp_eq_u32_e64 s10, 0, v6
	v_cndmask_b32_e64 v6, v8, v7, s10
; %bb.4087:                             ;   in Loop: Header=BB12_4066 Depth=2
	s_or_b32 exec_lo, exec_lo, s24
	v_and_b32_e32 v7, 0xffff0000, v12
	s_delay_alu instid0(VALU_DEP_1) | instskip(NEXT) | instid1(VALU_DEP_1)
	v_mul_f32_e32 v8, v24, v7
	v_and_b32_e32 v7, 0x7f800000, v8
	s_delay_alu instid0(VALU_DEP_1) | instskip(SKIP_1) | instid1(SALU_CYCLE_1)
	v_cmp_ne_u32_e64 s10, 0x7f800000, v7
                                        ; implicit-def: $vgpr7
	s_and_saveexec_b32 s24, s10
	s_xor_b32 s10, exec_lo, s24
; %bb.4088:                             ;   in Loop: Header=BB12_4066 Depth=2
	v_bfe_u32 v7, v8, 16, 1
	s_delay_alu instid0(VALU_DEP_1)
	v_add3_u32 v7, v8, v7, 0x7fff
                                        ; implicit-def: $vgpr8
; %bb.4089:                             ;   in Loop: Header=BB12_4066 Depth=2
	s_and_not1_saveexec_b32 s24, s10
; %bb.4090:                             ;   in Loop: Header=BB12_4066 Depth=2
	v_and_b32_e32 v7, 0xffff, v8
	v_or_b32_e32 v9, 0x10000, v8
	s_delay_alu instid0(VALU_DEP_2) | instskip(NEXT) | instid1(VALU_DEP_1)
	v_cmp_eq_u32_e64 s10, 0, v7
	v_cndmask_b32_e64 v7, v9, v8, s10
; %bb.4091:                             ;   in Loop: Header=BB12_4066 Depth=2
	s_or_b32 exec_lo, exec_lo, s24
	v_lshlrev_b32_e32 v8, 16, v13
	s_delay_alu instid0(VALU_DEP_1) | instskip(NEXT) | instid1(VALU_DEP_1)
	v_mul_f32_e32 v9, v24, v8
	v_and_b32_e32 v8, 0x7f800000, v9
	s_delay_alu instid0(VALU_DEP_1) | instskip(SKIP_1) | instid1(SALU_CYCLE_1)
	v_cmp_ne_u32_e64 s10, 0x7f800000, v8
                                        ; implicit-def: $vgpr8
	s_and_saveexec_b32 s24, s10
	s_xor_b32 s10, exec_lo, s24
; %bb.4092:                             ;   in Loop: Header=BB12_4066 Depth=2
	v_bfe_u32 v8, v9, 16, 1
	s_delay_alu instid0(VALU_DEP_1)
	v_add3_u32 v8, v9, v8, 0x7fff
                                        ; implicit-def: $vgpr9
; %bb.4093:                             ;   in Loop: Header=BB12_4066 Depth=2
	s_and_not1_saveexec_b32 s24, s10
; %bb.4094:                             ;   in Loop: Header=BB12_4066 Depth=2
	v_and_b32_e32 v8, 0xffff, v9
	v_or_b32_e32 v12, 0x10000, v9
	s_delay_alu instid0(VALU_DEP_2) | instskip(NEXT) | instid1(VALU_DEP_1)
	v_cmp_eq_u32_e64 s10, 0, v8
	v_cndmask_b32_e64 v8, v12, v9, s10
; %bb.4095:                             ;   in Loop: Header=BB12_4066 Depth=2
	s_or_b32 exec_lo, exec_lo, s24
	v_and_b32_e32 v9, 0xffff0000, v13
	s_delay_alu instid0(VALU_DEP_1) | instskip(NEXT) | instid1(VALU_DEP_1)
	v_mul_f32_e32 v12, v24, v9
	v_and_b32_e32 v9, 0x7f800000, v12
	s_delay_alu instid0(VALU_DEP_1) | instskip(SKIP_1) | instid1(SALU_CYCLE_1)
	v_cmp_ne_u32_e64 s10, 0x7f800000, v9
                                        ; implicit-def: $vgpr9
	s_and_saveexec_b32 s24, s10
	s_xor_b32 s10, exec_lo, s24
; %bb.4096:                             ;   in Loop: Header=BB12_4066 Depth=2
	v_bfe_u32 v9, v12, 16, 1
	s_delay_alu instid0(VALU_DEP_1)
	v_add3_u32 v9, v12, v9, 0x7fff
                                        ; implicit-def: $vgpr12
; %bb.4097:                             ;   in Loop: Header=BB12_4066 Depth=2
	s_and_not1_saveexec_b32 s24, s10
; %bb.4098:                             ;   in Loop: Header=BB12_4066 Depth=2
	v_and_b32_e32 v9, 0xffff, v12
	v_or_b32_e32 v13, 0x10000, v12
	s_delay_alu instid0(VALU_DEP_2) | instskip(NEXT) | instid1(VALU_DEP_1)
	v_cmp_eq_u32_e64 s10, 0, v9
	v_cndmask_b32_e64 v9, v13, v12, s10
; %bb.4099:                             ;   in Loop: Header=BB12_4066 Depth=2
	s_or_b32 exec_lo, exec_lo, s24
	v_dual_lshrrev_b32 v10, 16, v10 :: v_dual_lshrrev_b32 v4, 16, v4
	v_dual_lshrrev_b32 v6, 16, v6 :: v_dual_lshrrev_b32 v8, 16, v8
	s_delay_alu instid0(VALU_DEP_2) | instskip(NEXT) | instid1(VALU_DEP_3)
	v_and_or_b32 v11, 0xffff0000, v11, v10
	v_and_or_b32 v10, 0xffff0000, v5, v4
	s_delay_alu instid0(VALU_DEP_3) | instskip(NEXT) | instid1(VALU_DEP_4)
	v_and_or_b32 v12, 0xffff0000, v7, v6
	v_and_or_b32 v13, 0xffff0000, v9, v8
	global_store_b128 v[2:3], v[10:13], off th:TH_STORE_NT
	s_wait_xcnt 0x0
	v_add_nc_u64_e32 v[2:3], v[2:3], v[28:29]
.LBB12_4100:                            ;   in Loop: Header=BB12_4066 Depth=2
	s_or_b32 exec_lo, exec_lo, s25
	v_sub_nc_u32_e32 v23, v23, v102
	v_add_nc_u64_e32 v[18:19], v[18:19], v[28:29]
	s_delay_alu instid0(VALU_DEP_2)
	v_cmp_lt_i32_e64 s24, 15, v23
	s_and_saveexec_b32 s10, s24
	s_cbranch_execz .LBB12_4102
; %bb.4101:                             ;   in Loop: Header=BB12_4066 Depth=2
	global_load_b128 v[10:13], v[18:19], off th:TH_LOAD_NT
	s_wait_xcnt 0x0
	v_add_nc_u64_e32 v[18:19], 0x200, v[18:19]
.LBB12_4102:                            ;   in Loop: Header=BB12_4066 Depth=2
	s_or_b32 exec_lo, exec_lo, s10
	s_wait_loadcnt 0x0
	v_lshlrev_b32_e32 v4, 16, v14
	s_delay_alu instid0(VALU_DEP_1) | instskip(NEXT) | instid1(VALU_DEP_1)
	v_mul_f32_e32 v5, v24, v4
	v_and_b32_e32 v4, 0x7f800000, v5
	s_delay_alu instid0(VALU_DEP_1) | instskip(SKIP_1) | instid1(SALU_CYCLE_1)
	v_cmp_ne_u32_e64 s10, 0x7f800000, v4
                                        ; implicit-def: $vgpr4
	s_and_saveexec_b32 s25, s10
	s_xor_b32 s10, exec_lo, s25
; %bb.4103:                             ;   in Loop: Header=BB12_4066 Depth=2
	v_bfe_u32 v4, v5, 16, 1
	s_delay_alu instid0(VALU_DEP_1)
	v_add3_u32 v4, v5, v4, 0x7fff
                                        ; implicit-def: $vgpr5
; %bb.4104:                             ;   in Loop: Header=BB12_4066 Depth=2
	s_and_not1_saveexec_b32 s25, s10
; %bb.4105:                             ;   in Loop: Header=BB12_4066 Depth=2
	v_and_b32_e32 v4, 0xffff, v5
	v_or_b32_e32 v6, 0x10000, v5
	s_delay_alu instid0(VALU_DEP_2) | instskip(NEXT) | instid1(VALU_DEP_1)
	v_cmp_eq_u32_e64 s10, 0, v4
	v_cndmask_b32_e64 v4, v6, v5, s10
; %bb.4106:                             ;   in Loop: Header=BB12_4066 Depth=2
	s_or_b32 exec_lo, exec_lo, s25
	v_and_b32_e32 v5, 0xffff0000, v14
	s_delay_alu instid0(VALU_DEP_1) | instskip(NEXT) | instid1(VALU_DEP_1)
	v_mul_f32_e32 v6, v24, v5
	v_and_b32_e32 v5, 0x7f800000, v6
	s_delay_alu instid0(VALU_DEP_1) | instskip(SKIP_1) | instid1(SALU_CYCLE_1)
	v_cmp_ne_u32_e64 s10, 0x7f800000, v5
                                        ; implicit-def: $vgpr5
	s_and_saveexec_b32 s25, s10
	s_xor_b32 s10, exec_lo, s25
; %bb.4107:                             ;   in Loop: Header=BB12_4066 Depth=2
	v_bfe_u32 v5, v6, 16, 1
	s_delay_alu instid0(VALU_DEP_1)
	v_add3_u32 v5, v6, v5, 0x7fff
                                        ; implicit-def: $vgpr6
; %bb.4108:                             ;   in Loop: Header=BB12_4066 Depth=2
	s_and_not1_saveexec_b32 s25, s10
; %bb.4109:                             ;   in Loop: Header=BB12_4066 Depth=2
	v_and_b32_e32 v5, 0xffff, v6
	v_or_b32_e32 v7, 0x10000, v6
	s_delay_alu instid0(VALU_DEP_2) | instskip(NEXT) | instid1(VALU_DEP_1)
	v_cmp_eq_u32_e64 s10, 0, v5
	v_cndmask_b32_e64 v5, v7, v6, s10
; %bb.4110:                             ;   in Loop: Header=BB12_4066 Depth=2
	s_or_b32 exec_lo, exec_lo, s25
	v_lshlrev_b32_e32 v6, 16, v15
                                        ; implicit-def: $vgpr14
	s_delay_alu instid0(VALU_DEP_1) | instskip(NEXT) | instid1(VALU_DEP_1)
	v_mul_f32_e32 v6, v24, v6
	v_and_b32_e32 v7, 0x7f800000, v6
	s_delay_alu instid0(VALU_DEP_1) | instskip(SKIP_1) | instid1(SALU_CYCLE_1)
	v_cmp_ne_u32_e64 s10, 0x7f800000, v7
	s_and_saveexec_b32 s25, s10
	s_xor_b32 s10, exec_lo, s25
; %bb.4111:                             ;   in Loop: Header=BB12_4066 Depth=2
	v_bfe_u32 v7, v6, 16, 1
	s_delay_alu instid0(VALU_DEP_1)
	v_add3_u32 v14, v6, v7, 0x7fff
                                        ; implicit-def: $vgpr6
; %bb.4112:                             ;   in Loop: Header=BB12_4066 Depth=2
	s_and_not1_saveexec_b32 s25, s10
; %bb.4113:                             ;   in Loop: Header=BB12_4066 Depth=2
	v_and_b32_e32 v7, 0xffff, v6
	v_or_b32_e32 v8, 0x10000, v6
	s_delay_alu instid0(VALU_DEP_2) | instskip(NEXT) | instid1(VALU_DEP_1)
	v_cmp_eq_u32_e64 s10, 0, v7
	v_cndmask_b32_e64 v14, v8, v6, s10
; %bb.4114:                             ;   in Loop: Header=BB12_4066 Depth=2
	s_or_b32 exec_lo, exec_lo, s25
	v_and_b32_e32 v6, 0xffff0000, v15
                                        ; implicit-def: $vgpr15
	s_delay_alu instid0(VALU_DEP_1) | instskip(NEXT) | instid1(VALU_DEP_1)
	v_mul_f32_e32 v6, v24, v6
	v_and_b32_e32 v7, 0x7f800000, v6
	s_delay_alu instid0(VALU_DEP_1) | instskip(SKIP_1) | instid1(SALU_CYCLE_1)
	v_cmp_ne_u32_e64 s10, 0x7f800000, v7
	s_and_saveexec_b32 s25, s10
	s_xor_b32 s10, exec_lo, s25
; %bb.4115:                             ;   in Loop: Header=BB12_4066 Depth=2
	v_bfe_u32 v7, v6, 16, 1
	s_delay_alu instid0(VALU_DEP_1)
	v_add3_u32 v15, v6, v7, 0x7fff
                                        ; implicit-def: $vgpr6
; %bb.4116:                             ;   in Loop: Header=BB12_4066 Depth=2
	s_and_not1_saveexec_b32 s25, s10
; %bb.4117:                             ;   in Loop: Header=BB12_4066 Depth=2
	v_and_b32_e32 v7, 0xffff, v6
	v_or_b32_e32 v8, 0x10000, v6
	s_delay_alu instid0(VALU_DEP_2) | instskip(NEXT) | instid1(VALU_DEP_1)
	v_cmp_eq_u32_e64 s10, 0, v7
	v_cndmask_b32_e64 v15, v8, v6, s10
; %bb.4118:                             ;   in Loop: Header=BB12_4066 Depth=2
	s_or_b32 exec_lo, exec_lo, s25
	v_lshlrev_b32_e32 v6, 16, v16
	s_delay_alu instid0(VALU_DEP_1) | instskip(NEXT) | instid1(VALU_DEP_1)
	v_mul_f32_e32 v7, v24, v6
	v_and_b32_e32 v6, 0x7f800000, v7
	s_delay_alu instid0(VALU_DEP_1) | instskip(SKIP_1) | instid1(SALU_CYCLE_1)
	v_cmp_ne_u32_e64 s10, 0x7f800000, v6
                                        ; implicit-def: $vgpr6
	s_and_saveexec_b32 s25, s10
	s_xor_b32 s10, exec_lo, s25
; %bb.4119:                             ;   in Loop: Header=BB12_4066 Depth=2
	v_bfe_u32 v6, v7, 16, 1
	s_delay_alu instid0(VALU_DEP_1)
	v_add3_u32 v6, v7, v6, 0x7fff
                                        ; implicit-def: $vgpr7
; %bb.4120:                             ;   in Loop: Header=BB12_4066 Depth=2
	s_and_not1_saveexec_b32 s25, s10
; %bb.4121:                             ;   in Loop: Header=BB12_4066 Depth=2
	v_and_b32_e32 v6, 0xffff, v7
	v_or_b32_e32 v8, 0x10000, v7
	s_delay_alu instid0(VALU_DEP_2) | instskip(NEXT) | instid1(VALU_DEP_1)
	v_cmp_eq_u32_e64 s10, 0, v6
	v_cndmask_b32_e64 v6, v8, v7, s10
; %bb.4122:                             ;   in Loop: Header=BB12_4066 Depth=2
	s_or_b32 exec_lo, exec_lo, s25
	v_and_b32_e32 v7, 0xffff0000, v16
	s_delay_alu instid0(VALU_DEP_1) | instskip(NEXT) | instid1(VALU_DEP_1)
	v_mul_f32_e32 v8, v24, v7
	v_and_b32_e32 v7, 0x7f800000, v8
	s_delay_alu instid0(VALU_DEP_1) | instskip(SKIP_1) | instid1(SALU_CYCLE_1)
	v_cmp_ne_u32_e64 s10, 0x7f800000, v7
                                        ; implicit-def: $vgpr7
	s_and_saveexec_b32 s25, s10
	s_xor_b32 s10, exec_lo, s25
; %bb.4123:                             ;   in Loop: Header=BB12_4066 Depth=2
	v_bfe_u32 v7, v8, 16, 1
	s_delay_alu instid0(VALU_DEP_1)
	v_add3_u32 v7, v8, v7, 0x7fff
                                        ; implicit-def: $vgpr8
; %bb.4124:                             ;   in Loop: Header=BB12_4066 Depth=2
	s_and_not1_saveexec_b32 s25, s10
; %bb.4125:                             ;   in Loop: Header=BB12_4066 Depth=2
	v_and_b32_e32 v7, 0xffff, v8
	v_or_b32_e32 v9, 0x10000, v8
	s_delay_alu instid0(VALU_DEP_2) | instskip(NEXT) | instid1(VALU_DEP_1)
	v_cmp_eq_u32_e64 s10, 0, v7
	v_cndmask_b32_e64 v7, v9, v8, s10
; %bb.4126:                             ;   in Loop: Header=BB12_4066 Depth=2
	s_or_b32 exec_lo, exec_lo, s25
	v_lshlrev_b32_e32 v8, 16, v17
	s_delay_alu instid0(VALU_DEP_1) | instskip(NEXT) | instid1(VALU_DEP_1)
	v_mul_f32_e32 v9, v24, v8
	v_and_b32_e32 v8, 0x7f800000, v9
	s_delay_alu instid0(VALU_DEP_1) | instskip(SKIP_1) | instid1(SALU_CYCLE_1)
	v_cmp_ne_u32_e64 s10, 0x7f800000, v8
                                        ; implicit-def: $vgpr8
	s_and_saveexec_b32 s25, s10
	s_xor_b32 s10, exec_lo, s25
; %bb.4127:                             ;   in Loop: Header=BB12_4066 Depth=2
	v_bfe_u32 v8, v9, 16, 1
	s_delay_alu instid0(VALU_DEP_1)
	v_add3_u32 v8, v9, v8, 0x7fff
                                        ; implicit-def: $vgpr9
; %bb.4128:                             ;   in Loop: Header=BB12_4066 Depth=2
	s_and_not1_saveexec_b32 s25, s10
; %bb.4129:                             ;   in Loop: Header=BB12_4066 Depth=2
	v_and_b32_e32 v8, 0xffff, v9
	v_or_b32_e32 v16, 0x10000, v9
	s_delay_alu instid0(VALU_DEP_2) | instskip(NEXT) | instid1(VALU_DEP_1)
	v_cmp_eq_u32_e64 s10, 0, v8
	v_cndmask_b32_e64 v8, v16, v9, s10
; %bb.4130:                             ;   in Loop: Header=BB12_4066 Depth=2
	s_or_b32 exec_lo, exec_lo, s25
	v_and_b32_e32 v9, 0xffff0000, v17
	s_delay_alu instid0(VALU_DEP_1) | instskip(NEXT) | instid1(VALU_DEP_1)
	v_mul_f32_e32 v16, v24, v9
	v_and_b32_e32 v9, 0x7f800000, v16
	s_delay_alu instid0(VALU_DEP_1) | instskip(SKIP_1) | instid1(SALU_CYCLE_1)
	v_cmp_ne_u32_e64 s10, 0x7f800000, v9
                                        ; implicit-def: $vgpr9
	s_and_saveexec_b32 s25, s10
	s_xor_b32 s10, exec_lo, s25
; %bb.4131:                             ;   in Loop: Header=BB12_4066 Depth=2
	v_bfe_u32 v9, v16, 16, 1
	s_delay_alu instid0(VALU_DEP_1)
	v_add3_u32 v9, v16, v9, 0x7fff
                                        ; implicit-def: $vgpr16
; %bb.4132:                             ;   in Loop: Header=BB12_4066 Depth=2
	s_and_not1_saveexec_b32 s25, s10
; %bb.4133:                             ;   in Loop: Header=BB12_4066 Depth=2
	v_and_b32_e32 v9, 0xffff, v16
	v_or_b32_e32 v17, 0x10000, v16
	s_delay_alu instid0(VALU_DEP_2) | instskip(NEXT) | instid1(VALU_DEP_1)
	v_cmp_eq_u32_e64 s10, 0, v9
	v_cndmask_b32_e64 v9, v17, v16, s10
; %bb.4134:                             ;   in Loop: Header=BB12_4066 Depth=2
	s_or_b32 exec_lo, exec_lo, s25
	v_dual_lshrrev_b32 v14, 16, v14 :: v_dual_lshrrev_b32 v4, 16, v4
	v_dual_lshrrev_b32 v6, 16, v6 :: v_dual_lshrrev_b32 v8, 16, v8
	v_sub_nc_u32_e32 v22, v22, v72
	s_delay_alu instid0(VALU_DEP_3) | instskip(NEXT) | instid1(VALU_DEP_4)
	v_and_or_b32 v15, 0xffff0000, v15, v14
	v_and_or_b32 v14, 0xffff0000, v5, v4
	s_delay_alu instid0(VALU_DEP_4)
	v_and_or_b32 v16, 0xffff0000, v7, v6
	v_and_or_b32 v17, 0xffff0000, v9, v8
	global_store_b128 v[2:3], v[14:17], off th:TH_STORE_NT
	s_wait_xcnt 0x0
	v_add_nc_u64_e32 v[2:3], 0x200, v[2:3]
	s_and_saveexec_b32 s10, s24
	s_cbranch_execz .LBB12_4065
; %bb.4135:                             ;   in Loop: Header=BB12_4066 Depth=2
	v_add_nc_u64_e32 v[18:19], v[18:19], v[26:27]
	s_delay_alu instid0(VALU_DEP_2)
	v_add_nc_u64_e32 v[2:3], v[2:3], v[26:27]
	v_dual_sub_nc_u32 v22, v22, v72 :: v_dual_sub_nc_u32 v23, v23, v102
	s_branch .LBB12_4065
.LBB12_4136:                            ;   in Loop: Header=BB12_3209 Depth=1
	s_or_b32 exec_lo, exec_lo, s22
	s_delay_alu instid0(SALU_CYCLE_1)
	s_and_b32 s22, s23, exec_lo
.LBB12_4137:                            ;   in Loop: Header=BB12_3209 Depth=1
	s_or_b32 exec_lo, exec_lo, s21
	s_and_saveexec_b32 s21, s22
	s_cbranch_execz .LBB12_4171
; %bb.4138:                             ;   in Loop: Header=BB12_3209 Depth=1
	s_trap 2
	ds_load_b32 v4, v0
	s_wait_dscnt 0x0
	v_dual_lshlrev_b32 v14, 16, v10 :: v_dual_lshlrev_b32 v15, 16, v4
	s_delay_alu instid0(VALU_DEP_1) | instskip(NEXT) | instid1(VALU_DEP_1)
	v_mov_b32_e32 v4, v15
	v_pk_mul_f32 v[16:17], v[4:5], v[14:15]
	s_delay_alu instid0(VALU_DEP_1) | instskip(NEXT) | instid1(VALU_DEP_1)
	v_and_b32_e32 v4, 0x7f800000, v16
	v_cmp_ne_u32_e64 s10, 0x7f800000, v4
                                        ; implicit-def: $vgpr4
	s_and_saveexec_b32 s22, s10
	s_delay_alu instid0(SALU_CYCLE_1)
	s_xor_b32 s10, exec_lo, s22
; %bb.4139:                             ;   in Loop: Header=BB12_3209 Depth=1
	v_bfe_u32 v4, v16, 16, 1
	s_delay_alu instid0(VALU_DEP_1)
	v_add3_u32 v4, v16, v4, 0x7fff
                                        ; implicit-def: $vgpr16_vgpr17
; %bb.4140:                             ;   in Loop: Header=BB12_3209 Depth=1
	s_and_not1_saveexec_b32 s22, s10
; %bb.4141:                             ;   in Loop: Header=BB12_3209 Depth=1
	v_and_b32_e32 v4, 0xffff, v16
	v_or_b32_e32 v5, 0x10000, v16
	s_delay_alu instid0(VALU_DEP_2) | instskip(NEXT) | instid1(VALU_DEP_1)
	v_cmp_eq_u32_e64 s10, 0, v4
	v_cndmask_b32_e64 v4, v5, v16, s10
; %bb.4142:                             ;   in Loop: Header=BB12_3209 Depth=1
	s_or_b32 exec_lo, exec_lo, s22
	v_and_b32_e32 v5, 0xffff0000, v10
	s_delay_alu instid0(VALU_DEP_1) | instskip(NEXT) | instid1(VALU_DEP_1)
	v_mul_f32_e32 v6, v15, v5
	v_and_b32_e32 v5, 0x7f800000, v6
	s_delay_alu instid0(VALU_DEP_1) | instskip(SKIP_1) | instid1(SALU_CYCLE_1)
	v_cmp_ne_u32_e64 s10, 0x7f800000, v5
                                        ; implicit-def: $vgpr5
	s_and_saveexec_b32 s22, s10
	s_xor_b32 s10, exec_lo, s22
; %bb.4143:                             ;   in Loop: Header=BB12_3209 Depth=1
	v_bfe_u32 v5, v6, 16, 1
	s_delay_alu instid0(VALU_DEP_1)
	v_add3_u32 v5, v6, v5, 0x7fff
                                        ; implicit-def: $vgpr6
; %bb.4144:                             ;   in Loop: Header=BB12_3209 Depth=1
	s_and_not1_saveexec_b32 s22, s10
; %bb.4145:                             ;   in Loop: Header=BB12_3209 Depth=1
	v_and_b32_e32 v5, 0xffff, v6
	v_or_b32_e32 v7, 0x10000, v6
	s_delay_alu instid0(VALU_DEP_2) | instskip(NEXT) | instid1(VALU_DEP_1)
	v_cmp_eq_u32_e64 s10, 0, v5
	v_cndmask_b32_e64 v5, v7, v6, s10
; %bb.4146:                             ;   in Loop: Header=BB12_3209 Depth=1
	s_or_b32 exec_lo, exec_lo, s22
	v_lshlrev_b32_e32 v6, 16, v11
                                        ; implicit-def: $vgpr10
	s_delay_alu instid0(VALU_DEP_1) | instskip(NEXT) | instid1(VALU_DEP_1)
	v_mul_f32_e32 v6, v15, v6
	v_and_b32_e32 v7, 0x7f800000, v6
	s_delay_alu instid0(VALU_DEP_1) | instskip(SKIP_1) | instid1(SALU_CYCLE_1)
	v_cmp_ne_u32_e64 s10, 0x7f800000, v7
	s_and_saveexec_b32 s22, s10
	s_xor_b32 s10, exec_lo, s22
; %bb.4147:                             ;   in Loop: Header=BB12_3209 Depth=1
	v_bfe_u32 v7, v6, 16, 1
	s_delay_alu instid0(VALU_DEP_1)
	v_add3_u32 v10, v6, v7, 0x7fff
                                        ; implicit-def: $vgpr6
; %bb.4148:                             ;   in Loop: Header=BB12_3209 Depth=1
	s_and_not1_saveexec_b32 s22, s10
; %bb.4149:                             ;   in Loop: Header=BB12_3209 Depth=1
	v_and_b32_e32 v7, 0xffff, v6
	v_or_b32_e32 v8, 0x10000, v6
	s_delay_alu instid0(VALU_DEP_2) | instskip(NEXT) | instid1(VALU_DEP_1)
	v_cmp_eq_u32_e64 s10, 0, v7
	v_cndmask_b32_e64 v10, v8, v6, s10
; %bb.4150:                             ;   in Loop: Header=BB12_3209 Depth=1
	s_or_b32 exec_lo, exec_lo, s22
	v_and_b32_e32 v6, 0xffff0000, v11
                                        ; implicit-def: $vgpr11
	s_delay_alu instid0(VALU_DEP_1) | instskip(NEXT) | instid1(VALU_DEP_1)
	v_mul_f32_e32 v6, v15, v6
	v_and_b32_e32 v7, 0x7f800000, v6
	s_delay_alu instid0(VALU_DEP_1) | instskip(SKIP_1) | instid1(SALU_CYCLE_1)
	v_cmp_ne_u32_e64 s10, 0x7f800000, v7
	s_and_saveexec_b32 s22, s10
	s_xor_b32 s10, exec_lo, s22
; %bb.4151:                             ;   in Loop: Header=BB12_3209 Depth=1
	v_bfe_u32 v7, v6, 16, 1
	s_delay_alu instid0(VALU_DEP_1)
	v_add3_u32 v11, v6, v7, 0x7fff
                                        ; implicit-def: $vgpr6
; %bb.4152:                             ;   in Loop: Header=BB12_3209 Depth=1
	s_and_not1_saveexec_b32 s22, s10
; %bb.4153:                             ;   in Loop: Header=BB12_3209 Depth=1
	v_and_b32_e32 v7, 0xffff, v6
	v_or_b32_e32 v8, 0x10000, v6
	s_delay_alu instid0(VALU_DEP_2) | instskip(NEXT) | instid1(VALU_DEP_1)
	v_cmp_eq_u32_e64 s10, 0, v7
	v_cndmask_b32_e64 v11, v8, v6, s10
; %bb.4154:                             ;   in Loop: Header=BB12_3209 Depth=1
	s_or_b32 exec_lo, exec_lo, s22
	v_lshlrev_b32_e32 v6, 16, v12
	s_delay_alu instid0(VALU_DEP_1) | instskip(NEXT) | instid1(VALU_DEP_1)
	v_mul_f32_e32 v7, v15, v6
	v_and_b32_e32 v6, 0x7f800000, v7
	s_delay_alu instid0(VALU_DEP_1) | instskip(SKIP_1) | instid1(SALU_CYCLE_1)
	v_cmp_ne_u32_e64 s10, 0x7f800000, v6
                                        ; implicit-def: $vgpr6
	s_and_saveexec_b32 s22, s10
	s_xor_b32 s10, exec_lo, s22
; %bb.4155:                             ;   in Loop: Header=BB12_3209 Depth=1
	v_bfe_u32 v6, v7, 16, 1
	s_delay_alu instid0(VALU_DEP_1)
	v_add3_u32 v6, v7, v6, 0x7fff
                                        ; implicit-def: $vgpr7
; %bb.4156:                             ;   in Loop: Header=BB12_3209 Depth=1
	s_and_not1_saveexec_b32 s22, s10
; %bb.4157:                             ;   in Loop: Header=BB12_3209 Depth=1
	v_and_b32_e32 v6, 0xffff, v7
	v_or_b32_e32 v8, 0x10000, v7
	s_delay_alu instid0(VALU_DEP_2) | instskip(NEXT) | instid1(VALU_DEP_1)
	v_cmp_eq_u32_e64 s10, 0, v6
	v_cndmask_b32_e64 v6, v8, v7, s10
; %bb.4158:                             ;   in Loop: Header=BB12_3209 Depth=1
	s_or_b32 exec_lo, exec_lo, s22
	v_and_b32_e32 v7, 0xffff0000, v12
	s_delay_alu instid0(VALU_DEP_1) | instskip(NEXT) | instid1(VALU_DEP_1)
	v_mul_f32_e32 v8, v15, v7
	v_and_b32_e32 v7, 0x7f800000, v8
	s_delay_alu instid0(VALU_DEP_1) | instskip(SKIP_1) | instid1(SALU_CYCLE_1)
	v_cmp_ne_u32_e64 s10, 0x7f800000, v7
                                        ; implicit-def: $vgpr7
	s_and_saveexec_b32 s22, s10
	s_xor_b32 s10, exec_lo, s22
; %bb.4159:                             ;   in Loop: Header=BB12_3209 Depth=1
	v_bfe_u32 v7, v8, 16, 1
	s_delay_alu instid0(VALU_DEP_1)
	v_add3_u32 v7, v8, v7, 0x7fff
                                        ; implicit-def: $vgpr8
; %bb.4160:                             ;   in Loop: Header=BB12_3209 Depth=1
	s_and_not1_saveexec_b32 s22, s10
; %bb.4161:                             ;   in Loop: Header=BB12_3209 Depth=1
	v_and_b32_e32 v7, 0xffff, v8
	v_or_b32_e32 v9, 0x10000, v8
	s_delay_alu instid0(VALU_DEP_2) | instskip(NEXT) | instid1(VALU_DEP_1)
	v_cmp_eq_u32_e64 s10, 0, v7
	v_cndmask_b32_e64 v7, v9, v8, s10
; %bb.4162:                             ;   in Loop: Header=BB12_3209 Depth=1
	s_or_b32 exec_lo, exec_lo, s22
	v_lshlrev_b32_e32 v8, 16, v13
	s_delay_alu instid0(VALU_DEP_1) | instskip(NEXT) | instid1(VALU_DEP_1)
	v_mul_f32_e32 v9, v15, v8
	v_and_b32_e32 v8, 0x7f800000, v9
	s_delay_alu instid0(VALU_DEP_1) | instskip(SKIP_1) | instid1(SALU_CYCLE_1)
	v_cmp_ne_u32_e64 s10, 0x7f800000, v8
                                        ; implicit-def: $vgpr8
	s_and_saveexec_b32 s22, s10
	s_xor_b32 s10, exec_lo, s22
; %bb.4163:                             ;   in Loop: Header=BB12_3209 Depth=1
	v_bfe_u32 v8, v9, 16, 1
	s_delay_alu instid0(VALU_DEP_1)
	v_add3_u32 v8, v9, v8, 0x7fff
                                        ; implicit-def: $vgpr9
; %bb.4164:                             ;   in Loop: Header=BB12_3209 Depth=1
	s_and_not1_saveexec_b32 s22, s10
; %bb.4165:                             ;   in Loop: Header=BB12_3209 Depth=1
	v_and_b32_e32 v8, 0xffff, v9
	v_or_b32_e32 v12, 0x10000, v9
	s_delay_alu instid0(VALU_DEP_2) | instskip(NEXT) | instid1(VALU_DEP_1)
	v_cmp_eq_u32_e64 s10, 0, v8
	v_cndmask_b32_e64 v8, v12, v9, s10
; %bb.4166:                             ;   in Loop: Header=BB12_3209 Depth=1
	s_or_b32 exec_lo, exec_lo, s22
	v_and_b32_e32 v9, 0xffff0000, v13
	s_delay_alu instid0(VALU_DEP_1) | instskip(NEXT) | instid1(VALU_DEP_1)
	v_mul_f32_e32 v12, v15, v9
	v_and_b32_e32 v9, 0x7f800000, v12
	s_delay_alu instid0(VALU_DEP_1) | instskip(SKIP_1) | instid1(SALU_CYCLE_1)
	v_cmp_ne_u32_e64 s10, 0x7f800000, v9
                                        ; implicit-def: $vgpr9
	s_and_saveexec_b32 s22, s10
	s_xor_b32 s10, exec_lo, s22
; %bb.4167:                             ;   in Loop: Header=BB12_3209 Depth=1
	v_bfe_u32 v9, v12, 16, 1
	s_delay_alu instid0(VALU_DEP_1)
	v_add3_u32 v9, v12, v9, 0x7fff
                                        ; implicit-def: $vgpr12
; %bb.4168:                             ;   in Loop: Header=BB12_3209 Depth=1
	s_and_not1_saveexec_b32 s22, s10
; %bb.4169:                             ;   in Loop: Header=BB12_3209 Depth=1
	v_and_b32_e32 v9, 0xffff, v12
	v_or_b32_e32 v13, 0x10000, v12
	s_delay_alu instid0(VALU_DEP_2) | instskip(NEXT) | instid1(VALU_DEP_1)
	v_cmp_eq_u32_e64 s10, 0, v9
	v_cndmask_b32_e64 v9, v13, v12, s10
; %bb.4170:                             ;   in Loop: Header=BB12_3209 Depth=1
	s_or_b32 exec_lo, exec_lo, s22
	v_dual_lshrrev_b32 v10, 16, v10 :: v_dual_lshrrev_b32 v4, 16, v4
	v_dual_lshrrev_b32 v6, 16, v6 :: v_dual_lshrrev_b32 v8, 16, v8
	s_delay_alu instid0(VALU_DEP_2) | instskip(NEXT) | instid1(VALU_DEP_3)
	v_and_or_b32 v11, 0xffff0000, v11, v10
	v_and_or_b32 v10, 0xffff0000, v5, v4
	s_delay_alu instid0(VALU_DEP_3) | instskip(NEXT) | instid1(VALU_DEP_4)
	v_and_or_b32 v12, 0xffff0000, v7, v6
	v_and_or_b32 v13, 0xffff0000, v9, v8
	global_store_b128 v[2:3], v[10:13], off th:TH_STORE_NT
.LBB12_4171:                            ;   in Loop: Header=BB12_3209 Depth=1
	s_wait_xcnt 0x0
	s_or_b32 exec_lo, exec_lo, s21
	v_and_b32_e32 v3, 14, v42
	s_mov_b32 s22, s19
	s_mov_b32 s21, exec_lo
                                        ; implicit-def: $vgpr12
                                        ; implicit-def: $vgpr2
                                        ; implicit-def: $vgpr13
	s_delay_alu instid0(VALU_DEP_1) | instskip(NEXT) | instid1(VALU_DEP_1)
	v_cndmask_b32_e32 v42, v21, v3, vcc_lo
	v_cmpx_ne_u32_e32 0, v42
	s_cbranch_execz .LBB12_4173
; %bb.4172:                             ;   in Loop: Header=BB12_3209 Depth=1
	v_cmp_lt_i32_e64 s10, 0, v22
	s_or_b32 s22, s19, exec_lo
	v_dual_sub_nc_u32 v3, v21, v3 :: v_dual_cndmask_b32 v2, 0, v72, s10
	s_delay_alu instid0(VALU_DEP_1) | instskip(NEXT) | instid1(VALU_DEP_1)
	v_dual_cndmask_b32 v3, 0, v3 :: v_dual_sub_nc_u32 v2, v2, v22
	v_add3_u32 v12, v20, v0, v3
	s_delay_alu instid0(VALU_DEP_2) | instskip(NEXT) | instid1(VALU_DEP_1)
	v_lshl_add_u32 v2, v2, 5, v1
	v_ashrrev_i32_e32 v1, 31, v2
	s_delay_alu instid0(VALU_DEP_1) | instskip(NEXT) | instid1(VALU_DEP_1)
	v_lshrrev_b32_e32 v1, 27, v1
	v_add_nc_u32_e32 v1, v2, v1
	s_delay_alu instid0(VALU_DEP_1) | instskip(NEXT) | instid1(VALU_DEP_1)
	v_and_b32_e32 v1, 0xffffffe0, v1
	v_sub_nc_u32_e32 v13, v2, v1
.LBB12_4173:                            ;   in Loop: Header=BB12_3209 Depth=1
	s_or_b32 exec_lo, exec_lo, s21
	s_delay_alu instid0(SALU_CYCLE_1) | instskip(SKIP_1) | instid1(SALU_CYCLE_1)
	s_and_not1_b32 s10, s19, exec_lo
	s_and_b32 s19, s22, exec_lo
	s_or_b32 s19, s10, s19
.LBB12_4174:                            ;   in Loop: Header=BB12_3209 Depth=1
	s_or_b32 exec_lo, exec_lo, s20
	s_clause 0x5
	scratch_load_b64 v[64:65], off, s33 offset:356
	; meta instruction
	scratch_load_b64 v[66:67], off, s33 offset:368
	scratch_load_b64 v[68:69], off, s33 offset:392
	;; [unrolled: 1-line block ×5, first 2 shown]
	s_wait_xcnt 0x0
	s_and_saveexec_b32 s10, s19
	s_cbranch_execz .LBB12_4399
.LBB12_4175:                            ;   in Loop: Header=BB12_3209 Depth=1
	s_wait_loadcnt 0x0
	v_dual_ashrrev_i32 v0, 31, v2 :: v_dual_mov_b32 v6, 0
	v_dual_mov_b32 v37, 0 :: v_dual_mov_b32 v32, 0
	s_delay_alu instid0(VALU_DEP_2) | instskip(SKIP_2) | instid1(VALU_DEP_3)
	v_dual_mov_b32 v29, 0 :: v_dual_lshrrev_b32 v0, 27, v0
	v_dual_ashrrev_i32 v1, 31, v42 :: v_dual_mov_b32 v25, 0
	v_dual_mov_b32 v23, 0 :: v_dual_mov_b32 v21, 0
	v_dual_mov_b32 v19, 0 :: v_dual_add_nc_u32 v0, v2, v0
	s_delay_alu instid0(VALU_DEP_3) | instskip(SKIP_1) | instid1(VALU_DEP_3)
	v_dual_mov_b32 v5, 0 :: v_dual_lshrrev_b32 v1, 22, v1
	v_dual_lshlrev_b32 v2, 1, v13 :: v_dual_mov_b32 v18, 0
	v_dual_mov_b32 v17, 0 :: v_dual_ashrrev_i32 v0, 5, v0
	s_delay_alu instid0(VALU_DEP_3) | instskip(SKIP_1) | instid1(VALU_DEP_3)
	v_dual_mov_b32 v35, 0 :: v_dual_add_nc_u32 v1, v42, v1
	v_dual_mov_b32 v33, 0 :: v_dual_mov_b32 v27, 0
	v_dual_mov_b32 v4, 0 :: v_dual_lshlrev_b32 v3, 10, v0
	s_delay_alu instid0(VALU_DEP_3) | instskip(SKIP_2) | instid1(VALU_DEP_2)
	v_ashrrev_i32_e32 v14, 10, v1
	s_mov_b32 s20, 0
	s_mov_b32 s19, exec_lo
	v_add3_u32 v10, v12, v2, v3
	s_delay_alu instid0(VALU_DEP_2) | instskip(NEXT) | instid1(VALU_DEP_2)
	v_dual_mov_b32 v0, 0 :: v_dual_sub_nc_u32 v1, v14, v0
	v_ashrrev_i32_e32 v11, 31, v10
	s_delay_alu instid0(VALU_DEP_1) | instskip(NEXT) | instid1(VALU_DEP_3)
	v_add_nc_u64_e32 v[2:3], v[82:83], v[10:11]
	v_cmpx_lt_i32_e32 0, v1
	s_cbranch_execz .LBB12_4311
; %bb.4176:                             ;   in Loop: Header=BB12_3209 Depth=1
	s_trap 2
	scratch_load_b64 v[4:5], off, s33 offset:336 th:TH_LOAD_LU ; 8-byte Folded Reload
	ds_load_b32 v0, v0
	s_mov_b32 s22, 0
	s_mov_b32 s21, 0
                                        ; implicit-def: $sgpr20
                                        ; implicit-def: $vgpr52
                                        ; implicit-def: $vgpr50
                                        ; implicit-def: $vgpr48
                                        ; implicit-def: $vgpr38
                                        ; implicit-def: $vgpr36
                                        ; implicit-def: $vgpr34
                                        ; implicit-def: $vgpr31
                                        ; implicit-def: $vgpr28
                                        ; implicit-def: $vgpr26
                                        ; implicit-def: $vgpr24
                                        ; implicit-def: $vgpr22
                                        ; implicit-def: $vgpr20
                                        ; implicit-def: $vgpr18
                                        ; implicit-def: $vgpr17
                                        ; implicit-def: $vgpr16
                                        ; implicit-def: $vgpr15
	s_wait_dscnt 0x0
	v_lshlrev_b32_e32 v0, 16, v0
	s_wait_loadcnt 0x0
	v_add_nc_u64_e32 v[10:11], v[10:11], v[4:5]
	s_branch .LBB12_4178
.LBB12_4177:                            ;   in Loop: Header=BB12_4178 Depth=2
	s_or_b32 exec_lo, exec_lo, s23
	v_cndmask_b32_e64 v9, 0, v72, s22
	s_clause 0x7
	flat_store_d16_hi_b16 v[2:3], v4 th:TH_STORE_NT
	flat_store_d16_hi_b16 v[2:3], v5 offset:64 th:TH_STORE_NT
	flat_store_d16_hi_b16 v[2:3], v53 offset:128 th:TH_STORE_NT
	;; [unrolled: 1-line block ×7, first 2 shown]
	s_wait_xcnt 0x6
	v_dual_cndmask_b32 v5, 0, v79, s22 :: v_dual_cndmask_b32 v55, 0, v105, s22
	v_cndmask_b32_e64 v54, 0x400, v104, s22
	v_dual_sub_nc_u32 v1, v1, v9 :: v_dual_cndmask_b32 v4, 0, v78, s22
	s_clause 0x7
	flat_store_d16_hi_b16 v[2:3], v33 offset:512 th:TH_STORE_NT
	flat_store_d16_hi_b16 v[2:3], v32 offset:576 th:TH_STORE_NT
	;; [unrolled: 1-line block ×8, first 2 shown]
	s_wait_xcnt 0x0
	v_add_nc_u64_e32 v[2:3], v[2:3], v[54:55]
	v_cmp_gt_i32_e32 vcc_lo, 1, v1
	v_add_nc_u64_e32 v[10:11], v[10:11], v[4:5]
	s_or_b32 s21, vcc_lo, s21
	s_and_not1_b32 s20, s20, exec_lo
	s_and_b32 s23, s22, exec_lo
	s_delay_alu instid0(SALU_CYCLE_1)
	s_or_b32 s20, s20, s23
	s_and_not1_b32 exec_lo, exec_lo, s21
	s_cbranch_execz .LBB12_4310
.LBB12_4178:                            ;   Parent Loop BB12_3209 Depth=1
                                        ; =>  This Inner Loop Header: Depth=2
	s_clause 0xf
	flat_load_u16 v55, v[10:11] th:TH_LOAD_NT
	flat_load_u16 v54, v[10:11] offset:64 th:TH_LOAD_NT
	flat_load_u16 v53, v[10:11] offset:128 th:TH_LOAD_NT
	;; [unrolled: 1-line block ×15, first 2 shown]
	s_wait_xcnt 0x0
	s_and_saveexec_b32 s23, s22
	s_cbranch_execz .LBB12_4244
; %bb.4179:                             ;   in Loop: Header=BB12_4178 Depth=2
	v_lshlrev_b32_e32 v4, 16, v52
	s_delay_alu instid0(VALU_DEP_1) | instskip(NEXT) | instid1(VALU_DEP_1)
	v_mul_f32_e32 v5, v0, v4
	v_and_b32_e32 v4, 0x7f800000, v5
	s_delay_alu instid0(VALU_DEP_1) | instskip(SKIP_1) | instid1(SALU_CYCLE_1)
	v_cmp_ne_u32_e32 vcc_lo, 0x7f800000, v4
                                        ; implicit-def: $vgpr4
	s_and_saveexec_b32 s22, vcc_lo
	s_xor_b32 s22, exec_lo, s22
; %bb.4180:                             ;   in Loop: Header=BB12_4178 Depth=2
	v_bfe_u32 v4, v5, 16, 1
	s_delay_alu instid0(VALU_DEP_1)
	v_add3_u32 v4, v5, v4, 0x7fff
                                        ; implicit-def: $vgpr5
; %bb.4181:                             ;   in Loop: Header=BB12_4178 Depth=2
	s_and_not1_saveexec_b32 s22, s22
; %bb.4182:                             ;   in Loop: Header=BB12_4178 Depth=2
	v_and_b32_e32 v4, 0xffff, v5
	v_or_b32_e32 v6, 0x10000, v5
	s_delay_alu instid0(VALU_DEP_2) | instskip(NEXT) | instid1(VALU_DEP_2)
	v_cmp_eq_u32_e32 vcc_lo, 0, v4
	v_cndmask_b32_e32 v4, v6, v5, vcc_lo
; %bb.4183:                             ;   in Loop: Header=BB12_4178 Depth=2
	s_or_b32 exec_lo, exec_lo, s22
	v_lshlrev_b32_e32 v5, 16, v50
	s_delay_alu instid0(VALU_DEP_1) | instskip(NEXT) | instid1(VALU_DEP_1)
	v_mul_f32_e32 v6, v0, v5
	v_and_b32_e32 v5, 0x7f800000, v6
	s_delay_alu instid0(VALU_DEP_1) | instskip(SKIP_1) | instid1(SALU_CYCLE_1)
	v_cmp_ne_u32_e32 vcc_lo, 0x7f800000, v5
                                        ; implicit-def: $vgpr5
	s_and_saveexec_b32 s22, vcc_lo
	s_xor_b32 s22, exec_lo, s22
; %bb.4184:                             ;   in Loop: Header=BB12_4178 Depth=2
	v_bfe_u32 v5, v6, 16, 1
	s_delay_alu instid0(VALU_DEP_1)
	v_add3_u32 v5, v6, v5, 0x7fff
                                        ; implicit-def: $vgpr6
; %bb.4185:                             ;   in Loop: Header=BB12_4178 Depth=2
	s_and_not1_saveexec_b32 s22, s22
; %bb.4186:                             ;   in Loop: Header=BB12_4178 Depth=2
	v_and_b32_e32 v5, 0xffff, v6
	v_or_b32_e32 v7, 0x10000, v6
	s_delay_alu instid0(VALU_DEP_2) | instskip(NEXT) | instid1(VALU_DEP_2)
	v_cmp_eq_u32_e32 vcc_lo, 0, v5
	v_cndmask_b32_e32 v5, v7, v6, vcc_lo
; %bb.4187:                             ;   in Loop: Header=BB12_4178 Depth=2
	s_or_b32 exec_lo, exec_lo, s22
	v_lshlrev_b32_e32 v6, 16, v48
	s_mov_b32 s22, exec_lo
                                        ; implicit-def: $vgpr48
	s_delay_alu instid0(VALU_DEP_1) | instskip(NEXT) | instid1(VALU_DEP_1)
	v_mul_f32_e32 v6, v0, v6
	v_and_b32_e32 v7, 0x7f800000, v6
	s_delay_alu instid0(VALU_DEP_1)
	v_cmpx_ne_u32_e32 0x7f800000, v7
	s_xor_b32 s22, exec_lo, s22
; %bb.4188:                             ;   in Loop: Header=BB12_4178 Depth=2
	v_bfe_u32 v7, v6, 16, 1
	s_delay_alu instid0(VALU_DEP_1)
	v_add3_u32 v48, v6, v7, 0x7fff
                                        ; implicit-def: $vgpr6
; %bb.4189:                             ;   in Loop: Header=BB12_4178 Depth=2
	s_and_not1_saveexec_b32 s22, s22
; %bb.4190:                             ;   in Loop: Header=BB12_4178 Depth=2
	v_and_b32_e32 v7, 0xffff, v6
	v_or_b32_e32 v8, 0x10000, v6
	s_delay_alu instid0(VALU_DEP_2) | instskip(NEXT) | instid1(VALU_DEP_2)
	v_cmp_eq_u32_e32 vcc_lo, 0, v7
	v_cndmask_b32_e32 v48, v8, v6, vcc_lo
; %bb.4191:                             ;   in Loop: Header=BB12_4178 Depth=2
	s_or_b32 exec_lo, exec_lo, s22
	v_lshlrev_b32_e32 v6, 16, v38
	s_mov_b32 s22, exec_lo
                                        ; implicit-def: $vgpr38
	s_delay_alu instid0(VALU_DEP_1) | instskip(NEXT) | instid1(VALU_DEP_1)
	v_mul_f32_e32 v6, v0, v6
	v_and_b32_e32 v7, 0x7f800000, v6
	s_delay_alu instid0(VALU_DEP_1)
	v_cmpx_ne_u32_e32 0x7f800000, v7
	s_xor_b32 s22, exec_lo, s22
; %bb.4192:                             ;   in Loop: Header=BB12_4178 Depth=2
	v_bfe_u32 v7, v6, 16, 1
	s_delay_alu instid0(VALU_DEP_1)
	v_add3_u32 v38, v6, v7, 0x7fff
                                        ; implicit-def: $vgpr6
; %bb.4193:                             ;   in Loop: Header=BB12_4178 Depth=2
	s_and_not1_saveexec_b32 s22, s22
; %bb.4194:                             ;   in Loop: Header=BB12_4178 Depth=2
	v_and_b32_e32 v7, 0xffff, v6
	v_or_b32_e32 v8, 0x10000, v6
	s_delay_alu instid0(VALU_DEP_2) | instskip(NEXT) | instid1(VALU_DEP_2)
	v_cmp_eq_u32_e32 vcc_lo, 0, v7
	v_cndmask_b32_e32 v38, v8, v6, vcc_lo
; %bb.4195:                             ;   in Loop: Header=BB12_4178 Depth=2
	s_or_b32 exec_lo, exec_lo, s22
	v_lshlrev_b32_e32 v6, 16, v36
	s_mov_b32 s22, exec_lo
                                        ; implicit-def: $vgpr36
	s_delay_alu instid0(VALU_DEP_1) | instskip(NEXT) | instid1(VALU_DEP_1)
	v_mul_f32_e32 v6, v0, v6
	v_and_b32_e32 v7, 0x7f800000, v6
	s_delay_alu instid0(VALU_DEP_1)
	v_cmpx_ne_u32_e32 0x7f800000, v7
	s_xor_b32 s22, exec_lo, s22
; %bb.4196:                             ;   in Loop: Header=BB12_4178 Depth=2
	v_bfe_u32 v7, v6, 16, 1
	s_delay_alu instid0(VALU_DEP_1)
	v_add3_u32 v36, v6, v7, 0x7fff
                                        ; implicit-def: $vgpr6
; %bb.4197:                             ;   in Loop: Header=BB12_4178 Depth=2
	s_and_not1_saveexec_b32 s22, s22
; %bb.4198:                             ;   in Loop: Header=BB12_4178 Depth=2
	v_and_b32_e32 v7, 0xffff, v6
	v_or_b32_e32 v8, 0x10000, v6
	s_delay_alu instid0(VALU_DEP_2) | instskip(NEXT) | instid1(VALU_DEP_2)
	v_cmp_eq_u32_e32 vcc_lo, 0, v7
	v_cndmask_b32_e32 v36, v8, v6, vcc_lo
; %bb.4199:                             ;   in Loop: Header=BB12_4178 Depth=2
	s_or_b32 exec_lo, exec_lo, s22
	v_lshlrev_b32_e32 v6, 16, v34
	s_mov_b32 s22, exec_lo
                                        ; implicit-def: $vgpr34
	s_delay_alu instid0(VALU_DEP_1) | instskip(NEXT) | instid1(VALU_DEP_1)
	v_mul_f32_e32 v6, v0, v6
	v_and_b32_e32 v7, 0x7f800000, v6
	s_delay_alu instid0(VALU_DEP_1)
	v_cmpx_ne_u32_e32 0x7f800000, v7
	s_xor_b32 s22, exec_lo, s22
; %bb.4200:                             ;   in Loop: Header=BB12_4178 Depth=2
	v_bfe_u32 v7, v6, 16, 1
	s_delay_alu instid0(VALU_DEP_1)
	v_add3_u32 v34, v6, v7, 0x7fff
                                        ; implicit-def: $vgpr6
; %bb.4201:                             ;   in Loop: Header=BB12_4178 Depth=2
	s_and_not1_saveexec_b32 s22, s22
; %bb.4202:                             ;   in Loop: Header=BB12_4178 Depth=2
	v_and_b32_e32 v7, 0xffff, v6
	v_or_b32_e32 v8, 0x10000, v6
	s_delay_alu instid0(VALU_DEP_2) | instskip(NEXT) | instid1(VALU_DEP_2)
	v_cmp_eq_u32_e32 vcc_lo, 0, v7
	v_cndmask_b32_e32 v34, v8, v6, vcc_lo
; %bb.4203:                             ;   in Loop: Header=BB12_4178 Depth=2
	s_or_b32 exec_lo, exec_lo, s22
	v_lshlrev_b32_e32 v6, 16, v31
	s_mov_b32 s22, exec_lo
                                        ; implicit-def: $vgpr31
	s_delay_alu instid0(VALU_DEP_1) | instskip(NEXT) | instid1(VALU_DEP_1)
	v_mul_f32_e32 v6, v0, v6
	v_and_b32_e32 v7, 0x7f800000, v6
	s_delay_alu instid0(VALU_DEP_1)
	v_cmpx_ne_u32_e32 0x7f800000, v7
	s_xor_b32 s22, exec_lo, s22
; %bb.4204:                             ;   in Loop: Header=BB12_4178 Depth=2
	v_bfe_u32 v7, v6, 16, 1
	s_delay_alu instid0(VALU_DEP_1)
	v_add3_u32 v31, v6, v7, 0x7fff
                                        ; implicit-def: $vgpr6
; %bb.4205:                             ;   in Loop: Header=BB12_4178 Depth=2
	s_and_not1_saveexec_b32 s22, s22
; %bb.4206:                             ;   in Loop: Header=BB12_4178 Depth=2
	v_and_b32_e32 v7, 0xffff, v6
	v_or_b32_e32 v8, 0x10000, v6
	s_delay_alu instid0(VALU_DEP_2) | instskip(NEXT) | instid1(VALU_DEP_2)
	v_cmp_eq_u32_e32 vcc_lo, 0, v7
	v_cndmask_b32_e32 v31, v8, v6, vcc_lo
; %bb.4207:                             ;   in Loop: Header=BB12_4178 Depth=2
	s_or_b32 exec_lo, exec_lo, s22
	v_lshlrev_b32_e32 v6, 16, v28
	s_mov_b32 s22, exec_lo
                                        ; implicit-def: $vgpr28
	s_delay_alu instid0(VALU_DEP_1) | instskip(NEXT) | instid1(VALU_DEP_1)
	v_mul_f32_e32 v6, v0, v6
	v_and_b32_e32 v7, 0x7f800000, v6
	s_delay_alu instid0(VALU_DEP_1)
	v_cmpx_ne_u32_e32 0x7f800000, v7
	s_xor_b32 s22, exec_lo, s22
; %bb.4208:                             ;   in Loop: Header=BB12_4178 Depth=2
	v_bfe_u32 v7, v6, 16, 1
	s_delay_alu instid0(VALU_DEP_1)
	v_add3_u32 v28, v6, v7, 0x7fff
                                        ; implicit-def: $vgpr6
; %bb.4209:                             ;   in Loop: Header=BB12_4178 Depth=2
	s_and_not1_saveexec_b32 s22, s22
; %bb.4210:                             ;   in Loop: Header=BB12_4178 Depth=2
	v_and_b32_e32 v7, 0xffff, v6
	v_or_b32_e32 v8, 0x10000, v6
	s_delay_alu instid0(VALU_DEP_2) | instskip(NEXT) | instid1(VALU_DEP_2)
	v_cmp_eq_u32_e32 vcc_lo, 0, v7
	v_cndmask_b32_e32 v28, v8, v6, vcc_lo
; %bb.4211:                             ;   in Loop: Header=BB12_4178 Depth=2
	s_or_b32 exec_lo, exec_lo, s22
	v_lshlrev_b32_e32 v6, 16, v26
	s_mov_b32 s22, exec_lo
                                        ; implicit-def: $vgpr26
	s_delay_alu instid0(VALU_DEP_1) | instskip(NEXT) | instid1(VALU_DEP_1)
	v_mul_f32_e32 v6, v0, v6
	v_and_b32_e32 v7, 0x7f800000, v6
	s_delay_alu instid0(VALU_DEP_1)
	v_cmpx_ne_u32_e32 0x7f800000, v7
	s_xor_b32 s22, exec_lo, s22
; %bb.4212:                             ;   in Loop: Header=BB12_4178 Depth=2
	v_bfe_u32 v7, v6, 16, 1
	s_delay_alu instid0(VALU_DEP_1)
	v_add3_u32 v26, v6, v7, 0x7fff
                                        ; implicit-def: $vgpr6
; %bb.4213:                             ;   in Loop: Header=BB12_4178 Depth=2
	s_and_not1_saveexec_b32 s22, s22
; %bb.4214:                             ;   in Loop: Header=BB12_4178 Depth=2
	v_and_b32_e32 v7, 0xffff, v6
	v_or_b32_e32 v8, 0x10000, v6
	s_delay_alu instid0(VALU_DEP_2) | instskip(NEXT) | instid1(VALU_DEP_2)
	v_cmp_eq_u32_e32 vcc_lo, 0, v7
	v_cndmask_b32_e32 v26, v8, v6, vcc_lo
; %bb.4215:                             ;   in Loop: Header=BB12_4178 Depth=2
	s_or_b32 exec_lo, exec_lo, s22
	v_lshlrev_b32_e32 v6, 16, v24
	s_mov_b32 s22, exec_lo
                                        ; implicit-def: $vgpr24
	s_delay_alu instid0(VALU_DEP_1) | instskip(NEXT) | instid1(VALU_DEP_1)
	v_mul_f32_e32 v6, v0, v6
	v_and_b32_e32 v7, 0x7f800000, v6
	s_delay_alu instid0(VALU_DEP_1)
	v_cmpx_ne_u32_e32 0x7f800000, v7
	s_xor_b32 s22, exec_lo, s22
; %bb.4216:                             ;   in Loop: Header=BB12_4178 Depth=2
	v_bfe_u32 v7, v6, 16, 1
	s_delay_alu instid0(VALU_DEP_1)
	v_add3_u32 v24, v6, v7, 0x7fff
                                        ; implicit-def: $vgpr6
; %bb.4217:                             ;   in Loop: Header=BB12_4178 Depth=2
	s_and_not1_saveexec_b32 s22, s22
; %bb.4218:                             ;   in Loop: Header=BB12_4178 Depth=2
	v_and_b32_e32 v7, 0xffff, v6
	v_or_b32_e32 v8, 0x10000, v6
	s_delay_alu instid0(VALU_DEP_2) | instskip(NEXT) | instid1(VALU_DEP_2)
	v_cmp_eq_u32_e32 vcc_lo, 0, v7
	v_cndmask_b32_e32 v24, v8, v6, vcc_lo
; %bb.4219:                             ;   in Loop: Header=BB12_4178 Depth=2
	s_or_b32 exec_lo, exec_lo, s22
	v_lshlrev_b32_e32 v6, 16, v22
	s_mov_b32 s22, exec_lo
                                        ; implicit-def: $vgpr22
	s_delay_alu instid0(VALU_DEP_1) | instskip(NEXT) | instid1(VALU_DEP_1)
	v_mul_f32_e32 v6, v0, v6
	v_and_b32_e32 v7, 0x7f800000, v6
	s_delay_alu instid0(VALU_DEP_1)
	v_cmpx_ne_u32_e32 0x7f800000, v7
	s_xor_b32 s22, exec_lo, s22
; %bb.4220:                             ;   in Loop: Header=BB12_4178 Depth=2
	v_bfe_u32 v7, v6, 16, 1
	s_delay_alu instid0(VALU_DEP_1)
	v_add3_u32 v22, v6, v7, 0x7fff
                                        ; implicit-def: $vgpr6
; %bb.4221:                             ;   in Loop: Header=BB12_4178 Depth=2
	s_and_not1_saveexec_b32 s22, s22
; %bb.4222:                             ;   in Loop: Header=BB12_4178 Depth=2
	v_and_b32_e32 v7, 0xffff, v6
	v_or_b32_e32 v8, 0x10000, v6
	s_delay_alu instid0(VALU_DEP_2) | instskip(NEXT) | instid1(VALU_DEP_2)
	v_cmp_eq_u32_e32 vcc_lo, 0, v7
	v_cndmask_b32_e32 v22, v8, v6, vcc_lo
; %bb.4223:                             ;   in Loop: Header=BB12_4178 Depth=2
	s_or_b32 exec_lo, exec_lo, s22
	v_lshlrev_b32_e32 v6, 16, v20
	s_mov_b32 s22, exec_lo
                                        ; implicit-def: $vgpr20
	s_delay_alu instid0(VALU_DEP_1) | instskip(NEXT) | instid1(VALU_DEP_1)
	v_mul_f32_e32 v6, v0, v6
	v_and_b32_e32 v7, 0x7f800000, v6
	s_delay_alu instid0(VALU_DEP_1)
	v_cmpx_ne_u32_e32 0x7f800000, v7
	s_xor_b32 s22, exec_lo, s22
; %bb.4224:                             ;   in Loop: Header=BB12_4178 Depth=2
	v_bfe_u32 v7, v6, 16, 1
	s_delay_alu instid0(VALU_DEP_1)
	v_add3_u32 v20, v6, v7, 0x7fff
                                        ; implicit-def: $vgpr6
; %bb.4225:                             ;   in Loop: Header=BB12_4178 Depth=2
	s_and_not1_saveexec_b32 s22, s22
; %bb.4226:                             ;   in Loop: Header=BB12_4178 Depth=2
	v_and_b32_e32 v7, 0xffff, v6
	v_or_b32_e32 v8, 0x10000, v6
	s_delay_alu instid0(VALU_DEP_2) | instskip(NEXT) | instid1(VALU_DEP_2)
	v_cmp_eq_u32_e32 vcc_lo, 0, v7
	v_cndmask_b32_e32 v20, v8, v6, vcc_lo
; %bb.4227:                             ;   in Loop: Header=BB12_4178 Depth=2
	s_or_b32 exec_lo, exec_lo, s22
	v_lshlrev_b32_e32 v6, 16, v18
	s_delay_alu instid0(VALU_DEP_1) | instskip(NEXT) | instid1(VALU_DEP_1)
	v_mul_f32_e32 v7, v0, v6
	v_and_b32_e32 v6, 0x7f800000, v7
	s_delay_alu instid0(VALU_DEP_1) | instskip(SKIP_1) | instid1(SALU_CYCLE_1)
	v_cmp_ne_u32_e32 vcc_lo, 0x7f800000, v6
                                        ; implicit-def: $vgpr6
	s_and_saveexec_b32 s22, vcc_lo
	s_xor_b32 s22, exec_lo, s22
; %bb.4228:                             ;   in Loop: Header=BB12_4178 Depth=2
	v_bfe_u32 v6, v7, 16, 1
	s_delay_alu instid0(VALU_DEP_1)
	v_add3_u32 v6, v7, v6, 0x7fff
                                        ; implicit-def: $vgpr7
; %bb.4229:                             ;   in Loop: Header=BB12_4178 Depth=2
	s_and_not1_saveexec_b32 s22, s22
; %bb.4230:                             ;   in Loop: Header=BB12_4178 Depth=2
	v_and_b32_e32 v6, 0xffff, v7
	v_or_b32_e32 v8, 0x10000, v7
	s_delay_alu instid0(VALU_DEP_2) | instskip(NEXT) | instid1(VALU_DEP_2)
	v_cmp_eq_u32_e32 vcc_lo, 0, v6
	v_cndmask_b32_e32 v6, v8, v7, vcc_lo
; %bb.4231:                             ;   in Loop: Header=BB12_4178 Depth=2
	s_or_b32 exec_lo, exec_lo, s22
	v_lshlrev_b32_e32 v7, 16, v17
	s_delay_alu instid0(VALU_DEP_1) | instskip(NEXT) | instid1(VALU_DEP_1)
	v_mul_f32_e32 v8, v0, v7
	v_and_b32_e32 v7, 0x7f800000, v8
	s_delay_alu instid0(VALU_DEP_1) | instskip(SKIP_1) | instid1(SALU_CYCLE_1)
	v_cmp_ne_u32_e32 vcc_lo, 0x7f800000, v7
                                        ; implicit-def: $vgpr7
	s_and_saveexec_b32 s22, vcc_lo
	s_xor_b32 s22, exec_lo, s22
; %bb.4232:                             ;   in Loop: Header=BB12_4178 Depth=2
	v_bfe_u32 v7, v8, 16, 1
	s_delay_alu instid0(VALU_DEP_1)
	v_add3_u32 v7, v8, v7, 0x7fff
                                        ; implicit-def: $vgpr8
; %bb.4233:                             ;   in Loop: Header=BB12_4178 Depth=2
	s_and_not1_saveexec_b32 s22, s22
; %bb.4234:                             ;   in Loop: Header=BB12_4178 Depth=2
	v_and_b32_e32 v7, 0xffff, v8
	v_or_b32_e32 v9, 0x10000, v8
	s_delay_alu instid0(VALU_DEP_2) | instskip(NEXT) | instid1(VALU_DEP_2)
	v_cmp_eq_u32_e32 vcc_lo, 0, v7
	v_cndmask_b32_e32 v7, v9, v8, vcc_lo
; %bb.4235:                             ;   in Loop: Header=BB12_4178 Depth=2
	s_or_b32 exec_lo, exec_lo, s22
	v_lshlrev_b32_e32 v8, 16, v16
	s_delay_alu instid0(VALU_DEP_1) | instskip(NEXT) | instid1(VALU_DEP_1)
	v_mul_f32_e32 v9, v0, v8
	v_and_b32_e32 v8, 0x7f800000, v9
	s_delay_alu instid0(VALU_DEP_1) | instskip(SKIP_1) | instid1(SALU_CYCLE_1)
	v_cmp_ne_u32_e32 vcc_lo, 0x7f800000, v8
                                        ; implicit-def: $vgpr8
	s_and_saveexec_b32 s22, vcc_lo
	s_xor_b32 s22, exec_lo, s22
; %bb.4236:                             ;   in Loop: Header=BB12_4178 Depth=2
	v_bfe_u32 v8, v9, 16, 1
	s_delay_alu instid0(VALU_DEP_1)
	v_add3_u32 v8, v9, v8, 0x7fff
                                        ; implicit-def: $vgpr9
; %bb.4237:                             ;   in Loop: Header=BB12_4178 Depth=2
	s_and_not1_saveexec_b32 s22, s22
; %bb.4238:                             ;   in Loop: Header=BB12_4178 Depth=2
	v_and_b32_e32 v8, 0xffff, v9
	v_or_b32_e32 v16, 0x10000, v9
	s_delay_alu instid0(VALU_DEP_2) | instskip(NEXT) | instid1(VALU_DEP_2)
	v_cmp_eq_u32_e32 vcc_lo, 0, v8
	v_cndmask_b32_e32 v8, v16, v9, vcc_lo
; %bb.4239:                             ;   in Loop: Header=BB12_4178 Depth=2
	s_or_b32 exec_lo, exec_lo, s22
	v_lshlrev_b32_e32 v9, 16, v15
	s_delay_alu instid0(VALU_DEP_1) | instskip(NEXT) | instid1(VALU_DEP_1)
	v_mul_f32_e32 v15, v0, v9
	v_and_b32_e32 v9, 0x7f800000, v15
	s_delay_alu instid0(VALU_DEP_1) | instskip(SKIP_1) | instid1(SALU_CYCLE_1)
	v_cmp_ne_u32_e32 vcc_lo, 0x7f800000, v9
                                        ; implicit-def: $vgpr9
	s_and_saveexec_b32 s22, vcc_lo
	s_xor_b32 s22, exec_lo, s22
; %bb.4240:                             ;   in Loop: Header=BB12_4178 Depth=2
	v_bfe_u32 v9, v15, 16, 1
	s_delay_alu instid0(VALU_DEP_1)
	v_add3_u32 v9, v15, v9, 0x7fff
                                        ; implicit-def: $vgpr15
; %bb.4241:                             ;   in Loop: Header=BB12_4178 Depth=2
	s_and_not1_saveexec_b32 s22, s22
; %bb.4242:                             ;   in Loop: Header=BB12_4178 Depth=2
	v_and_b32_e32 v9, 0xffff, v15
	v_or_b32_e32 v16, 0x10000, v15
	s_delay_alu instid0(VALU_DEP_2) | instskip(NEXT) | instid1(VALU_DEP_2)
	v_cmp_eq_u32_e32 vcc_lo, 0, v9
	v_cndmask_b32_e32 v9, v16, v15, vcc_lo
; %bb.4243:                             ;   in Loop: Header=BB12_4178 Depth=2
	s_or_b32 exec_lo, exec_lo, s22
	v_dual_lshrrev_b32 v52, 16, v4 :: v_dual_lshrrev_b32 v38, 16, v38
	v_dual_lshrrev_b32 v36, 16, v36 :: v_dual_lshrrev_b32 v50, 16, v5
	s_delay_alu instid0(VALU_DEP_3)
	v_dual_lshrrev_b32 v48, 16, v48 :: v_dual_lshrrev_b32 v15, 16, v9
	v_dual_lshrrev_b32 v16, 16, v8 :: v_dual_lshrrev_b32 v17, 16, v7
	v_dual_lshrrev_b32 v18, 16, v6 :: v_dual_lshrrev_b32 v20, 16, v20
	v_dual_lshrrev_b32 v22, 16, v22 :: v_dual_lshrrev_b32 v24, 16, v24
	v_dual_lshrrev_b32 v26, 16, v26 :: v_dual_lshrrev_b32 v28, 16, v28
	v_dual_lshrrev_b32 v31, 16, v31 :: v_dual_lshrrev_b32 v34, 16, v34
	s_clause 0xf
	flat_store_b16 v[2:3], v52 th:TH_STORE_NT
	flat_store_b16 v[2:3], v50 offset:64 th:TH_STORE_NT
	flat_store_b16 v[2:3], v48 offset:128 th:TH_STORE_NT
	;; [unrolled: 1-line block ×15, first 2 shown]
	s_wait_xcnt 0x0
	v_add_nc_u64_e32 v[2:3], v[2:3], v[104:105]
.LBB12_4244:                            ;   in Loop: Header=BB12_4178 Depth=2
	s_or_b32 exec_lo, exec_lo, s23
	v_sub_nc_u32_e32 v1, v1, v72
	v_add_nc_u64_e32 v[10:11], v[10:11], v[104:105]
	s_delay_alu instid0(VALU_DEP_2)
	v_cmp_lt_i32_e64 s22, 0, v1
	s_and_saveexec_b32 s23, s22
	s_cbranch_execz .LBB12_4246
; %bb.4245:                             ;   in Loop: Header=BB12_4178 Depth=2
	s_clause 0xf
	flat_load_u16 v52, v[10:11] th:TH_LOAD_NT
	flat_load_u16 v50, v[10:11] offset:64 th:TH_LOAD_NT
	flat_load_u16 v48, v[10:11] offset:128 th:TH_LOAD_NT
	;; [unrolled: 1-line block ×15, first 2 shown]
	s_wait_xcnt 0x0
	v_add_nc_u64_e32 v[10:11], 0x400, v[10:11]
.LBB12_4246:                            ;   in Loop: Header=BB12_4178 Depth=2
	s_or_b32 exec_lo, exec_lo, s23
	s_wait_loadcnt_dscnt 0xf0f
	v_lshlrev_b32_e32 v4, 16, v55
	s_delay_alu instid0(VALU_DEP_1) | instskip(NEXT) | instid1(VALU_DEP_1)
	v_mul_f32_e32 v5, v0, v4
	v_and_b32_e32 v4, 0x7f800000, v5
	s_delay_alu instid0(VALU_DEP_1) | instskip(SKIP_1) | instid1(SALU_CYCLE_1)
	v_cmp_ne_u32_e32 vcc_lo, 0x7f800000, v4
                                        ; implicit-def: $vgpr4
	s_and_saveexec_b32 s23, vcc_lo
	s_xor_b32 s23, exec_lo, s23
; %bb.4247:                             ;   in Loop: Header=BB12_4178 Depth=2
	v_bfe_u32 v4, v5, 16, 1
	s_delay_alu instid0(VALU_DEP_1)
	v_add3_u32 v4, v5, v4, 0x7fff
                                        ; implicit-def: $vgpr5
; %bb.4248:                             ;   in Loop: Header=BB12_4178 Depth=2
	s_and_not1_saveexec_b32 s23, s23
; %bb.4249:                             ;   in Loop: Header=BB12_4178 Depth=2
	v_and_b32_e32 v4, 0xffff, v5
	v_or_b32_e32 v6, 0x10000, v5
	s_delay_alu instid0(VALU_DEP_2) | instskip(NEXT) | instid1(VALU_DEP_2)
	v_cmp_eq_u32_e32 vcc_lo, 0, v4
	v_cndmask_b32_e32 v4, v6, v5, vcc_lo
; %bb.4250:                             ;   in Loop: Header=BB12_4178 Depth=2
	s_or_b32 exec_lo, exec_lo, s23
	s_wait_loadcnt_dscnt 0xe0e
	v_lshlrev_b32_e32 v5, 16, v54
	s_delay_alu instid0(VALU_DEP_1) | instskip(NEXT) | instid1(VALU_DEP_1)
	v_mul_f32_e32 v6, v0, v5
	v_and_b32_e32 v5, 0x7f800000, v6
	s_delay_alu instid0(VALU_DEP_1) | instskip(SKIP_1) | instid1(SALU_CYCLE_1)
	v_cmp_ne_u32_e32 vcc_lo, 0x7f800000, v5
                                        ; implicit-def: $vgpr5
	s_and_saveexec_b32 s23, vcc_lo
	s_xor_b32 s23, exec_lo, s23
; %bb.4251:                             ;   in Loop: Header=BB12_4178 Depth=2
	v_bfe_u32 v5, v6, 16, 1
	s_delay_alu instid0(VALU_DEP_1)
	v_add3_u32 v5, v6, v5, 0x7fff
                                        ; implicit-def: $vgpr6
; %bb.4252:                             ;   in Loop: Header=BB12_4178 Depth=2
	s_and_not1_saveexec_b32 s23, s23
; %bb.4253:                             ;   in Loop: Header=BB12_4178 Depth=2
	v_and_b32_e32 v5, 0xffff, v6
	v_or_b32_e32 v7, 0x10000, v6
	s_delay_alu instid0(VALU_DEP_2) | instskip(NEXT) | instid1(VALU_DEP_2)
	v_cmp_eq_u32_e32 vcc_lo, 0, v5
	v_cndmask_b32_e32 v5, v7, v6, vcc_lo
; %bb.4254:                             ;   in Loop: Header=BB12_4178 Depth=2
	s_or_b32 exec_lo, exec_lo, s23
	s_wait_loadcnt_dscnt 0xd0d
	v_lshlrev_b32_e32 v6, 16, v53
	s_mov_b32 s23, exec_lo
                                        ; implicit-def: $vgpr53
	s_delay_alu instid0(VALU_DEP_1) | instskip(NEXT) | instid1(VALU_DEP_1)
	v_mul_f32_e32 v6, v0, v6
	v_and_b32_e32 v7, 0x7f800000, v6
	s_delay_alu instid0(VALU_DEP_1)
	v_cmpx_ne_u32_e32 0x7f800000, v7
	s_xor_b32 s23, exec_lo, s23
; %bb.4255:                             ;   in Loop: Header=BB12_4178 Depth=2
	v_bfe_u32 v7, v6, 16, 1
	s_delay_alu instid0(VALU_DEP_1)
	v_add3_u32 v53, v6, v7, 0x7fff
                                        ; implicit-def: $vgpr6
; %bb.4256:                             ;   in Loop: Header=BB12_4178 Depth=2
	s_and_not1_saveexec_b32 s23, s23
; %bb.4257:                             ;   in Loop: Header=BB12_4178 Depth=2
	v_and_b32_e32 v7, 0xffff, v6
	v_or_b32_e32 v8, 0x10000, v6
	s_delay_alu instid0(VALU_DEP_2) | instskip(NEXT) | instid1(VALU_DEP_2)
	v_cmp_eq_u32_e32 vcc_lo, 0, v7
	v_cndmask_b32_e32 v53, v8, v6, vcc_lo
; %bb.4258:                             ;   in Loop: Header=BB12_4178 Depth=2
	s_or_b32 exec_lo, exec_lo, s23
	s_wait_loadcnt_dscnt 0xc0c
	v_lshlrev_b32_e32 v6, 16, v51
	s_mov_b32 s23, exec_lo
                                        ; implicit-def: $vgpr51
	s_delay_alu instid0(VALU_DEP_1) | instskip(NEXT) | instid1(VALU_DEP_1)
	v_mul_f32_e32 v6, v0, v6
	v_and_b32_e32 v7, 0x7f800000, v6
	s_delay_alu instid0(VALU_DEP_1)
	v_cmpx_ne_u32_e32 0x7f800000, v7
	s_xor_b32 s23, exec_lo, s23
; %bb.4259:                             ;   in Loop: Header=BB12_4178 Depth=2
	v_bfe_u32 v7, v6, 16, 1
	s_delay_alu instid0(VALU_DEP_1)
	v_add3_u32 v51, v6, v7, 0x7fff
                                        ; implicit-def: $vgpr6
; %bb.4260:                             ;   in Loop: Header=BB12_4178 Depth=2
	s_and_not1_saveexec_b32 s23, s23
; %bb.4261:                             ;   in Loop: Header=BB12_4178 Depth=2
	v_and_b32_e32 v7, 0xffff, v6
	v_or_b32_e32 v8, 0x10000, v6
	s_delay_alu instid0(VALU_DEP_2) | instskip(NEXT) | instid1(VALU_DEP_2)
	v_cmp_eq_u32_e32 vcc_lo, 0, v7
	v_cndmask_b32_e32 v51, v8, v6, vcc_lo
; %bb.4262:                             ;   in Loop: Header=BB12_4178 Depth=2
	s_or_b32 exec_lo, exec_lo, s23
	s_wait_loadcnt_dscnt 0xb0b
	v_lshlrev_b32_e32 v6, 16, v49
	s_mov_b32 s23, exec_lo
                                        ; implicit-def: $vgpr49
	s_delay_alu instid0(VALU_DEP_1) | instskip(NEXT) | instid1(VALU_DEP_1)
	v_mul_f32_e32 v6, v0, v6
	v_and_b32_e32 v7, 0x7f800000, v6
	s_delay_alu instid0(VALU_DEP_1)
	v_cmpx_ne_u32_e32 0x7f800000, v7
	s_xor_b32 s23, exec_lo, s23
; %bb.4263:                             ;   in Loop: Header=BB12_4178 Depth=2
	v_bfe_u32 v7, v6, 16, 1
	s_delay_alu instid0(VALU_DEP_1)
	v_add3_u32 v49, v6, v7, 0x7fff
                                        ; implicit-def: $vgpr6
; %bb.4264:                             ;   in Loop: Header=BB12_4178 Depth=2
	s_and_not1_saveexec_b32 s23, s23
; %bb.4265:                             ;   in Loop: Header=BB12_4178 Depth=2
	v_and_b32_e32 v7, 0xffff, v6
	v_or_b32_e32 v8, 0x10000, v6
	s_delay_alu instid0(VALU_DEP_2) | instskip(NEXT) | instid1(VALU_DEP_2)
	v_cmp_eq_u32_e32 vcc_lo, 0, v7
	v_cndmask_b32_e32 v49, v8, v6, vcc_lo
; %bb.4266:                             ;   in Loop: Header=BB12_4178 Depth=2
	s_or_b32 exec_lo, exec_lo, s23
	s_wait_loadcnt_dscnt 0xa0a
	v_lshlrev_b32_e32 v6, 16, v39
	s_mov_b32 s23, exec_lo
                                        ; implicit-def: $vgpr39
	s_delay_alu instid0(VALU_DEP_1) | instskip(NEXT) | instid1(VALU_DEP_1)
	v_mul_f32_e32 v6, v0, v6
	v_and_b32_e32 v7, 0x7f800000, v6
	s_delay_alu instid0(VALU_DEP_1)
	v_cmpx_ne_u32_e32 0x7f800000, v7
	s_xor_b32 s23, exec_lo, s23
; %bb.4267:                             ;   in Loop: Header=BB12_4178 Depth=2
	v_bfe_u32 v7, v6, 16, 1
	s_delay_alu instid0(VALU_DEP_1)
	v_add3_u32 v39, v6, v7, 0x7fff
                                        ; implicit-def: $vgpr6
; %bb.4268:                             ;   in Loop: Header=BB12_4178 Depth=2
	s_and_not1_saveexec_b32 s23, s23
; %bb.4269:                             ;   in Loop: Header=BB12_4178 Depth=2
	v_and_b32_e32 v7, 0xffff, v6
	v_or_b32_e32 v8, 0x10000, v6
	s_delay_alu instid0(VALU_DEP_2) | instskip(NEXT) | instid1(VALU_DEP_2)
	v_cmp_eq_u32_e32 vcc_lo, 0, v7
	v_cndmask_b32_e32 v39, v8, v6, vcc_lo
; %bb.4270:                             ;   in Loop: Header=BB12_4178 Depth=2
	s_or_b32 exec_lo, exec_lo, s23
	s_wait_loadcnt_dscnt 0x909
	v_lshlrev_b32_e32 v6, 16, v37
	s_mov_b32 s23, exec_lo
                                        ; implicit-def: $vgpr37
	s_delay_alu instid0(VALU_DEP_1) | instskip(NEXT) | instid1(VALU_DEP_1)
	v_mul_f32_e32 v6, v0, v6
	v_and_b32_e32 v7, 0x7f800000, v6
	s_delay_alu instid0(VALU_DEP_1)
	v_cmpx_ne_u32_e32 0x7f800000, v7
	s_xor_b32 s23, exec_lo, s23
; %bb.4271:                             ;   in Loop: Header=BB12_4178 Depth=2
	v_bfe_u32 v7, v6, 16, 1
	s_delay_alu instid0(VALU_DEP_1)
	v_add3_u32 v37, v6, v7, 0x7fff
                                        ; implicit-def: $vgpr6
; %bb.4272:                             ;   in Loop: Header=BB12_4178 Depth=2
	s_and_not1_saveexec_b32 s23, s23
; %bb.4273:                             ;   in Loop: Header=BB12_4178 Depth=2
	v_and_b32_e32 v7, 0xffff, v6
	v_or_b32_e32 v8, 0x10000, v6
	s_delay_alu instid0(VALU_DEP_2) | instskip(NEXT) | instid1(VALU_DEP_2)
	v_cmp_eq_u32_e32 vcc_lo, 0, v7
	v_cndmask_b32_e32 v37, v8, v6, vcc_lo
; %bb.4274:                             ;   in Loop: Header=BB12_4178 Depth=2
	s_or_b32 exec_lo, exec_lo, s23
	s_wait_loadcnt_dscnt 0x808
	v_lshlrev_b32_e32 v6, 16, v35
	s_mov_b32 s23, exec_lo
                                        ; implicit-def: $vgpr35
	s_delay_alu instid0(VALU_DEP_1) | instskip(NEXT) | instid1(VALU_DEP_1)
	v_mul_f32_e32 v6, v0, v6
	v_and_b32_e32 v7, 0x7f800000, v6
	s_delay_alu instid0(VALU_DEP_1)
	v_cmpx_ne_u32_e32 0x7f800000, v7
	s_xor_b32 s23, exec_lo, s23
; %bb.4275:                             ;   in Loop: Header=BB12_4178 Depth=2
	v_bfe_u32 v7, v6, 16, 1
	s_delay_alu instid0(VALU_DEP_1)
	v_add3_u32 v35, v6, v7, 0x7fff
                                        ; implicit-def: $vgpr6
; %bb.4276:                             ;   in Loop: Header=BB12_4178 Depth=2
	s_and_not1_saveexec_b32 s23, s23
; %bb.4277:                             ;   in Loop: Header=BB12_4178 Depth=2
	v_and_b32_e32 v7, 0xffff, v6
	v_or_b32_e32 v8, 0x10000, v6
	s_delay_alu instid0(VALU_DEP_2) | instskip(NEXT) | instid1(VALU_DEP_2)
	v_cmp_eq_u32_e32 vcc_lo, 0, v7
	v_cndmask_b32_e32 v35, v8, v6, vcc_lo
; %bb.4278:                             ;   in Loop: Header=BB12_4178 Depth=2
	s_or_b32 exec_lo, exec_lo, s23
	s_wait_loadcnt_dscnt 0x707
	v_lshlrev_b32_e32 v6, 16, v33
	s_mov_b32 s23, exec_lo
                                        ; implicit-def: $vgpr33
	s_delay_alu instid0(VALU_DEP_1) | instskip(NEXT) | instid1(VALU_DEP_1)
	v_mul_f32_e32 v6, v0, v6
	v_and_b32_e32 v7, 0x7f800000, v6
	s_delay_alu instid0(VALU_DEP_1)
	v_cmpx_ne_u32_e32 0x7f800000, v7
	s_xor_b32 s23, exec_lo, s23
; %bb.4279:                             ;   in Loop: Header=BB12_4178 Depth=2
	v_bfe_u32 v7, v6, 16, 1
	s_delay_alu instid0(VALU_DEP_1)
	v_add3_u32 v33, v6, v7, 0x7fff
                                        ; implicit-def: $vgpr6
; %bb.4280:                             ;   in Loop: Header=BB12_4178 Depth=2
	s_and_not1_saveexec_b32 s23, s23
; %bb.4281:                             ;   in Loop: Header=BB12_4178 Depth=2
	v_and_b32_e32 v7, 0xffff, v6
	v_or_b32_e32 v8, 0x10000, v6
	s_delay_alu instid0(VALU_DEP_2) | instskip(NEXT) | instid1(VALU_DEP_2)
	v_cmp_eq_u32_e32 vcc_lo, 0, v7
	v_cndmask_b32_e32 v33, v8, v6, vcc_lo
; %bb.4282:                             ;   in Loop: Header=BB12_4178 Depth=2
	s_or_b32 exec_lo, exec_lo, s23
	s_wait_loadcnt_dscnt 0x606
	v_lshlrev_b32_e32 v6, 16, v32
	s_mov_b32 s23, exec_lo
                                        ; implicit-def: $vgpr32
	s_delay_alu instid0(VALU_DEP_1) | instskip(NEXT) | instid1(VALU_DEP_1)
	v_mul_f32_e32 v6, v0, v6
	v_and_b32_e32 v7, 0x7f800000, v6
	s_delay_alu instid0(VALU_DEP_1)
	v_cmpx_ne_u32_e32 0x7f800000, v7
	s_xor_b32 s23, exec_lo, s23
; %bb.4283:                             ;   in Loop: Header=BB12_4178 Depth=2
	v_bfe_u32 v7, v6, 16, 1
	s_delay_alu instid0(VALU_DEP_1)
	v_add3_u32 v32, v6, v7, 0x7fff
                                        ; implicit-def: $vgpr6
; %bb.4284:                             ;   in Loop: Header=BB12_4178 Depth=2
	s_and_not1_saveexec_b32 s23, s23
; %bb.4285:                             ;   in Loop: Header=BB12_4178 Depth=2
	v_and_b32_e32 v7, 0xffff, v6
	v_or_b32_e32 v8, 0x10000, v6
	s_delay_alu instid0(VALU_DEP_2) | instskip(NEXT) | instid1(VALU_DEP_2)
	v_cmp_eq_u32_e32 vcc_lo, 0, v7
	v_cndmask_b32_e32 v32, v8, v6, vcc_lo
; %bb.4286:                             ;   in Loop: Header=BB12_4178 Depth=2
	s_or_b32 exec_lo, exec_lo, s23
	s_wait_loadcnt_dscnt 0x505
	v_lshlrev_b32_e32 v6, 16, v29
	s_mov_b32 s23, exec_lo
                                        ; implicit-def: $vgpr29
	s_delay_alu instid0(VALU_DEP_1) | instskip(NEXT) | instid1(VALU_DEP_1)
	v_mul_f32_e32 v6, v0, v6
	v_and_b32_e32 v7, 0x7f800000, v6
	s_delay_alu instid0(VALU_DEP_1)
	v_cmpx_ne_u32_e32 0x7f800000, v7
	s_xor_b32 s23, exec_lo, s23
; %bb.4287:                             ;   in Loop: Header=BB12_4178 Depth=2
	v_bfe_u32 v7, v6, 16, 1
	s_delay_alu instid0(VALU_DEP_1)
	v_add3_u32 v29, v6, v7, 0x7fff
                                        ; implicit-def: $vgpr6
; %bb.4288:                             ;   in Loop: Header=BB12_4178 Depth=2
	s_and_not1_saveexec_b32 s23, s23
; %bb.4289:                             ;   in Loop: Header=BB12_4178 Depth=2
	v_and_b32_e32 v7, 0xffff, v6
	v_or_b32_e32 v8, 0x10000, v6
	s_delay_alu instid0(VALU_DEP_2) | instskip(NEXT) | instid1(VALU_DEP_2)
	v_cmp_eq_u32_e32 vcc_lo, 0, v7
	v_cndmask_b32_e32 v29, v8, v6, vcc_lo
; %bb.4290:                             ;   in Loop: Header=BB12_4178 Depth=2
	s_or_b32 exec_lo, exec_lo, s23
	s_wait_loadcnt_dscnt 0x404
	v_lshlrev_b32_e32 v6, 16, v27
	s_mov_b32 s23, exec_lo
                                        ; implicit-def: $vgpr27
	s_delay_alu instid0(VALU_DEP_1) | instskip(NEXT) | instid1(VALU_DEP_1)
	v_mul_f32_e32 v6, v0, v6
	v_and_b32_e32 v7, 0x7f800000, v6
	s_delay_alu instid0(VALU_DEP_1)
	v_cmpx_ne_u32_e32 0x7f800000, v7
	s_xor_b32 s23, exec_lo, s23
; %bb.4291:                             ;   in Loop: Header=BB12_4178 Depth=2
	v_bfe_u32 v7, v6, 16, 1
	s_delay_alu instid0(VALU_DEP_1)
	v_add3_u32 v27, v6, v7, 0x7fff
                                        ; implicit-def: $vgpr6
; %bb.4292:                             ;   in Loop: Header=BB12_4178 Depth=2
	s_and_not1_saveexec_b32 s23, s23
; %bb.4293:                             ;   in Loop: Header=BB12_4178 Depth=2
	v_and_b32_e32 v7, 0xffff, v6
	v_or_b32_e32 v8, 0x10000, v6
	s_delay_alu instid0(VALU_DEP_2) | instskip(NEXT) | instid1(VALU_DEP_2)
	v_cmp_eq_u32_e32 vcc_lo, 0, v7
	v_cndmask_b32_e32 v27, v8, v6, vcc_lo
; %bb.4294:                             ;   in Loop: Header=BB12_4178 Depth=2
	s_or_b32 exec_lo, exec_lo, s23
	s_wait_loadcnt_dscnt 0x303
	v_lshlrev_b32_e32 v6, 16, v25
	s_mov_b32 s23, exec_lo
                                        ; implicit-def: $vgpr25
	s_delay_alu instid0(VALU_DEP_1) | instskip(NEXT) | instid1(VALU_DEP_1)
	v_mul_f32_e32 v6, v0, v6
	v_and_b32_e32 v7, 0x7f800000, v6
	s_delay_alu instid0(VALU_DEP_1)
	v_cmpx_ne_u32_e32 0x7f800000, v7
	s_xor_b32 s23, exec_lo, s23
; %bb.4295:                             ;   in Loop: Header=BB12_4178 Depth=2
	v_bfe_u32 v7, v6, 16, 1
	s_delay_alu instid0(VALU_DEP_1)
	v_add3_u32 v25, v6, v7, 0x7fff
                                        ; implicit-def: $vgpr6
; %bb.4296:                             ;   in Loop: Header=BB12_4178 Depth=2
	s_and_not1_saveexec_b32 s23, s23
; %bb.4297:                             ;   in Loop: Header=BB12_4178 Depth=2
	v_and_b32_e32 v7, 0xffff, v6
	v_or_b32_e32 v8, 0x10000, v6
	s_delay_alu instid0(VALU_DEP_2) | instskip(NEXT) | instid1(VALU_DEP_2)
	v_cmp_eq_u32_e32 vcc_lo, 0, v7
	v_cndmask_b32_e32 v25, v8, v6, vcc_lo
; %bb.4298:                             ;   in Loop: Header=BB12_4178 Depth=2
	s_or_b32 exec_lo, exec_lo, s23
	s_wait_loadcnt_dscnt 0x202
	v_lshlrev_b32_e32 v6, 16, v23
	s_delay_alu instid0(VALU_DEP_1) | instskip(NEXT) | instid1(VALU_DEP_1)
	v_mul_f32_e32 v7, v0, v6
	v_and_b32_e32 v6, 0x7f800000, v7
	s_delay_alu instid0(VALU_DEP_1) | instskip(SKIP_1) | instid1(SALU_CYCLE_1)
	v_cmp_ne_u32_e32 vcc_lo, 0x7f800000, v6
                                        ; implicit-def: $vgpr6
	s_and_saveexec_b32 s23, vcc_lo
	s_xor_b32 s23, exec_lo, s23
; %bb.4299:                             ;   in Loop: Header=BB12_4178 Depth=2
	v_bfe_u32 v6, v7, 16, 1
	s_delay_alu instid0(VALU_DEP_1)
	v_add3_u32 v6, v7, v6, 0x7fff
                                        ; implicit-def: $vgpr7
; %bb.4300:                             ;   in Loop: Header=BB12_4178 Depth=2
	s_and_not1_saveexec_b32 s23, s23
; %bb.4301:                             ;   in Loop: Header=BB12_4178 Depth=2
	v_and_b32_e32 v6, 0xffff, v7
	v_or_b32_e32 v8, 0x10000, v7
	s_delay_alu instid0(VALU_DEP_2) | instskip(NEXT) | instid1(VALU_DEP_2)
	v_cmp_eq_u32_e32 vcc_lo, 0, v6
	v_cndmask_b32_e32 v6, v8, v7, vcc_lo
; %bb.4302:                             ;   in Loop: Header=BB12_4178 Depth=2
	s_or_b32 exec_lo, exec_lo, s23
	s_wait_loadcnt_dscnt 0x101
	v_lshlrev_b32_e32 v7, 16, v21
	s_delay_alu instid0(VALU_DEP_1) | instskip(NEXT) | instid1(VALU_DEP_1)
	v_mul_f32_e32 v8, v0, v7
	v_and_b32_e32 v7, 0x7f800000, v8
	s_delay_alu instid0(VALU_DEP_1) | instskip(SKIP_1) | instid1(SALU_CYCLE_1)
	v_cmp_ne_u32_e32 vcc_lo, 0x7f800000, v7
                                        ; implicit-def: $vgpr7
	s_and_saveexec_b32 s23, vcc_lo
	s_xor_b32 s23, exec_lo, s23
; %bb.4303:                             ;   in Loop: Header=BB12_4178 Depth=2
	v_bfe_u32 v7, v8, 16, 1
	s_delay_alu instid0(VALU_DEP_1)
	v_add3_u32 v7, v8, v7, 0x7fff
                                        ; implicit-def: $vgpr8
; %bb.4304:                             ;   in Loop: Header=BB12_4178 Depth=2
	s_and_not1_saveexec_b32 s23, s23
; %bb.4305:                             ;   in Loop: Header=BB12_4178 Depth=2
	v_and_b32_e32 v7, 0xffff, v8
	v_or_b32_e32 v9, 0x10000, v8
	s_delay_alu instid0(VALU_DEP_2) | instskip(NEXT) | instid1(VALU_DEP_2)
	v_cmp_eq_u32_e32 vcc_lo, 0, v7
	v_cndmask_b32_e32 v7, v9, v8, vcc_lo
; %bb.4306:                             ;   in Loop: Header=BB12_4178 Depth=2
	s_or_b32 exec_lo, exec_lo, s23
	s_wait_loadcnt_dscnt 0x0
	v_lshlrev_b32_e32 v8, 16, v19
	s_delay_alu instid0(VALU_DEP_1) | instskip(NEXT) | instid1(VALU_DEP_1)
	v_mul_f32_e32 v9, v0, v8
	v_and_b32_e32 v8, 0x7f800000, v9
	s_delay_alu instid0(VALU_DEP_1) | instskip(SKIP_1) | instid1(SALU_CYCLE_1)
	v_cmp_ne_u32_e32 vcc_lo, 0x7f800000, v8
                                        ; implicit-def: $vgpr8
	s_and_saveexec_b32 s23, vcc_lo
	s_xor_b32 s23, exec_lo, s23
; %bb.4307:                             ;   in Loop: Header=BB12_4178 Depth=2
	v_bfe_u32 v8, v9, 16, 1
	s_delay_alu instid0(VALU_DEP_1)
	v_add3_u32 v8, v9, v8, 0x7fff
                                        ; implicit-def: $vgpr9
; %bb.4308:                             ;   in Loop: Header=BB12_4178 Depth=2
	s_and_not1_saveexec_b32 s23, s23
	s_cbranch_execz .LBB12_4177
; %bb.4309:                             ;   in Loop: Header=BB12_4178 Depth=2
	v_and_b32_e32 v8, 0xffff, v9
	v_or_b32_e32 v19, 0x10000, v9
	s_delay_alu instid0(VALU_DEP_2) | instskip(NEXT) | instid1(VALU_DEP_2)
	v_cmp_eq_u32_e32 vcc_lo, 0, v8
	v_cndmask_b32_e32 v8, v19, v9, vcc_lo
	s_branch .LBB12_4177
.LBB12_4310:                            ;   in Loop: Header=BB12_3209 Depth=1
	s_or_b32 exec_lo, exec_lo, s21
	v_dual_lshlrev_b32 v5, 16, v52 :: v_dual_lshlrev_b32 v6, 16, v50
	v_dual_lshlrev_b32 v37, 16, v48 :: v_dual_lshlrev_b32 v35, 16, v38
	;; [unrolled: 1-line block ×8, first 2 shown]
	s_and_b32 s20, s20, exec_lo
.LBB12_4311:                            ;   in Loop: Header=BB12_3209 Depth=1
	s_or_b32 exec_lo, exec_lo, s19
	s_and_saveexec_b32 s19, s20
	s_cbranch_execz .LBB12_4377
; %bb.4312:                             ;   in Loop: Header=BB12_3209 Depth=1
	s_trap 2
	ds_load_b32 v7, v0
	s_wait_dscnt 0x0
	v_lshlrev_b32_e32 v10, 16, v7
	s_delay_alu instid0(VALU_DEP_1) | instskip(NEXT) | instid1(VALU_DEP_1)
	v_mul_f32_e32 v7, v5, v10
	v_and_b32_e32 v5, 0x7f800000, v7
	s_delay_alu instid0(VALU_DEP_1) | instskip(SKIP_1) | instid1(SALU_CYCLE_1)
	v_cmp_ne_u32_e32 vcc_lo, 0x7f800000, v5
                                        ; implicit-def: $vgpr5
	s_and_saveexec_b32 s20, vcc_lo
	s_xor_b32 s20, exec_lo, s20
; %bb.4313:                             ;   in Loop: Header=BB12_3209 Depth=1
	v_bfe_u32 v5, v7, 16, 1
	s_delay_alu instid0(VALU_DEP_1)
	v_add3_u32 v5, v7, v5, 0x7fff
                                        ; implicit-def: $vgpr7
; %bb.4314:                             ;   in Loop: Header=BB12_3209 Depth=1
	s_and_not1_saveexec_b32 s20, s20
; %bb.4315:                             ;   in Loop: Header=BB12_3209 Depth=1
	v_and_b32_e32 v5, 0xffff, v7
	v_or_b32_e32 v8, 0x10000, v7
	s_delay_alu instid0(VALU_DEP_2) | instskip(NEXT) | instid1(VALU_DEP_2)
	v_cmp_eq_u32_e32 vcc_lo, 0, v5
	v_cndmask_b32_e32 v5, v8, v7, vcc_lo
; %bb.4316:                             ;   in Loop: Header=BB12_3209 Depth=1
	s_or_b32 exec_lo, exec_lo, s20
	v_mul_f32_e32 v6, v6, v10
	s_mov_b32 s20, exec_lo
                                        ; implicit-def: $vgpr11
	s_delay_alu instid0(VALU_DEP_1) | instskip(NEXT) | instid1(VALU_DEP_1)
	v_and_b32_e32 v7, 0x7f800000, v6
	v_cmpx_ne_u32_e32 0x7f800000, v7
	s_xor_b32 s20, exec_lo, s20
; %bb.4317:                             ;   in Loop: Header=BB12_3209 Depth=1
	v_bfe_u32 v7, v6, 16, 1
	s_delay_alu instid0(VALU_DEP_1)
	v_add3_u32 v11, v6, v7, 0x7fff
                                        ; implicit-def: $vgpr6
; %bb.4318:                             ;   in Loop: Header=BB12_3209 Depth=1
	s_and_not1_saveexec_b32 s20, s20
; %bb.4319:                             ;   in Loop: Header=BB12_3209 Depth=1
	v_and_b32_e32 v7, 0xffff, v6
	v_or_b32_e32 v8, 0x10000, v6
	s_delay_alu instid0(VALU_DEP_2) | instskip(NEXT) | instid1(VALU_DEP_2)
	v_cmp_eq_u32_e32 vcc_lo, 0, v7
	v_cndmask_b32_e32 v11, v8, v6, vcc_lo
; %bb.4320:                             ;   in Loop: Header=BB12_3209 Depth=1
	s_or_b32 exec_lo, exec_lo, s20
	v_mul_f32_e32 v6, v37, v10
	s_mov_b32 s20, exec_lo
                                        ; implicit-def: $vgpr15
	s_delay_alu instid0(VALU_DEP_1) | instskip(NEXT) | instid1(VALU_DEP_1)
	v_and_b32_e32 v7, 0x7f800000, v6
	v_cmpx_ne_u32_e32 0x7f800000, v7
	s_xor_b32 s20, exec_lo, s20
; %bb.4321:                             ;   in Loop: Header=BB12_3209 Depth=1
	v_bfe_u32 v7, v6, 16, 1
	s_delay_alu instid0(VALU_DEP_1)
	v_add3_u32 v15, v6, v7, 0x7fff
                                        ; implicit-def: $vgpr6
; %bb.4322:                             ;   in Loop: Header=BB12_3209 Depth=1
	s_and_not1_saveexec_b32 s20, s20
; %bb.4323:                             ;   in Loop: Header=BB12_3209 Depth=1
	v_and_b32_e32 v7, 0xffff, v6
	v_or_b32_e32 v8, 0x10000, v6
	s_delay_alu instid0(VALU_DEP_2) | instskip(NEXT) | instid1(VALU_DEP_2)
	v_cmp_eq_u32_e32 vcc_lo, 0, v7
	v_cndmask_b32_e32 v15, v8, v6, vcc_lo
; %bb.4324:                             ;   in Loop: Header=BB12_3209 Depth=1
	s_or_b32 exec_lo, exec_lo, s20
	v_mul_f32_e32 v6, v35, v10
	s_mov_b32 s20, exec_lo
                                        ; implicit-def: $vgpr16
	s_delay_alu instid0(VALU_DEP_1) | instskip(NEXT) | instid1(VALU_DEP_1)
	v_and_b32_e32 v7, 0x7f800000, v6
	v_cmpx_ne_u32_e32 0x7f800000, v7
	s_xor_b32 s20, exec_lo, s20
; %bb.4325:                             ;   in Loop: Header=BB12_3209 Depth=1
	v_bfe_u32 v7, v6, 16, 1
	s_delay_alu instid0(VALU_DEP_1)
	v_add3_u32 v16, v6, v7, 0x7fff
                                        ; implicit-def: $vgpr6
; %bb.4326:                             ;   in Loop: Header=BB12_3209 Depth=1
	s_and_not1_saveexec_b32 s20, s20
; %bb.4327:                             ;   in Loop: Header=BB12_3209 Depth=1
	v_and_b32_e32 v7, 0xffff, v6
	v_or_b32_e32 v8, 0x10000, v6
	s_delay_alu instid0(VALU_DEP_2) | instskip(NEXT) | instid1(VALU_DEP_2)
	v_cmp_eq_u32_e32 vcc_lo, 0, v7
	v_cndmask_b32_e32 v16, v8, v6, vcc_lo
; %bb.4328:                             ;   in Loop: Header=BB12_3209 Depth=1
	s_or_b32 exec_lo, exec_lo, s20
	v_mul_f32_e32 v6, v33, v10
	s_mov_b32 s20, exec_lo
                                        ; implicit-def: $vgpr20
	s_delay_alu instid0(VALU_DEP_1) | instskip(NEXT) | instid1(VALU_DEP_1)
	v_and_b32_e32 v7, 0x7f800000, v6
	v_cmpx_ne_u32_e32 0x7f800000, v7
	s_xor_b32 s20, exec_lo, s20
; %bb.4329:                             ;   in Loop: Header=BB12_3209 Depth=1
	v_bfe_u32 v7, v6, 16, 1
	s_delay_alu instid0(VALU_DEP_1)
	v_add3_u32 v20, v6, v7, 0x7fff
                                        ; implicit-def: $vgpr6
; %bb.4330:                             ;   in Loop: Header=BB12_3209 Depth=1
	s_and_not1_saveexec_b32 s20, s20
; %bb.4331:                             ;   in Loop: Header=BB12_3209 Depth=1
	v_and_b32_e32 v7, 0xffff, v6
	v_or_b32_e32 v8, 0x10000, v6
	s_delay_alu instid0(VALU_DEP_2) | instskip(NEXT) | instid1(VALU_DEP_2)
	v_cmp_eq_u32_e32 vcc_lo, 0, v7
	v_cndmask_b32_e32 v20, v8, v6, vcc_lo
; %bb.4332:                             ;   in Loop: Header=BB12_3209 Depth=1
	s_or_b32 exec_lo, exec_lo, s20
	v_mul_f32_e32 v6, v32, v10
	s_mov_b32 s20, exec_lo
                                        ; implicit-def: $vgpr22
	s_delay_alu instid0(VALU_DEP_1) | instskip(NEXT) | instid1(VALU_DEP_1)
	v_and_b32_e32 v7, 0x7f800000, v6
	v_cmpx_ne_u32_e32 0x7f800000, v7
	s_xor_b32 s20, exec_lo, s20
; %bb.4333:                             ;   in Loop: Header=BB12_3209 Depth=1
	v_bfe_u32 v7, v6, 16, 1
	s_delay_alu instid0(VALU_DEP_1)
	v_add3_u32 v22, v6, v7, 0x7fff
                                        ; implicit-def: $vgpr6
; %bb.4334:                             ;   in Loop: Header=BB12_3209 Depth=1
	s_and_not1_saveexec_b32 s20, s20
; %bb.4335:                             ;   in Loop: Header=BB12_3209 Depth=1
	v_and_b32_e32 v7, 0xffff, v6
	v_or_b32_e32 v8, 0x10000, v6
	s_delay_alu instid0(VALU_DEP_2) | instskip(NEXT) | instid1(VALU_DEP_2)
	v_cmp_eq_u32_e32 vcc_lo, 0, v7
	v_cndmask_b32_e32 v22, v8, v6, vcc_lo
; %bb.4336:                             ;   in Loop: Header=BB12_3209 Depth=1
	s_or_b32 exec_lo, exec_lo, s20
	v_mul_f32_e32 v6, v29, v10
	s_mov_b32 s20, exec_lo
                                        ; implicit-def: $vgpr24
	s_delay_alu instid0(VALU_DEP_1) | instskip(NEXT) | instid1(VALU_DEP_1)
	v_and_b32_e32 v7, 0x7f800000, v6
	v_cmpx_ne_u32_e32 0x7f800000, v7
	s_xor_b32 s20, exec_lo, s20
; %bb.4337:                             ;   in Loop: Header=BB12_3209 Depth=1
	v_bfe_u32 v7, v6, 16, 1
	s_delay_alu instid0(VALU_DEP_1)
	v_add3_u32 v24, v6, v7, 0x7fff
                                        ; implicit-def: $vgpr6
; %bb.4338:                             ;   in Loop: Header=BB12_3209 Depth=1
	s_and_not1_saveexec_b32 s20, s20
; %bb.4339:                             ;   in Loop: Header=BB12_3209 Depth=1
	v_and_b32_e32 v7, 0xffff, v6
	v_or_b32_e32 v8, 0x10000, v6
	s_delay_alu instid0(VALU_DEP_2) | instskip(NEXT) | instid1(VALU_DEP_2)
	v_cmp_eq_u32_e32 vcc_lo, 0, v7
	v_cndmask_b32_e32 v24, v8, v6, vcc_lo
; %bb.4340:                             ;   in Loop: Header=BB12_3209 Depth=1
	s_or_b32 exec_lo, exec_lo, s20
	v_mul_f32_e32 v6, v27, v10
	s_mov_b32 s20, exec_lo
                                        ; implicit-def: $vgpr26
	s_delay_alu instid0(VALU_DEP_1) | instskip(NEXT) | instid1(VALU_DEP_1)
	v_and_b32_e32 v7, 0x7f800000, v6
	v_cmpx_ne_u32_e32 0x7f800000, v7
	s_xor_b32 s20, exec_lo, s20
; %bb.4341:                             ;   in Loop: Header=BB12_3209 Depth=1
	v_bfe_u32 v7, v6, 16, 1
	s_delay_alu instid0(VALU_DEP_1)
	v_add3_u32 v26, v6, v7, 0x7fff
                                        ; implicit-def: $vgpr6
; %bb.4342:                             ;   in Loop: Header=BB12_3209 Depth=1
	s_and_not1_saveexec_b32 s20, s20
; %bb.4343:                             ;   in Loop: Header=BB12_3209 Depth=1
	v_and_b32_e32 v7, 0xffff, v6
	v_or_b32_e32 v8, 0x10000, v6
	s_delay_alu instid0(VALU_DEP_2) | instskip(NEXT) | instid1(VALU_DEP_2)
	v_cmp_eq_u32_e32 vcc_lo, 0, v7
	v_cndmask_b32_e32 v26, v8, v6, vcc_lo
; %bb.4344:                             ;   in Loop: Header=BB12_3209 Depth=1
	s_or_b32 exec_lo, exec_lo, s20
	v_mul_f32_e32 v6, v25, v10
	s_mov_b32 s20, exec_lo
                                        ; implicit-def: $vgpr25
	s_delay_alu instid0(VALU_DEP_1) | instskip(NEXT) | instid1(VALU_DEP_1)
	v_and_b32_e32 v7, 0x7f800000, v6
	v_cmpx_ne_u32_e32 0x7f800000, v7
	s_xor_b32 s20, exec_lo, s20
; %bb.4345:                             ;   in Loop: Header=BB12_3209 Depth=1
	v_bfe_u32 v7, v6, 16, 1
	s_delay_alu instid0(VALU_DEP_1)
	v_add3_u32 v25, v6, v7, 0x7fff
                                        ; implicit-def: $vgpr6
; %bb.4346:                             ;   in Loop: Header=BB12_3209 Depth=1
	s_and_not1_saveexec_b32 s20, s20
; %bb.4347:                             ;   in Loop: Header=BB12_3209 Depth=1
	v_and_b32_e32 v7, 0xffff, v6
	v_or_b32_e32 v8, 0x10000, v6
	s_delay_alu instid0(VALU_DEP_2) | instskip(NEXT) | instid1(VALU_DEP_2)
	v_cmp_eq_u32_e32 vcc_lo, 0, v7
	v_cndmask_b32_e32 v25, v8, v6, vcc_lo
; %bb.4348:                             ;   in Loop: Header=BB12_3209 Depth=1
	s_or_b32 exec_lo, exec_lo, s20
	v_mul_f32_e32 v6, v23, v10
	s_mov_b32 s20, exec_lo
                                        ; implicit-def: $vgpr23
	s_delay_alu instid0(VALU_DEP_1) | instskip(NEXT) | instid1(VALU_DEP_1)
	v_and_b32_e32 v7, 0x7f800000, v6
	v_cmpx_ne_u32_e32 0x7f800000, v7
	s_xor_b32 s20, exec_lo, s20
; %bb.4349:                             ;   in Loop: Header=BB12_3209 Depth=1
	v_bfe_u32 v7, v6, 16, 1
	s_delay_alu instid0(VALU_DEP_1)
	v_add3_u32 v23, v6, v7, 0x7fff
                                        ; implicit-def: $vgpr6
; %bb.4350:                             ;   in Loop: Header=BB12_3209 Depth=1
	s_and_not1_saveexec_b32 s20, s20
; %bb.4351:                             ;   in Loop: Header=BB12_3209 Depth=1
	v_and_b32_e32 v7, 0xffff, v6
	v_or_b32_e32 v8, 0x10000, v6
	s_delay_alu instid0(VALU_DEP_2) | instskip(NEXT) | instid1(VALU_DEP_2)
	v_cmp_eq_u32_e32 vcc_lo, 0, v7
	v_cndmask_b32_e32 v23, v8, v6, vcc_lo
; %bb.4352:                             ;   in Loop: Header=BB12_3209 Depth=1
	s_or_b32 exec_lo, exec_lo, s20
	v_mul_f32_e32 v6, v21, v10
	s_mov_b32 s20, exec_lo
                                        ; implicit-def: $vgpr21
	s_delay_alu instid0(VALU_DEP_1) | instskip(NEXT) | instid1(VALU_DEP_1)
	v_and_b32_e32 v7, 0x7f800000, v6
	v_cmpx_ne_u32_e32 0x7f800000, v7
	s_xor_b32 s20, exec_lo, s20
; %bb.4353:                             ;   in Loop: Header=BB12_3209 Depth=1
	v_bfe_u32 v7, v6, 16, 1
	s_delay_alu instid0(VALU_DEP_1)
	v_add3_u32 v21, v6, v7, 0x7fff
                                        ; implicit-def: $vgpr6
; %bb.4354:                             ;   in Loop: Header=BB12_3209 Depth=1
	s_and_not1_saveexec_b32 s20, s20
; %bb.4355:                             ;   in Loop: Header=BB12_3209 Depth=1
	v_and_b32_e32 v7, 0xffff, v6
	v_or_b32_e32 v8, 0x10000, v6
	s_delay_alu instid0(VALU_DEP_2) | instskip(NEXT) | instid1(VALU_DEP_2)
	v_cmp_eq_u32_e32 vcc_lo, 0, v7
	v_cndmask_b32_e32 v21, v8, v6, vcc_lo
; %bb.4356:                             ;   in Loop: Header=BB12_3209 Depth=1
	s_or_b32 exec_lo, exec_lo, s20
	v_mul_f32_e32 v6, v19, v10
	s_mov_b32 s20, exec_lo
                                        ; implicit-def: $vgpr19
	s_delay_alu instid0(VALU_DEP_1) | instskip(NEXT) | instid1(VALU_DEP_1)
	v_and_b32_e32 v7, 0x7f800000, v6
	v_cmpx_ne_u32_e32 0x7f800000, v7
	s_xor_b32 s20, exec_lo, s20
; %bb.4357:                             ;   in Loop: Header=BB12_3209 Depth=1
	v_bfe_u32 v7, v6, 16, 1
	s_delay_alu instid0(VALU_DEP_1)
	v_add3_u32 v19, v6, v7, 0x7fff
                                        ; implicit-def: $vgpr6
; %bb.4358:                             ;   in Loop: Header=BB12_3209 Depth=1
	s_and_not1_saveexec_b32 s20, s20
; %bb.4359:                             ;   in Loop: Header=BB12_3209 Depth=1
	v_and_b32_e32 v7, 0xffff, v6
	v_or_b32_e32 v8, 0x10000, v6
	s_delay_alu instid0(VALU_DEP_2) | instskip(NEXT) | instid1(VALU_DEP_2)
	v_cmp_eq_u32_e32 vcc_lo, 0, v7
	v_cndmask_b32_e32 v19, v8, v6, vcc_lo
; %bb.4360:                             ;   in Loop: Header=BB12_3209 Depth=1
	s_or_b32 exec_lo, exec_lo, s20
	v_mul_f32_e32 v7, v18, v10
	s_delay_alu instid0(VALU_DEP_1) | instskip(NEXT) | instid1(VALU_DEP_1)
	v_and_b32_e32 v6, 0x7f800000, v7
	v_cmp_ne_u32_e32 vcc_lo, 0x7f800000, v6
                                        ; implicit-def: $vgpr6
	s_and_saveexec_b32 s20, vcc_lo
	s_delay_alu instid0(SALU_CYCLE_1)
	s_xor_b32 s20, exec_lo, s20
; %bb.4361:                             ;   in Loop: Header=BB12_3209 Depth=1
	v_bfe_u32 v6, v7, 16, 1
	s_delay_alu instid0(VALU_DEP_1)
	v_add3_u32 v6, v7, v6, 0x7fff
                                        ; implicit-def: $vgpr7
; %bb.4362:                             ;   in Loop: Header=BB12_3209 Depth=1
	s_and_not1_saveexec_b32 s20, s20
; %bb.4363:                             ;   in Loop: Header=BB12_3209 Depth=1
	v_and_b32_e32 v6, 0xffff, v7
	v_or_b32_e32 v8, 0x10000, v7
	s_delay_alu instid0(VALU_DEP_2) | instskip(NEXT) | instid1(VALU_DEP_2)
	v_cmp_eq_u32_e32 vcc_lo, 0, v6
	v_cndmask_b32_e32 v6, v8, v7, vcc_lo
; %bb.4364:                             ;   in Loop: Header=BB12_3209 Depth=1
	s_or_b32 exec_lo, exec_lo, s20
	v_mul_f32_e32 v8, v17, v10
	s_delay_alu instid0(VALU_DEP_1) | instskip(NEXT) | instid1(VALU_DEP_1)
	v_and_b32_e32 v7, 0x7f800000, v8
	v_cmp_ne_u32_e32 vcc_lo, 0x7f800000, v7
                                        ; implicit-def: $vgpr7
	s_and_saveexec_b32 s20, vcc_lo
	s_delay_alu instid0(SALU_CYCLE_1)
	s_xor_b32 s20, exec_lo, s20
; %bb.4365:                             ;   in Loop: Header=BB12_3209 Depth=1
	v_bfe_u32 v7, v8, 16, 1
	s_delay_alu instid0(VALU_DEP_1)
	v_add3_u32 v7, v8, v7, 0x7fff
                                        ; implicit-def: $vgpr8
; %bb.4366:                             ;   in Loop: Header=BB12_3209 Depth=1
	s_and_not1_saveexec_b32 s20, s20
; %bb.4367:                             ;   in Loop: Header=BB12_3209 Depth=1
	v_and_b32_e32 v7, 0xffff, v8
	v_or_b32_e32 v9, 0x10000, v8
	s_delay_alu instid0(VALU_DEP_2) | instskip(NEXT) | instid1(VALU_DEP_2)
	v_cmp_eq_u32_e32 vcc_lo, 0, v7
	v_cndmask_b32_e32 v7, v9, v8, vcc_lo
; %bb.4368:                             ;   in Loop: Header=BB12_3209 Depth=1
	s_or_b32 exec_lo, exec_lo, s20
	v_mul_f32_e32 v8, v4, v10
	s_delay_alu instid0(VALU_DEP_1) | instskip(NEXT) | instid1(VALU_DEP_1)
	v_and_b32_e32 v4, 0x7f800000, v8
	v_cmp_ne_u32_e32 vcc_lo, 0x7f800000, v4
                                        ; implicit-def: $vgpr4
	s_and_saveexec_b32 s20, vcc_lo
	s_delay_alu instid0(SALU_CYCLE_1)
	s_xor_b32 s20, exec_lo, s20
; %bb.4369:                             ;   in Loop: Header=BB12_3209 Depth=1
	v_bfe_u32 v4, v8, 16, 1
	s_delay_alu instid0(VALU_DEP_1)
	v_add3_u32 v4, v8, v4, 0x7fff
                                        ; implicit-def: $vgpr8
; %bb.4370:                             ;   in Loop: Header=BB12_3209 Depth=1
	s_and_not1_saveexec_b32 s20, s20
; %bb.4371:                             ;   in Loop: Header=BB12_3209 Depth=1
	v_and_b32_e32 v4, 0xffff, v8
	v_or_b32_e32 v9, 0x10000, v8
	s_delay_alu instid0(VALU_DEP_2) | instskip(NEXT) | instid1(VALU_DEP_2)
	v_cmp_eq_u32_e32 vcc_lo, 0, v4
	v_cndmask_b32_e32 v4, v9, v8, vcc_lo
; %bb.4372:                             ;   in Loop: Header=BB12_3209 Depth=1
	s_or_b32 exec_lo, exec_lo, s20
	v_mul_f32_e32 v8, v0, v10
	s_delay_alu instid0(VALU_DEP_1) | instskip(NEXT) | instid1(VALU_DEP_1)
	v_and_b32_e32 v0, 0x7f800000, v8
	v_cmp_ne_u32_e32 vcc_lo, 0x7f800000, v0
                                        ; implicit-def: $vgpr0
	s_and_saveexec_b32 s20, vcc_lo
	s_delay_alu instid0(SALU_CYCLE_1)
	s_xor_b32 s20, exec_lo, s20
; %bb.4373:                             ;   in Loop: Header=BB12_3209 Depth=1
	v_bfe_u32 v0, v8, 16, 1
	s_delay_alu instid0(VALU_DEP_1)
	v_add3_u32 v0, v8, v0, 0x7fff
                                        ; implicit-def: $vgpr8
; %bb.4374:                             ;   in Loop: Header=BB12_3209 Depth=1
	s_and_not1_saveexec_b32 s20, s20
; %bb.4375:                             ;   in Loop: Header=BB12_3209 Depth=1
	v_and_b32_e32 v0, 0xffff, v8
	v_or_b32_e32 v9, 0x10000, v8
	s_delay_alu instid0(VALU_DEP_2) | instskip(NEXT) | instid1(VALU_DEP_2)
	v_cmp_eq_u32_e32 vcc_lo, 0, v0
	v_cndmask_b32_e32 v0, v9, v8, vcc_lo
; %bb.4376:                             ;   in Loop: Header=BB12_3209 Depth=1
	s_or_b32 exec_lo, exec_lo, s20
	s_clause 0xf
	flat_store_d16_hi_b16 v[2:3], v5 th:TH_STORE_NT
	flat_store_d16_hi_b16 v[2:3], v11 offset:64 th:TH_STORE_NT
	flat_store_d16_hi_b16 v[2:3], v15 offset:128 th:TH_STORE_NT
	;; [unrolled: 1-line block ×15, first 2 shown]
.LBB12_4377:                            ;   in Loop: Header=BB12_3209 Depth=1
	s_wait_xcnt 0x0
	s_or_b32 exec_lo, exec_lo, s19
	v_lshlrev_b32_e32 v0, 10, v14
	s_delay_alu instid0(VALU_DEP_1)
	v_cmp_ne_u32_e32 vcc_lo, v42, v0
	s_and_b32 exec_lo, exec_lo, vcc_lo
	s_cbranch_execz .LBB12_4399
; %bb.4378:                             ;   in Loop: Header=BB12_3209 Depth=1
	v_lshlrev_b32_e32 v1, 5, v1
	s_delay_alu instid0(VALU_DEP_1) | instskip(NEXT) | instid1(VALU_DEP_1)
	v_sub_nc_u32_e32 v1, v13, v1
	v_ashrrev_i32_e32 v2, 31, v1
	s_delay_alu instid0(VALU_DEP_1) | instskip(NEXT) | instid1(VALU_DEP_1)
	v_lshrrev_b32_e32 v2, 27, v2
	v_add_nc_u32_e32 v2, v1, v2
	s_delay_alu instid0(VALU_DEP_1) | instskip(NEXT) | instid1(VALU_DEP_1)
	v_and_b32_e32 v3, 0x7fffffe0, v2
	v_dual_lshlrev_b32 v2, 1, v2 :: v_dual_sub_nc_u32 v1, v1, v3
	s_delay_alu instid0(VALU_DEP_1) | instskip(NEXT) | instid1(VALU_DEP_2)
	v_and_b32_e32 v2, 0xffffffc0, v2
	v_lshlrev_b32_e32 v1, 1, v1
	s_delay_alu instid0(VALU_DEP_1) | instskip(NEXT) | instid1(VALU_DEP_1)
	v_add3_u32 v0, v2, v1, v0
	v_sub_nc_u32_e32 v4, v42, v0
	s_delay_alu instid0(VALU_DEP_1)
	v_cmp_lt_i32_e32 vcc_lo, 1, v4
	s_and_b32 exec_lo, exec_lo, vcc_lo
	s_cbranch_execz .LBB12_4399
; %bb.4379:                             ;   in Loop: Header=BB12_3209 Depth=1
	s_trap 2
	ds_load_b64 v[6:7], v0
	ds_load_b32 v5, v0
	v_add_nc_u32_e32 v0, v0, v12
	s_mov_b32 s21, 0
	s_mov_b32 s19, 0
                                        ; implicit-def: $sgpr20
	s_delay_alu instid0(VALU_DEP_1) | instskip(NEXT) | instid1(VALU_DEP_1)
	v_ashrrev_i32_e32 v1, 31, v0
	v_add_nc_u64_e32 v[2:3], v[82:83], v[0:1]
	s_wait_dscnt 0x1
	v_add_nc_u64_e32 v[10:11], v[6:7], v[0:1]
	s_wait_dscnt 0x0
	v_lshlrev_b32_e32 v0, 16, v5
                                        ; implicit-def: $vgpr1
	s_branch .LBB12_4381
.LBB12_4380:                            ;   in Loop: Header=BB12_4381 Depth=2
	s_or_b32 exec_lo, exec_lo, s22
	v_dual_cndmask_b32 v6, 0, v103, s21 :: v_dual_cndmask_b32 v7, 0, v69, s21
	v_dual_cndmask_b32 v9, 0, v81, s21 :: v_dual_cndmask_b32 v8, 64, v80, s21
	flat_store_d16_hi_b16 v[2:3], v5 th:TH_STORE_NT
	v_dual_sub_nc_u32 v4, v4, v6 :: v_dual_cndmask_b32 v6, 0, v68, s21
	s_wait_xcnt 0x0
	v_add_nc_u64_e32 v[2:3], v[2:3], v[8:9]
	s_delay_alu instid0(VALU_DEP_2) | instskip(NEXT) | instid1(VALU_DEP_3)
	v_cmp_gt_i32_e32 vcc_lo, 2, v4
	v_add_nc_u64_e32 v[10:11], v[10:11], v[6:7]
	s_or_b32 s19, vcc_lo, s19
	s_and_not1_b32 s20, s20, exec_lo
	s_and_b32 s22, s21, exec_lo
	s_delay_alu instid0(SALU_CYCLE_1)
	s_or_b32 s20, s20, s22
	s_and_not1_b32 exec_lo, exec_lo, s19
	s_cbranch_execz .LBB12_4393
.LBB12_4381:                            ;   Parent Loop BB12_3209 Depth=1
                                        ; =>  This Inner Loop Header: Depth=2
	flat_load_u16 v5, v[10:11] th:TH_LOAD_NT
	s_wait_xcnt 0x0
	s_and_saveexec_b32 s22, s21
	s_cbranch_execz .LBB12_4387
; %bb.4382:                             ;   in Loop: Header=BB12_4381 Depth=2
	v_lshlrev_b32_e32 v1, 16, v1
	s_delay_alu instid0(VALU_DEP_1) | instskip(NEXT) | instid1(VALU_DEP_1)
	v_mul_f32_e32 v1, v0, v1
	v_and_b32_e32 v6, 0x7f800000, v1
	s_delay_alu instid0(VALU_DEP_1) | instskip(SKIP_1) | instid1(SALU_CYCLE_1)
	v_cmp_ne_u32_e32 vcc_lo, 0x7f800000, v6
                                        ; implicit-def: $vgpr6
	s_and_saveexec_b32 s21, vcc_lo
	s_xor_b32 s21, exec_lo, s21
; %bb.4383:                             ;   in Loop: Header=BB12_4381 Depth=2
	v_bfe_u32 v6, v1, 16, 1
	s_delay_alu instid0(VALU_DEP_1)
	v_add3_u32 v6, v1, v6, 0x7fff
                                        ; implicit-def: $vgpr1
; %bb.4384:                             ;   in Loop: Header=BB12_4381 Depth=2
	s_and_not1_saveexec_b32 s21, s21
; %bb.4385:                             ;   in Loop: Header=BB12_4381 Depth=2
	v_and_b32_e32 v6, 0xffff, v1
	v_or_b32_e32 v7, 0x10000, v1
	s_delay_alu instid0(VALU_DEP_2) | instskip(NEXT) | instid1(VALU_DEP_2)
	v_cmp_eq_u32_e32 vcc_lo, 0, v6
	v_cndmask_b32_e32 v6, v7, v1, vcc_lo
; %bb.4386:                             ;   in Loop: Header=BB12_4381 Depth=2
	s_or_b32 exec_lo, exec_lo, s21
	s_delay_alu instid0(VALU_DEP_1)
	v_lshrrev_b32_e32 v1, 16, v6
	flat_store_b16 v[2:3], v1 th:TH_STORE_NT
	s_wait_xcnt 0x0
	v_add_nc_u64_e32 v[2:3], v[2:3], v[80:81]
.LBB12_4387:                            ;   in Loop: Header=BB12_4381 Depth=2
	s_or_b32 exec_lo, exec_lo, s22
	v_sub_nc_u32_e32 v4, v4, v103
	v_add_nc_u64_e32 v[10:11], v[10:11], v[80:81]
	s_delay_alu instid0(VALU_DEP_2)
	v_cmp_lt_i32_e64 s21, 1, v4
	s_and_saveexec_b32 s22, s21
	s_cbranch_execz .LBB12_4389
; %bb.4388:                             ;   in Loop: Header=BB12_4381 Depth=2
	flat_load_u16 v1, v[10:11] th:TH_LOAD_NT
	s_wait_xcnt 0x0
	v_add_nc_u64_e32 v[10:11], 64, v[10:11]
.LBB12_4389:                            ;   in Loop: Header=BB12_4381 Depth=2
	s_or_b32 exec_lo, exec_lo, s22
	s_wait_loadcnt_dscnt 0x0
	v_lshlrev_b32_e32 v5, 16, v5
	s_delay_alu instid0(VALU_DEP_1) | instskip(NEXT) | instid1(VALU_DEP_1)
	v_mul_f32_e32 v6, v0, v5
	v_and_b32_e32 v5, 0x7f800000, v6
	s_delay_alu instid0(VALU_DEP_1) | instskip(SKIP_1) | instid1(SALU_CYCLE_1)
	v_cmp_ne_u32_e32 vcc_lo, 0x7f800000, v5
                                        ; implicit-def: $vgpr5
	s_and_saveexec_b32 s22, vcc_lo
	s_xor_b32 s22, exec_lo, s22
; %bb.4390:                             ;   in Loop: Header=BB12_4381 Depth=2
	v_bfe_u32 v5, v6, 16, 1
	s_delay_alu instid0(VALU_DEP_1)
	v_add3_u32 v5, v6, v5, 0x7fff
                                        ; implicit-def: $vgpr6
; %bb.4391:                             ;   in Loop: Header=BB12_4381 Depth=2
	s_and_not1_saveexec_b32 s22, s22
	s_cbranch_execz .LBB12_4380
; %bb.4392:                             ;   in Loop: Header=BB12_4381 Depth=2
	v_and_b32_e32 v5, 0xffff, v6
	v_or_b32_e32 v7, 0x10000, v6
	s_delay_alu instid0(VALU_DEP_2) | instskip(NEXT) | instid1(VALU_DEP_2)
	v_cmp_eq_u32_e32 vcc_lo, 0, v5
	v_cndmask_b32_e32 v5, v7, v6, vcc_lo
	s_branch .LBB12_4380
.LBB12_4393:                            ;   in Loop: Header=BB12_3209 Depth=1
	s_or_b32 exec_lo, exec_lo, s19
	s_delay_alu instid0(SALU_CYCLE_1)
	s_and_b32 exec_lo, exec_lo, s20
	s_cbranch_execz .LBB12_4399
; %bb.4394:                             ;   in Loop: Header=BB12_3209 Depth=1
	v_lshlrev_b32_e32 v1, 16, v1
	s_delay_alu instid0(VALU_DEP_1) | instskip(NEXT) | instid1(VALU_DEP_1)
	v_mul_f32_e32 v0, v0, v1
	v_and_b32_e32 v1, 0x7f800000, v0
	s_delay_alu instid0(VALU_DEP_1) | instskip(SKIP_1) | instid1(SALU_CYCLE_1)
	v_cmp_ne_u32_e32 vcc_lo, 0x7f800000, v1
                                        ; implicit-def: $vgpr1
	s_and_saveexec_b32 s19, vcc_lo
	s_xor_b32 s19, exec_lo, s19
; %bb.4395:                             ;   in Loop: Header=BB12_3209 Depth=1
	v_bfe_u32 v1, v0, 16, 1
	s_delay_alu instid0(VALU_DEP_1)
	v_add3_u32 v1, v0, v1, 0x7fff
                                        ; implicit-def: $vgpr0
; %bb.4396:                             ;   in Loop: Header=BB12_3209 Depth=1
	s_and_not1_saveexec_b32 s19, s19
; %bb.4397:                             ;   in Loop: Header=BB12_3209 Depth=1
	v_and_b32_e32 v1, 0xffff, v0
	v_or_b32_e32 v4, 0x10000, v0
	s_delay_alu instid0(VALU_DEP_2) | instskip(NEXT) | instid1(VALU_DEP_2)
	v_cmp_eq_u32_e32 vcc_lo, 0, v1
	v_cndmask_b32_e32 v1, v4, v0, vcc_lo
; %bb.4398:                             ;   in Loop: Header=BB12_3209 Depth=1
	s_or_b32 exec_lo, exec_lo, s19
	flat_store_d16_hi_b16 v[2:3], v1 th:TH_STORE_NT
.LBB12_4399:                            ;   in Loop: Header=BB12_3209 Depth=1
	s_wait_xcnt 0x0
	s_or_b32 exec_lo, exec_lo, s10
	v_cmp_ne_u32_e64 s10, 0, v118
	s_and_saveexec_b32 s19, s2
	s_cbranch_execz .LBB12_4418
.LBB12_4400:                            ;   in Loop: Header=BB12_3209 Depth=1
	s_and_saveexec_b32 s20, s3
	s_delay_alu instid0(SALU_CYCLE_1)
	s_xor_b32 s20, exec_lo, s20
	s_cbranch_execz .LBB12_4415
; %bb.4401:                             ;   in Loop: Header=BB12_3209 Depth=1
	s_and_saveexec_b32 s21, s4
	s_cbranch_execz .LBB12_4414
; %bb.4402:                             ;   in Loop: Header=BB12_3209 Depth=1
	s_mov_b32 s23, exec_lo
	s_mov_b32 s22, exec_lo
	v_mbcnt_lo_u32_b32 v0, s23, 0
	global_wb scope:SCOPE_DEV
	s_wait_storecnt 0x0
	s_wait_loadcnt_dscnt 0x0
	global_inv scope:SCOPE_DEV
	v_cmpx_eq_u32_e32 0, v0
	s_cbranch_execz .LBB12_4404
; %bb.4403:                             ;   in Loop: Header=BB12_3209 Depth=1
	s_bcnt1_i32_b32 s23, s23
	s_delay_alu instid0(SALU_CYCLE_1)
	v_mov_b32_e32 v64, s23
	s_wait_loadcnt 0x0
	ds_add_u64 v0, v[64:65]
	s_trap 2
.LBB12_4404:                            ;   in Loop: Header=BB12_3209 Depth=1
	s_or_b32 exec_lo, exec_lo, s22
	s_trap 2
	ds_load_b64 v[0:1], v0
	s_wait_dscnt 0x0
	scratch_load_b64 v[2:3], off, s33 offset:256 th:TH_LOAD_LU ; 8-byte Folded Reload
	s_mov_b32 s22, exec_lo
	s_wait_loadcnt 0x0
	v_add_nc_u64_e32 v[2:3], v[2:3], v[72:73]
	scratch_store_b64 off, v[2:3], s33 offset:256 ; 8-byte Folded Spill
	s_wait_xcnt 0x0
	v_cmpx_lt_u64_e64 v[0:1], v[2:3]
	s_cbranch_execz .LBB12_4413
; %bb.4405:                             ;   in Loop: Header=BB12_3209 Depth=1
	s_mov_b32 s23, 0
	s_mov_b32 s26, 0
                                        ; implicit-def: $sgpr24
                                        ; implicit-def: $sgpr25
	s_branch .LBB12_4407
.LBB12_4406:                            ;   in Loop: Header=BB12_4407 Depth=2
	s_wait_xcnt 0x0
	s_or_b32 exec_lo, exec_lo, s28
	s_delay_alu instid0(SALU_CYCLE_1) | instskip(NEXT) | instid1(SALU_CYCLE_1)
	s_and_b32 s27, exec_lo, s29
	s_or_b32 s23, s27, s23
	s_and_not1_b32 s24, s24, exec_lo
	s_and_b32 s27, s25, exec_lo
	s_delay_alu instid0(SALU_CYCLE_1)
	s_or_b32 s24, s24, s27
	s_and_not1_b32 exec_lo, exec_lo, s23
	s_cbranch_execz .LBB12_4411
.LBB12_4407:                            ;   Parent Loop BB12_3209 Depth=1
                                        ; =>  This Inner Loop Header: Depth=2
	s_add_co_i32 s26, s26, 1
	s_delay_alu instid0(SALU_CYCLE_1) | instskip(SKIP_1) | instid1(SALU_CYCLE_1)
	s_cmp_lg_u32 s26, 0x2710
	s_cselect_b32 s27, -1, 0
	s_and_b32 vcc_lo, exec_lo, s27
	s_cbranch_vccz .LBB12_4409
; %bb.4408:                             ;   in Loop: Header=BB12_4407 Depth=2
	s_mov_b32 s29, -1
	s_or_b32 s25, s25, exec_lo
	s_and_saveexec_b32 s28, s27
	s_cbranch_execz .LBB12_4406
	s_branch .LBB12_4410
.LBB12_4409:                            ;   in Loop: Header=BB12_4407 Depth=2
	s_trap 2
	ds_load_b64 v[0:1], v0
	s_and_not1_b32 s27, s27, exec_lo
	s_mov_b32 s26, 0
	s_wait_storecnt_dscnt 0x0
	flat_load_b32 v0, v[0:1] scope:SCOPE_SYS
	s_wait_loadcnt_dscnt 0x0
	global_inv scope:SCOPE_SYS
	v_cmp_eq_u32_e32 vcc_lo, 0, v0
	s_and_b32 s28, vcc_lo, exec_lo
	s_delay_alu instid0(SALU_CYCLE_1)
	s_or_b32 s27, s27, s28
	s_mov_b32 s29, -1
	s_or_b32 s25, s25, exec_lo
	s_wait_xcnt 0x0
	s_and_saveexec_b32 s28, s27
	s_cbranch_execz .LBB12_4406
.LBB12_4410:                            ;   in Loop: Header=BB12_4407 Depth=2
	s_sleep 1
	s_trap 2
	ds_load_b64 v[0:1], v0
	s_wait_dscnt 0x0
	scratch_load_b64 v[2:3], off, s33 offset:256 ; 8-byte Folded Reload
	s_and_not1_b32 s25, s25, exec_lo
	s_wait_loadcnt 0x0
	v_cmp_ge_u64_e32 vcc_lo, v[0:1], v[2:3]
	s_or_not1_b32 s29, vcc_lo, exec_lo
	s_branch .LBB12_4406
.LBB12_4411:                            ;   in Loop: Header=BB12_3209 Depth=1
	s_or_b32 exec_lo, exec_lo, s23
	s_and_saveexec_b32 s23, s24
	s_delay_alu instid0(SALU_CYCLE_1)
	s_xor_b32 s23, exec_lo, s23
	s_cbranch_execz .LBB12_4413
; %bb.4412:                             ;   in Loop: Header=BB12_3209 Depth=1
	ds_store_b32 v0, v117
	s_trap 2
.LBB12_4413:                            ;   in Loop: Header=BB12_3209 Depth=1
	s_or_b32 exec_lo, exec_lo, s22
	;;#ASMSTART
	s_wakeup
	;;#ASMEND
.LBB12_4414:                            ;   in Loop: Header=BB12_3209 Depth=1
	s_or_b32 exec_lo, exec_lo, s21
.LBB12_4415:                            ;   in Loop: Header=BB12_3209 Depth=1
	s_and_not1_saveexec_b32 s20, s20
	s_cbranch_execz .LBB12_4417
; %bb.4416:                             ;   in Loop: Header=BB12_3209 Depth=1
	global_wb scope:SCOPE_DEV
	s_wait_storecnt 0x0
	s_wait_loadcnt_dscnt 0x0
	global_inv scope:SCOPE_DEV
	s_barrier_signal -1
	s_barrier_wait -1
.LBB12_4417:                            ;   in Loop: Header=BB12_3209 Depth=1
	s_or_b32 exec_lo, exec_lo, s20
.LBB12_4418:                            ;   in Loop: Header=BB12_3209 Depth=1
	s_delay_alu instid0(SALU_CYCLE_1) | instskip(SKIP_1) | instid1(VALU_DEP_1)
	s_or_b32 exec_lo, exec_lo, s19
	v_and_b32_e32 v0, 16, v30
	v_cmp_ne_u32_e32 vcc_lo, 0, v0
	s_and_b32 s19, vcc_lo, s10
	s_delay_alu instid0(SALU_CYCLE_1)
	s_and_saveexec_b32 s10, s19
	s_cbranch_execz .LBB12_4420
; %bb.4419:                             ;   in Loop: Header=BB12_3209 Depth=1
	global_wb scope:SCOPE_SYS
	s_wait_storecnt 0x0
	s_wait_loadcnt_dscnt 0x0
	global_inv scope:SCOPE_SYS
.LBB12_4420:                            ;   in Loop: Header=BB12_3209 Depth=1
	s_or_b32 exec_lo, exec_lo, s10
	s_delay_alu instid0(SALU_CYCLE_1)
	s_mov_b32 s10, exec_lo
	v_cmpx_ne_u32_e32 0, v0
	s_cbranch_execz .LBB12_4424
; %bb.4421:                             ;   in Loop: Header=BB12_3209 Depth=1
	s_and_saveexec_b32 s19, s7
	s_cbranch_execz .LBB12_4423
; %bb.4422:                             ;   in Loop: Header=BB12_3209 Depth=1
	scratch_load_b64 v[0:1], off, s33 offset:328 ; 8-byte Folded Reload
	global_wb scope:SCOPE_SYS
	s_wait_storecnt 0x0
	s_wait_xcnt 0x0
	s_wait_loadcnt_dscnt 0x0
	flat_store_b32 v[0:1], v117 scope:SCOPE_SYS
.LBB12_4423:                            ;   in Loop: Header=BB12_3209 Depth=1
	s_wait_xcnt 0x0
	s_or_b32 exec_lo, exec_lo, s19
	s_wait_loadcnt 0x0
	scratch_load_b128 v[0:3], off, s33 offset:264 th:TH_LOAD_LU ; 16-byte Folded Reload
	s_wait_loadcnt 0x0
	v_add_nc_u64_e32 v[2:3], 1, v[2:3]
	scratch_store_b128 off, v[0:3], s33 offset:264 ; 16-byte Folded Spill
	global_wb scope:SCOPE_SYS
	s_wait_xcnt 0x0
	s_wait_storecnt_dscnt 0x0
	flat_store_b64 v[40:41], v[2:3] scope:SCOPE_SYS
.LBB12_4424:                            ;   in Loop: Header=BB12_3209 Depth=1
	s_wait_xcnt 0x0
	s_or_b32 exec_lo, exec_lo, s10
	v_mov_b32_e32 v0, v119
.LBB12_4425:                            ;   in Loop: Header=BB12_3209 Depth=1
	s_or_b32 exec_lo, exec_lo, s18
	s_and_saveexec_b32 s18, s17
	s_cbranch_execz .LBB12_3208
; %bb.4426:                             ;   in Loop: Header=BB12_3209 Depth=1
	s_delay_alu instid0(VALU_DEP_1) | instskip(SKIP_2) | instid1(VALU_DEP_1)
	v_dual_sub_nc_u32 v0, v110, v0 :: v_dual_bitop2_b32 v1, 8, v30 bitop3:0x40
	s_mov_b32 s17, exec_lo
	s_wait_loadcnt 0x0
	v_min_i32_e32 v2, v119, v0
	s_delay_alu instid0(VALU_DEP_2)
	v_cmpx_ne_u32_e32 0, v1
	s_cbranch_execz .LBB12_4448
; %bb.4427:                             ;   in Loop: Header=BB12_3209 Depth=1
	scratch_load_b128 v[4:7], off, s33 offset:264 ; 16-byte Folded Reload
	v_add_nc_u64_e32 v[0:1], 8, v[46:47]
	s_mov_b32 s19, exec_lo
	s_wait_loadcnt 0x0
	v_add_nc_u64_e32 v[10:11], 1, v[6:7]
	s_wait_xcnt 0x0
	s_delay_alu instid0(VALU_DEP_1)
	v_cmpx_lt_u64_e64 v[0:1], v[10:11]
	s_cbranch_execz .LBB12_4439
; %bb.4428:                             ;   in Loop: Header=BB12_3209 Depth=1
	v_and_b32_e32 v0, 64, v30
	s_mov_b32 s20, 0
	s_mov_b32 s24, 0
                                        ; implicit-def: $sgpr21
                                        ; implicit-def: $sgpr22
                                        ; implicit-def: $sgpr23
	s_delay_alu instid0(VALU_DEP_1)
	v_cmp_eq_u32_e32 vcc_lo, 0, v0
	s_branch .LBB12_4432
.LBB12_4429:                            ;   in Loop: Header=BB12_4432 Depth=2
	s_wait_loadcnt_dscnt 0x0
	v_add_nc_u64_e32 v[4:5], 8, v[46:47]
	s_or_b32 s27, s27, exec_lo
	s_delay_alu instid0(VALU_DEP_1)
	v_cmp_ge_u64_e64 s10, v[4:5], v[10:11]
	s_or_not1_b32 s26, s10, exec_lo
.LBB12_4430:                            ;   in Loop: Header=BB12_4432 Depth=2
	s_or_b32 exec_lo, exec_lo, s29
	s_delay_alu instid0(SALU_CYCLE_1)
	s_and_not1_b32 s10, s23, exec_lo
	s_and_b32 s23, s27, exec_lo
	s_and_not1_b32 s22, s22, exec_lo
	s_and_b32 s26, s26, exec_lo
	s_or_b32 s23, s10, s23
	s_or_b32 s22, s22, s26
.LBB12_4431:                            ;   in Loop: Header=BB12_4432 Depth=2
	s_or_b32 exec_lo, exec_lo, s25
	s_delay_alu instid0(SALU_CYCLE_1) | instskip(NEXT) | instid1(SALU_CYCLE_1)
	s_and_b32 s10, exec_lo, s22
	s_or_b32 s20, s10, s20
	s_and_not1_b32 s10, s21, exec_lo
	s_and_b32 s21, s23, exec_lo
	s_delay_alu instid0(SALU_CYCLE_1)
	s_or_b32 s21, s10, s21
	s_and_not1_b32 exec_lo, exec_lo, s20
	s_cbranch_execz .LBB12_4436
.LBB12_4432:                            ;   Parent Loop BB12_3209 Depth=1
                                        ; =>  This Inner Loop Header: Depth=2
	s_sleep 1
	s_wait_loadcnt_dscnt 0x0
	flat_load_b64 v[46:47], v[40:41] scope:SCOPE_SYS
	s_or_b32 s23, s23, exec_lo
	s_or_b32 s22, s22, exec_lo
                                        ; implicit-def: $vgpr0
	s_wait_xcnt 0x0
	s_and_saveexec_b32 s25, vcc_lo
	s_cbranch_execz .LBB12_4431
; %bb.4433:                             ;   in Loop: Header=BB12_4432 Depth=2
	s_cmp_lt_i32 s24, 0x270f
	s_mov_b32 s26, -1
	s_cselect_b32 s28, -1, 0
	s_cmp_gt_i32 s24, 0x270e
	s_cbranch_scc0 .LBB12_4435
; %bb.4434:                             ;   in Loop: Header=BB12_4432 Depth=2
	s_trap 2
	ds_load_b64 v[0:1], v0
	s_and_not1_b32 s24, s28, exec_lo
	s_mov_b32 s27, 0
	s_wait_storecnt 0x0
	s_wait_loadcnt_dscnt 0x0
	flat_load_b32 v0, v[0:1] scope:SCOPE_SYS
	s_wait_loadcnt_dscnt 0x0
	global_inv scope:SCOPE_SYS
	v_cmp_eq_u32_e64 s10, 0, v0
	s_and_b32 s10, s10, exec_lo
	s_delay_alu instid0(SALU_CYCLE_1)
	s_or_b32 s28, s24, s10
	s_mov_b32 s24, 0
	s_and_saveexec_b32 s29, s28
	s_cbranch_execz .LBB12_4430
	s_branch .LBB12_4429
.LBB12_4435:                            ;   in Loop: Header=BB12_4432 Depth=2
	s_add_co_i32 s24, s24, 1
	s_mov_b32 s27, -1
                                        ; implicit-def: $vgpr0
	s_and_saveexec_b32 s29, s28
	s_cbranch_execz .LBB12_4430
	s_branch .LBB12_4429
.LBB12_4436:                            ;   in Loop: Header=BB12_3209 Depth=1
	s_or_b32 exec_lo, exec_lo, s20
	s_xor_b32 s10, s21, -1
	s_delay_alu instid0(SALU_CYCLE_1) | instskip(NEXT) | instid1(SALU_CYCLE_1)
	s_and_saveexec_b32 s20, s10
	s_xor_b32 s10, exec_lo, s20
	s_cbranch_execz .LBB12_4438
; %bb.4437:                             ;   in Loop: Header=BB12_3209 Depth=1
	v_or_b32_e32 v30, 64, v30
	s_wait_storecnt 0x0
	s_wait_loadcnt_dscnt 0x0
	ds_store_b32 v0, v0
	s_trap 2
.LBB12_4438:                            ;   in Loop: Header=BB12_3209 Depth=1
	s_or_b32 exec_lo, exec_lo, s10
.LBB12_4439:                            ;   in Loop: Header=BB12_3209 Depth=1
	s_delay_alu instid0(SALU_CYCLE_1) | instskip(SKIP_4) | instid1(VALU_DEP_1)
	s_or_b32 exec_lo, exec_lo, s19
	v_and_b32_e32 v0, 0x100, v30
	s_mov_b32 s19, 0
	s_mov_b32 s10, exec_lo
	;;#ASMSTART
	s_wakeup
	;;#ASMEND
                                        ; implicit-def: $vgpr12_vgpr13
	v_cmpx_ne_u32_e32 0, v0
	s_xor_b32 s10, exec_lo, s10
	s_cbranch_execz .LBB12_4460
; %bb.4440:                             ;   in Loop: Header=BB12_3209 Depth=1
	scratch_load_b128 v[4:7], off, s33 offset:264 ; 16-byte Folded Reload
	v_ashrrev_i32_e32 v3, 31, v2
	s_mov_b32 s19, -1
	s_mov_b32 s20, exec_lo
                                        ; implicit-def: $vgpr12_vgpr13
	s_delay_alu instid0(VALU_DEP_1) | instskip(SKIP_2) | instid1(VALU_DEP_1)
	v_lshlrev_b64_e32 v[0:1], 1, v[2:3]
	s_wait_loadcnt 0x0
	v_and_b32_e32 v64, 7, v6
	v_mad_nc_u64_u32 v[14:15], v64, 24, v[4:5]
	s_clause 0x1
	flat_load_b32 v4, v[14:15]
	flat_store_b64 v[14:15], v[0:1] offset:8
	s_wait_loadcnt_dscnt 0x1
	v_cmpx_eq_u32_e32 1, v4
	s_cbranch_execz .LBB12_4442
; %bb.4441:                             ;   in Loop: Header=BB12_3209 Depth=1
	flat_load_b32 v0, v[14:15] offset:4 scope:SCOPE_SYS
	s_xor_b32 s19, exec_lo, -1
	s_wait_loadcnt_dscnt 0x0
	v_ashrrev_i32_e32 v1, 31, v0
	s_delay_alu instid0(VALU_DEP_1)
	v_lshrrev_b64 v[12:13], 1, v[0:1]
.LBB12_4442:                            ;   in Loop: Header=BB12_3209 Depth=1
	s_wait_xcnt 0x0
	s_or_b32 exec_lo, exec_lo, s20
	s_delay_alu instid0(SALU_CYCLE_1)
	s_and_b32 s19, s19, exec_lo
	s_and_not1_saveexec_b32 s10, s10
	s_cbranch_execnz .LBB12_4461
.LBB12_4443:                            ;   in Loop: Header=BB12_3209 Depth=1
	s_or_b32 exec_lo, exec_lo, s10
	s_and_saveexec_b32 s10, s19
	s_cbranch_execz .LBB12_4445
.LBB12_4444:                            ;   in Loop: Header=BB12_3209 Depth=1
	scratch_load_b64 v[0:1], off, s33 offset:312 ; 8-byte Folded Reload
	s_wait_loadcnt 0x0
	v_mul_u64_e32 v[12:13], v[64:65], v[0:1]
.LBB12_4445:                            ;   in Loop: Header=BB12_3209 Depth=1
	s_wait_xcnt 0x0
	s_or_b32 exec_lo, exec_lo, s10
	scratch_load_b64 v[0:1], off, s33 offset:304 ; 8-byte Folded Reload
	v_and_b32_e32 v3, 0x2000, v30
	s_mov_b32 s10, exec_lo
	s_wait_loadcnt 0x0
	v_lshl_add_u64 v[0:1], v[12:13], 1, v[0:1]
	ds_store_b64 v0, v[0:1] offset:784
	s_wait_xcnt 0x0
	v_cmpx_ne_u32_e32 0, v3
	s_cbranch_execz .LBB12_4447
; %bb.4446:                             ;   in Loop: Header=BB12_3209 Depth=1
	ds_load_b64 v[0:1], v0 offset:872
	s_wait_dscnt 0x0
	v_add_nc_u64_e32 v[0:1], 1, v[0:1]
	ds_store_b64 v0, v[0:1] offset:872
.LBB12_4447:                            ;   in Loop: Header=BB12_3209 Depth=1
	s_or_b32 exec_lo, exec_lo, s10
	scratch_load_b128 v[4:7], off, s33 offset:264 ; 16-byte Folded Reload
	s_wait_loadcnt 0x0
	v_mov_b64_e32 v[6:7], v[10:11]
	scratch_store_b128 off, v[4:7], s33 offset:264 ; 16-byte Folded Spill
.LBB12_4448:                            ;   in Loop: Header=BB12_3209 Depth=1
	s_wait_xcnt 0x0
	s_or_b32 exec_lo, exec_lo, s17
	s_and_saveexec_b32 s10, s2
	s_cbranch_execz .LBB12_4469
; %bb.4449:                             ;   in Loop: Header=BB12_3209 Depth=1
	s_and_saveexec_b32 s17, s3
	s_delay_alu instid0(SALU_CYCLE_1)
	s_xor_b32 s17, exec_lo, s17
	s_cbranch_execz .LBB12_4466
; %bb.4450:                             ;   in Loop: Header=BB12_3209 Depth=1
	s_and_saveexec_b32 s19, s4
	s_cbranch_execz .LBB12_4465
; %bb.4451:                             ;   in Loop: Header=BB12_3209 Depth=1
	s_mov_b32 s21, exec_lo
	s_mov_b32 s20, exec_lo
	v_mbcnt_lo_u32_b32 v0, s21, 0
	global_wb scope:SCOPE_DEV
	s_wait_storecnt_dscnt 0x0
	global_inv scope:SCOPE_DEV
	v_cmpx_eq_u32_e32 0, v0
	s_cbranch_execz .LBB12_4453
; %bb.4452:                             ;   in Loop: Header=BB12_3209 Depth=1
	s_bcnt1_i32_b32 s21, s21
	s_delay_alu instid0(SALU_CYCLE_1)
	v_mov_b32_e32 v64, s21
	s_wait_loadcnt 0x0
	ds_add_u64 v0, v[64:65]
	s_trap 2
.LBB12_4453:                            ;   in Loop: Header=BB12_3209 Depth=1
	s_or_b32 exec_lo, exec_lo, s20
	s_trap 2
	ds_load_b64 v[0:1], v0
	s_wait_dscnt 0x0
	scratch_load_b64 v[4:5], off, s33 offset:256 th:TH_LOAD_LU ; 8-byte Folded Reload
	s_mov_b32 s20, exec_lo
	s_wait_loadcnt 0x0
	v_add_nc_u64_e32 v[4:5], v[4:5], v[72:73]
	scratch_store_b64 off, v[4:5], s33 offset:256 ; 8-byte Folded Spill
	s_wait_xcnt 0x0
	v_cmpx_lt_u64_e64 v[0:1], v[4:5]
	s_cbranch_execz .LBB12_4464
; %bb.4454:                             ;   in Loop: Header=BB12_3209 Depth=1
	s_mov_b32 s21, 0
	s_mov_b32 s24, 0
                                        ; implicit-def: $sgpr22
                                        ; implicit-def: $sgpr23
	s_branch .LBB12_4456
.LBB12_4455:                            ;   in Loop: Header=BB12_4456 Depth=2
	s_wait_xcnt 0x0
	s_or_b32 exec_lo, exec_lo, s26
	s_delay_alu instid0(SALU_CYCLE_1) | instskip(NEXT) | instid1(SALU_CYCLE_1)
	s_and_b32 s25, exec_lo, s27
	s_or_b32 s21, s25, s21
	s_and_not1_b32 s22, s22, exec_lo
	s_and_b32 s25, s23, exec_lo
	s_delay_alu instid0(SALU_CYCLE_1)
	s_or_b32 s22, s22, s25
	s_and_not1_b32 exec_lo, exec_lo, s21
	s_cbranch_execz .LBB12_4462
.LBB12_4456:                            ;   Parent Loop BB12_3209 Depth=1
                                        ; =>  This Inner Loop Header: Depth=2
	s_add_co_i32 s24, s24, 1
	s_delay_alu instid0(SALU_CYCLE_1) | instskip(SKIP_1) | instid1(SALU_CYCLE_1)
	s_cmp_lg_u32 s24, 0x2710
	s_cselect_b32 s25, -1, 0
	s_and_b32 vcc_lo, exec_lo, s25
	s_cbranch_vccz .LBB12_4458
; %bb.4457:                             ;   in Loop: Header=BB12_4456 Depth=2
	s_mov_b32 s27, -1
	s_or_b32 s23, s23, exec_lo
	s_and_saveexec_b32 s26, s25
	s_cbranch_execz .LBB12_4455
	s_branch .LBB12_4459
.LBB12_4458:                            ;   in Loop: Header=BB12_4456 Depth=2
	s_trap 2
	ds_load_b64 v[0:1], v0
	s_and_not1_b32 s25, s25, exec_lo
	s_mov_b32 s24, 0
	s_wait_storecnt_dscnt 0x0
	flat_load_b32 v0, v[0:1] scope:SCOPE_SYS
	s_wait_loadcnt_dscnt 0x0
	global_inv scope:SCOPE_SYS
	v_cmp_eq_u32_e32 vcc_lo, 0, v0
	s_and_b32 s26, vcc_lo, exec_lo
	s_delay_alu instid0(SALU_CYCLE_1)
	s_or_b32 s25, s25, s26
	s_mov_b32 s27, -1
	s_or_b32 s23, s23, exec_lo
	s_wait_xcnt 0x0
	s_and_saveexec_b32 s26, s25
	s_cbranch_execz .LBB12_4455
.LBB12_4459:                            ;   in Loop: Header=BB12_4456 Depth=2
	s_sleep 1
	s_trap 2
	ds_load_b64 v[0:1], v0
	s_wait_dscnt 0x0
	scratch_load_b64 v[4:5], off, s33 offset:256 ; 8-byte Folded Reload
	s_and_not1_b32 s23, s23, exec_lo
	s_wait_loadcnt 0x0
	v_cmp_ge_u64_e32 vcc_lo, v[0:1], v[4:5]
	s_or_not1_b32 s27, vcc_lo, exec_lo
	s_branch .LBB12_4455
.LBB12_4460:                            ;   in Loop: Header=BB12_3209 Depth=1
	s_and_not1_saveexec_b32 s10, s10
	s_cbranch_execz .LBB12_4443
.LBB12_4461:                            ;   in Loop: Header=BB12_3209 Depth=1
	scratch_load_b128 v[4:7], off, s33 offset:264 ; 16-byte Folded Reload
	s_or_b32 s19, s19, exec_lo
	s_wait_loadcnt 0x0
	v_and_b32_e32 v64, 7, v6
	s_wait_xcnt 0x0
	s_or_b32 exec_lo, exec_lo, s10
	s_and_saveexec_b32 s10, s19
	s_cbranch_execnz .LBB12_4444
	s_branch .LBB12_4445
.LBB12_4462:                            ;   in Loop: Header=BB12_3209 Depth=1
	s_or_b32 exec_lo, exec_lo, s21
	s_and_saveexec_b32 s21, s22
	s_delay_alu instid0(SALU_CYCLE_1)
	s_xor_b32 s21, exec_lo, s21
	s_cbranch_execz .LBB12_4464
; %bb.4463:                             ;   in Loop: Header=BB12_3209 Depth=1
	ds_store_b32 v0, v117
	s_trap 2
.LBB12_4464:                            ;   in Loop: Header=BB12_3209 Depth=1
	s_or_b32 exec_lo, exec_lo, s20
	;;#ASMSTART
	s_wakeup
	;;#ASMEND
.LBB12_4465:                            ;   in Loop: Header=BB12_3209 Depth=1
	s_or_b32 exec_lo, exec_lo, s19
.LBB12_4466:                            ;   in Loop: Header=BB12_3209 Depth=1
	s_and_not1_saveexec_b32 s17, s17
	s_cbranch_execz .LBB12_4468
; %bb.4467:                             ;   in Loop: Header=BB12_3209 Depth=1
	global_wb scope:SCOPE_DEV
	s_wait_storecnt 0x0
	s_wait_loadcnt_dscnt 0x0
	global_inv scope:SCOPE_DEV
	s_barrier_signal -1
	s_barrier_wait -1
.LBB12_4468:                            ;   in Loop: Header=BB12_3209 Depth=1
	s_or_b32 exec_lo, exec_lo, s17
.LBB12_4469:                            ;   in Loop: Header=BB12_3209 Depth=1
	s_delay_alu instid0(SALU_CYCLE_1)
	s_or_b32 exec_lo, exec_lo, s10
	s_trap 2
	ds_load_b32 v0, v0
	v_cmp_lt_i32_e32 vcc_lo, 0, v2
	s_wait_dscnt 0x0
	v_readfirstlane_b32 s10, v0
	v_and_b32_e32 v0, 16, v30
	s_cmp_eq_u32 s10, 0
	s_delay_alu instid0(VALU_DEP_1) | instskip(SKIP_1) | instid1(SALU_CYCLE_1)
	v_cmp_ne_u32_e64 s10, 0, v0
	s_cselect_b32 s17, -1, 0
	s_and_b32 s17, vcc_lo, s17
	s_delay_alu instid0(SALU_CYCLE_1) | instskip(NEXT) | instid1(SALU_CYCLE_1)
	s_and_b32 s17, s10, s17
	s_and_saveexec_b32 s10, s17
	s_cbranch_execz .LBB12_4471
; %bb.4470:                             ;   in Loop: Header=BB12_3209 Depth=1
	global_wb scope:SCOPE_SYS
	s_wait_loadcnt 0x0
	s_wait_storecnt 0x0
	global_inv scope:SCOPE_SYS
.LBB12_4471:                            ;   in Loop: Header=BB12_3209 Depth=1
	s_or_b32 exec_lo, exec_lo, s10
	s_delay_alu instid0(SALU_CYCLE_1)
	s_mov_b32 s10, exec_lo
	v_cmpx_ne_u32_e32 0, v0
	s_cbranch_execz .LBB12_3207
; %bb.4472:                             ;   in Loop: Header=BB12_3209 Depth=1
	s_and_saveexec_b32 s17, s7
	s_cbranch_execz .LBB12_3206
; %bb.4473:                             ;   in Loop: Header=BB12_3209 Depth=1
	scratch_load_b64 v[0:1], off, s33 offset:328 ; 8-byte Folded Reload
	global_wb scope:SCOPE_SYS
	s_wait_loadcnt 0x0
	s_wait_storecnt 0x0
	s_wait_xcnt 0x0
	flat_store_b32 v[0:1], v117 scope:SCOPE_SYS
	s_branch .LBB12_3206
.LBB12_4474:
	s_or_b32 exec_lo, exec_lo, s13
	s_clause 0x4
	scratch_load_b32 v1, off, s33 offset:408
	scratch_load_b32 v31, off, s33 offset:412
	scratch_load_b128 v[74:77], off, s33 offset:264
	scratch_load_b64 v[26:27], off, s33 offset:416
	scratch_load_b32 v8, off, s33 offset:424
.LBB12_4475:
	s_wait_xcnt 0x0
	s_or_b32 exec_lo, exec_lo, s12
.LBB12_4476:
	s_delay_alu instid0(SALU_CYCLE_1) | instskip(SKIP_2) | instid1(VALU_DEP_1)
	s_or_b32 exec_lo, exec_lo, s11
	v_and_b32_e32 v0, 0x800, v30
	s_mov_b32 s1, exec_lo
	v_cmpx_eq_u32_e32 0, v0
	s_cbranch_execz .LBB12_4509
; %bb.4477:
	v_and_b32_e32 v0, 48, v30
	s_mov_b32 s0, exec_lo
	s_delay_alu instid0(VALU_DEP_1)
	v_cmpx_ne_u32_e32 0, v0
	s_cbranch_execz .LBB12_4479
; %bb.4478:
	s_wait_loadcnt_dscnt 0x100
	flat_store_b64 v[26:27], v[76:77] offset:104
.LBB12_4479:
	s_wait_xcnt 0x0
	s_or_b32 exec_lo, exec_lo, s0
	v_and_b32_e32 v0, 0x88, v30
	s_mov_b32 s2, exec_lo
	s_delay_alu instid0(VALU_DEP_1)
	v_cmpx_eq_u32_e32 0x88, v0
	s_cbranch_execz .LBB12_4489
; %bb.4480:
	s_wait_loadcnt_dscnt 0x200
	v_dual_add_nc_u32 v0, -1, v76 :: v_dual_bitop2_b32 v4, 64, v30 bitop3:0x40
	s_mov_b32 s3, 0
	s_delay_alu instid0(VALU_DEP_1) | instskip(NEXT) | instid1(VALU_DEP_2)
	v_and_b32_e32 v0, 7, v0
	v_cmp_eq_u32_e64 s0, 0, v4
	s_delay_alu instid0(VALU_DEP_2)
	v_mad_nc_u64_u32 v[2:3], v0, 24, v[74:75]
	flat_load_b64 v[6:7], v[2:3] offset:8 scope:SCOPE_SYS
	s_wait_loadcnt_dscnt 0x0
	v_cmp_ne_u64_e32 vcc_lo, -1, v[6:7]
	s_and_b32 s0, vcc_lo, s0
	s_wait_xcnt 0x0
	s_and_b32 exec_lo, exec_lo, s0
	s_cbranch_execz .LBB12_4489
; %bb.4481:
	s_mov_b32 s5, 0
                                        ; implicit-def: $sgpr0
                                        ; implicit-def: $sgpr4
	s_branch .LBB12_4484
.LBB12_4482:                            ;   in Loop: Header=BB12_4484 Depth=1
	flat_load_b64 v[4:5], v[2:3] offset:8 scope:SCOPE_SYS
	s_wait_loadcnt 0x0
	s_and_not1_b32 s4, s4, exec_lo
	s_wait_dscnt 0x0
	v_cmp_eq_u64_e32 vcc_lo, -1, v[4:5]
	s_or_not1_b32 s7, vcc_lo, exec_lo
.LBB12_4483:                            ;   in Loop: Header=BB12_4484 Depth=1
	s_wait_xcnt 0x0
	s_or_b32 exec_lo, exec_lo, s10
	s_delay_alu instid0(SALU_CYCLE_1) | instskip(NEXT) | instid1(SALU_CYCLE_1)
	s_and_b32 s6, exec_lo, s7
	s_or_b32 s3, s6, s3
	s_and_not1_b32 s0, s0, exec_lo
	s_and_b32 s6, s4, exec_lo
	s_delay_alu instid0(SALU_CYCLE_1)
	s_or_b32 s0, s0, s6
	s_and_not1_b32 exec_lo, exec_lo, s3
	s_cbranch_execz .LBB12_4487
.LBB12_4484:                            ; =>This Inner Loop Header: Depth=1
	s_cmp_lt_i32 s5, 0x270f
	s_cselect_b32 s6, -1, 0
	s_delay_alu instid0(SALU_CYCLE_1)
	s_and_b32 vcc_lo, exec_lo, s6
	s_cbranch_vccnz .LBB12_4486
; %bb.4485:                             ;   in Loop: Header=BB12_4484 Depth=1
	s_trap 2
	ds_load_b64 v[4:5], v0
	s_and_not1_b32 s6, s6, exec_lo
	s_mov_b32 s5, 0
	s_wait_storecnt_dscnt 0x0
	flat_load_b32 v0, v[4:5] scope:SCOPE_SYS
	s_wait_loadcnt_dscnt 0x0
	global_inv scope:SCOPE_SYS
	v_cmp_eq_u32_e32 vcc_lo, 0, v0
	s_and_b32 s7, vcc_lo, exec_lo
	s_delay_alu instid0(SALU_CYCLE_1)
	s_or_b32 s6, s6, s7
	s_mov_b32 s7, -1
	s_or_b32 s4, s4, exec_lo
	s_wait_xcnt 0x0
	s_and_saveexec_b32 s10, s6
	s_cbranch_execz .LBB12_4483
	s_branch .LBB12_4482
.LBB12_4486:                            ;   in Loop: Header=BB12_4484 Depth=1
	s_add_co_i32 s5, s5, 1
                                        ; implicit-def: $vgpr0
	s_mov_b32 s7, -1
	s_or_b32 s4, s4, exec_lo
	s_and_saveexec_b32 s10, s6
	s_cbranch_execz .LBB12_4483
	s_branch .LBB12_4482
.LBB12_4487:
	s_or_b32 exec_lo, exec_lo, s3
	s_and_saveexec_b32 s3, s0
	s_delay_alu instid0(SALU_CYCLE_1)
	s_xor_b32 s3, exec_lo, s3
	s_cbranch_execz .LBB12_4489
; %bb.4488:
	s_wait_loadcnt 0x0
	s_wait_storecnt 0x0
	ds_store_b32 v0, v0
	s_trap 2
.LBB12_4489:
	s_or_b32 exec_lo, exec_lo, s2
	v_and_b32_e32 v0, 0x2000, v30
	s_mov_b32 s0, exec_lo
	s_delay_alu instid0(VALU_DEP_1)
	v_cmpx_ne_u32_e32 0, v0
	s_cbranch_execz .LBB12_4491
; %bb.4490:
	s_trap 2
	s_wait_dscnt 0x0
	scratch_load_b64 v[4:5], off, s33 offset:444 th:TH_LOAD_LU ; 8-byte Folded Reload
	ds_load_b64 v[2:3], v0
	s_wait_loadcnt_dscnt 0x0
	flat_store_b64 v[4:5], v[2:3] offset:16
.LBB12_4491:
	s_wait_xcnt 0x0
	s_or_b32 exec_lo, exec_lo, s0
	s_wait_loadcnt 0x4
	v_cmp_ne_u32_e32 vcc_lo, 32, v1
	s_and_b32 exec_lo, exec_lo, vcc_lo
	s_cbranch_execz .LBB12_4509
; %bb.4492:
	s_mov_b32 s0, exec_lo
	s_wait_loadcnt 0x0
	v_cmpx_ne_u32_e64 v1, v8
	s_xor_b32 s0, exec_lo, s0
	s_cbranch_execz .LBB12_4507
; %bb.4493:
	v_and_b32_e32 v0, 31, v31
	s_mov_b32 s2, exec_lo
	s_delay_alu instid0(VALU_DEP_1)
	v_cmpx_eq_u32_e32 0, v0
	s_cbranch_execz .LBB12_4506
; %bb.4494:
	s_mov_b32 s4, exec_lo
	s_mov_b32 s3, exec_lo
	v_mbcnt_lo_u32_b32 v0, s4, 0
	global_wb scope:SCOPE_DEV
	s_wait_storecnt_dscnt 0x0
	global_inv scope:SCOPE_DEV
	v_cmpx_eq_u32_e32 0, v0
	s_cbranch_execz .LBB12_4496
; %bb.4495:
	s_bcnt1_i32_b32 s4, s4
	s_delay_alu instid0(SALU_CYCLE_1)
	v_dual_mov_b32 v3, 0 :: v_dual_mov_b32 v2, s4
	s_wait_loadcnt 0x0
	ds_add_u64 v0, v[2:3]
	s_trap 2
.LBB12_4496:
	s_or_b32 exec_lo, exec_lo, s3
	s_trap 2
	ds_load_b64 v[2:3], v0
	s_wait_dscnt 0x0
	scratch_load_b64 v[4:5], off, s33 offset:256 th:TH_LOAD_LU ; 8-byte Folded Reload
	v_dual_mov_b32 v1, 0 :: v_dual_lshrrev_b32 v0, 5, v1
	s_mov_b32 s3, exec_lo
	s_wait_loadcnt 0x0
	s_delay_alu instid0(VALU_DEP_1) | instskip(NEXT) | instid1(VALU_DEP_1)
	v_add_nc_u64_e32 v[0:1], v[4:5], v[0:1]
	v_cmpx_lt_u64_e64 v[2:3], v[0:1]
	s_cbranch_execz .LBB12_4505
; %bb.4497:
	s_mov_b32 s4, 0
	s_mov_b32 s7, 0
                                        ; implicit-def: $sgpr5
                                        ; implicit-def: $sgpr6
	s_branch .LBB12_4499
.LBB12_4498:                            ;   in Loop: Header=BB12_4499 Depth=1
	s_or_b32 exec_lo, exec_lo, s11
	s_delay_alu instid0(SALU_CYCLE_1) | instskip(NEXT) | instid1(SALU_CYCLE_1)
	s_and_b32 s10, exec_lo, s12
	s_or_b32 s4, s10, s4
	s_and_not1_b32 s5, s5, exec_lo
	s_and_b32 s10, s6, exec_lo
	s_delay_alu instid0(SALU_CYCLE_1)
	s_or_b32 s5, s5, s10
	s_and_not1_b32 exec_lo, exec_lo, s4
	s_cbranch_execz .LBB12_4503
.LBB12_4499:                            ; =>This Inner Loop Header: Depth=1
	s_add_co_i32 s7, s7, 1
	s_delay_alu instid0(SALU_CYCLE_1) | instskip(SKIP_1) | instid1(SALU_CYCLE_1)
	s_cmp_lg_u32 s7, 0x2710
	s_cselect_b32 s10, -1, 0
	s_and_b32 vcc_lo, exec_lo, s10
	s_cbranch_vccz .LBB12_4501
; %bb.4500:                             ;   in Loop: Header=BB12_4499 Depth=1
	s_mov_b32 s12, -1
	s_or_b32 s6, s6, exec_lo
	s_and_saveexec_b32 s11, s10
	s_cbranch_execz .LBB12_4498
	s_branch .LBB12_4502
.LBB12_4501:                            ;   in Loop: Header=BB12_4499 Depth=1
	s_trap 2
	ds_load_b64 v[2:3], v0
	s_and_not1_b32 s10, s10, exec_lo
	s_mov_b32 s7, 0
	s_wait_dscnt 0x0
	flat_load_b32 v2, v[2:3] scope:SCOPE_SYS
	s_wait_loadcnt_dscnt 0x0
	global_inv scope:SCOPE_SYS
	v_cmp_eq_u32_e32 vcc_lo, 0, v2
	s_and_b32 s11, vcc_lo, exec_lo
	s_delay_alu instid0(SALU_CYCLE_1)
	s_or_b32 s10, s10, s11
	s_mov_b32 s12, -1
	s_or_b32 s6, s6, exec_lo
	s_wait_xcnt 0x0
	s_and_saveexec_b32 s11, s10
	s_cbranch_execz .LBB12_4498
.LBB12_4502:                            ;   in Loop: Header=BB12_4499 Depth=1
	s_sleep 1
	s_trap 2
	ds_load_b64 v[2:3], v0
	s_wait_dscnt 0x0
	s_and_not1_b32 s6, s6, exec_lo
	v_cmp_ge_u64_e32 vcc_lo, v[2:3], v[0:1]
	s_or_not1_b32 s12, vcc_lo, exec_lo
	s_branch .LBB12_4498
.LBB12_4503:
	s_or_b32 exec_lo, exec_lo, s4
	s_and_saveexec_b32 s4, s5
	s_delay_alu instid0(SALU_CYCLE_1)
	s_xor_b32 s4, exec_lo, s4
	s_cbranch_execz .LBB12_4505
; %bb.4504:
	v_mov_b32_e32 v0, 1
	ds_store_b32 v0, v0
	s_trap 2
.LBB12_4505:
	s_or_b32 exec_lo, exec_lo, s3
	;;#ASMSTART
	s_wakeup
	;;#ASMEND
.LBB12_4506:
	s_or_b32 exec_lo, exec_lo, s2
.LBB12_4507:
	s_and_not1_saveexec_b32 s0, s0
	s_cbranch_execz .LBB12_4509
; %bb.4508:
	global_wb scope:SCOPE_DEV
	s_wait_storecnt 0x0
	s_wait_loadcnt_dscnt 0x0
	global_inv scope:SCOPE_DEV
	s_barrier_signal -1
	s_barrier_wait -1
.LBB12_4509:
	s_or_b32 exec_lo, exec_lo, s1
.LBB12_4510:
	s_and_not1_saveexec_b32 s21, s16
	s_cbranch_execz .LBB12_4512
; %bb.4511:
	s_get_pc_i64 s[0:1]
	s_add_nc_u64 s[0:1], s[0:1], __PRETTY_FUNCTION__._ZN10PrimitivesI12hip_bfloat1613FuncPreMulSumIS0_E12FanSymmetricILi1EELi0E11ProtoSimpleILi1ELi1ELi0ELi4ELi0ELi0EELi0ELb0ELi0ELi1ELi0EEC2EiiPKiS9_PKvPvmhhhP15ncclDevWorkCollP14ncclDevWorkP2pii@rel64+4
	s_get_pc_i64 s[2:3]
	s_add_nc_u64 s[2:3], s[2:3], __assert_fail@rel64+4
	s_wait_loadcnt 0x4
	v_dual_mov_b32 v0, s0 :: v_dual_mov_b32 v1, s1
	s_swap_pc_i64 s[30:31], s[2:3]
	; divergent unreachable
.LBB12_4512:
	s_or_b32 exec_lo, exec_lo, s21
	s_clause 0x18
	scratch_load_b32 v126, off, s33
	scratch_load_b32 v125, off, s33 offset:4
	scratch_load_b32 v124, off, s33 offset:8
	;; [unrolled: 1-line block ×24, first 2 shown]
	s_wait_loadcnt_dscnt 0x1b00
	s_clause 0x15
	scratch_load_b32 v77, off, s33 offset:100
	scratch_load_b32 v76, off, s33 offset:104
	;; [unrolled: 1-line block ×22, first 2 shown]
	v_readlane_b32 s30, v127, 0
	v_readlane_b32 s31, v127, 1
	s_mov_b32 s32, s33
	s_wait_xcnt 0x0
	s_or_saveexec_b32 s0, -1
	scratch_load_b32 v127, off, s33 offset:452 ; 4-byte Folded Reload
	s_wait_xcnt 0x0
	s_mov_b32 exec_lo, s0
	s_mov_b32 s33, s46
	s_wait_loadcnt 0x0
	s_set_pc_i64 s[30:31]
.Lfunc_end12:
	.size	_ZN12_GLOBAL__N_17runRingI12hip_bfloat1613FuncPreMulSumIS1_E11ProtoSimpleILi1ELi1ELi0ELi4ELi0ELi0EELi0ELi4ELi1EEEviiP15ncclDevWorkColl, .Lfunc_end12-_ZN12_GLOBAL__N_17runRingI12hip_bfloat1613FuncPreMulSumIS1_E11ProtoSimpleILi1ELi1ELi0ELi4ELi0ELi0EELi0ELi4ELi1EEEviiP15ncclDevWorkColl
                                        ; -- End function
	.set .L_ZN12_GLOBAL__N_17runRingI12hip_bfloat1613FuncPreMulSumIS1_E11ProtoSimpleILi1ELi1ELi0ELi4ELi0ELi0EELi0ELi4ELi1EEEviiP15ncclDevWorkColl.num_vgpr, max(128, .L__assert_fail.num_vgpr)
	.set .L_ZN12_GLOBAL__N_17runRingI12hip_bfloat1613FuncPreMulSumIS1_E11ProtoSimpleILi1ELi1ELi0ELi4ELi0ELi0EELi0ELi4ELi1EEEviiP15ncclDevWorkColl.num_agpr, max(0, .L__assert_fail.num_agpr)
	.set .L_ZN12_GLOBAL__N_17runRingI12hip_bfloat1613FuncPreMulSumIS1_E11ProtoSimpleILi1ELi1ELi0ELi4ELi0ELi0EELi0ELi4ELi1EEEviiP15ncclDevWorkColl.numbered_sgpr, max(47, .L__assert_fail.numbered_sgpr)
	.set .L_ZN12_GLOBAL__N_17runRingI12hip_bfloat1613FuncPreMulSumIS1_E11ProtoSimpleILi1ELi1ELi0ELi4ELi0ELi0EELi0ELi4ELi1EEEviiP15ncclDevWorkColl.num_named_barrier, max(0, .L__assert_fail.num_named_barrier)
	.set .L_ZN12_GLOBAL__N_17runRingI12hip_bfloat1613FuncPreMulSumIS1_E11ProtoSimpleILi1ELi1ELi0ELi4ELi0ELi0EELi0ELi4ELi1EEEviiP15ncclDevWorkColl.private_seg_size, 464+max(.L__assert_fail.private_seg_size)
	.set .L_ZN12_GLOBAL__N_17runRingI12hip_bfloat1613FuncPreMulSumIS1_E11ProtoSimpleILi1ELi1ELi0ELi4ELi0ELi0EELi0ELi4ELi1EEEviiP15ncclDevWorkColl.uses_vcc, or(1, .L__assert_fail.uses_vcc)
	.set .L_ZN12_GLOBAL__N_17runRingI12hip_bfloat1613FuncPreMulSumIS1_E11ProtoSimpleILi1ELi1ELi0ELi4ELi0ELi0EELi0ELi4ELi1EEEviiP15ncclDevWorkColl.uses_flat_scratch, or(1, .L__assert_fail.uses_flat_scratch)
	.set .L_ZN12_GLOBAL__N_17runRingI12hip_bfloat1613FuncPreMulSumIS1_E11ProtoSimpleILi1ELi1ELi0ELi4ELi0ELi0EELi0ELi4ELi1EEEviiP15ncclDevWorkColl.has_dyn_sized_stack, or(0, .L__assert_fail.has_dyn_sized_stack)
	.set .L_ZN12_GLOBAL__N_17runRingI12hip_bfloat1613FuncPreMulSumIS1_E11ProtoSimpleILi1ELi1ELi0ELi4ELi0ELi0EELi0ELi4ELi1EEEviiP15ncclDevWorkColl.has_recursion, or(1, .L__assert_fail.has_recursion)
	.set .L_ZN12_GLOBAL__N_17runRingI12hip_bfloat1613FuncPreMulSumIS1_E11ProtoSimpleILi1ELi1ELi0ELi4ELi0ELi0EELi0ELi4ELi1EEEviiP15ncclDevWorkColl.has_indirect_call, or(0, .L__assert_fail.has_indirect_call)
	.section	.AMDGPU.csdata,"",@progbits
; Function info:
; codeLenInByte = 138748
; TotalNumSgprs: 49
; NumVgprs: 128
; ScratchSize: 528
; MemoryBound: 1
	.text
	.p2align	2                               ; -- Begin function _Z51ncclDevFunc_Reduce_RING_SIMPLE_PreMulSum_bf16_0_1_4v
	.type	_Z51ncclDevFunc_Reduce_RING_SIMPLE_PreMulSum_bf16_0_1_4v,@function
_Z51ncclDevFunc_Reduce_RING_SIMPLE_PreMulSum_bf16_0_1_4v: ; @_Z51ncclDevFunc_Reduce_RING_SIMPLE_PreMulSum_bf16_0_1_4v
; %bb.0:
	s_wait_loadcnt_dscnt 0x0
	s_wait_kmcnt 0x0
	s_mov_b32 s62, s33
	s_mov_b32 s33, s32
	s_or_saveexec_b32 s0, -1
	scratch_store_b32 off, v42, s33 offset:12 ; 4-byte Folded Spill
	s_wait_xcnt 0x0
	s_mov_b32 exec_lo, s0
	s_add_co_i32 s32, s32, 32
	s_clause 0x2
	scratch_store_b32 off, v40, s33 offset:8
	; meta instruction
	scratch_store_b32 off, v41, s33 offset:4
	; meta instruction
	scratch_store_b32 off, v127, s33
	v_writelane_b32 v42, s30, 0
	v_writelane_b32 v42, s31, 1
	s_trap 2
	ds_load_b32 v0, v0
	s_wait_xcnt 0x2
	v_mov_b32_e32 v40, v31
	s_mov_b32 s47, s12
	s_mov_b64 s[56:57], s[8:9]
	s_mov_b32 s2, exec_lo
	s_wait_xcnt 0x1
	v_and_b32_e32 v41, 0x3ff, v40
	s_wait_dscnt 0x0
	s_wait_xcnt 0x0
	s_delay_alu instid0(VALU_DEP_1)
	v_cmpx_lt_i32_e64 v41, v0
	s_cbranch_execz .LBB13_5
; %bb.1:
	s_load_b32 s0, s[56:57], 0x0
	s_bfe_u32 s1, ttmp6, 0x4000c
	s_and_b32 s3, ttmp6, 15
	s_add_co_i32 s1, s1, 1
	s_getreg_b32 s4, hwreg(HW_REG_IB_STS2, 6, 4)
	s_mul_i32 s1, ttmp9, s1
	v_mov_b32_e32 v2, v41
	s_add_co_i32 s3, s3, s1
	s_cmp_eq_u32 s4, 0
                                        ; implicit-def: $vgpr3
	s_cselect_b32 s1, ttmp9, s3
	s_mov_b32 s3, 0
	s_wait_kmcnt 0x0
	s_cmp_lt_u32 s1, s0
	s_mov_b32 s1, 0
	s_cselect_b32 s0, 12, 18
	s_delay_alu instid0(SALU_CYCLE_1)
	s_add_nc_u64 s[4:5], s[56:57], s[0:1]
	s_load_u16 s0, s[4:5], 0x0
	s_trap 2
	ds_load_b32 v1, v0
	s_wait_dscnt 0x0
	s_wait_kmcnt 0x0
	v_mul_lo_u32 v1, v1, s0
	s_branch .LBB13_3
.LBB13_2:                               ;   in Loop: Header=BB13_3 Depth=1
	s_or_b32 exec_lo, exec_lo, s4
	v_dual_add_nc_u32 v2, s0, v2 :: v_dual_add_nc_u32 v3, v3, v1
	s_delay_alu instid0(VALU_DEP_1) | instskip(SKIP_1) | instid1(SALU_CYCLE_1)
	v_cmp_ge_i32_e32 vcc_lo, v2, v0
	s_or_b32 s3, vcc_lo, s3
	s_and_not1_b32 exec_lo, exec_lo, s3
	s_cbranch_execz .LBB13_5
.LBB13_3:                               ; =>This Inner Loop Header: Depth=1
	ds_load_b32 v4, v3
	s_mov_b32 s4, exec_lo
	s_wait_dscnt 0x0
	v_and_b32_e32 v4, 0x1000000, v4
	s_delay_alu instid0(VALU_DEP_1)
	v_cmpx_ne_u32_e32 0, v4
	s_cbranch_execz .LBB13_2
; %bb.4:                                ;   in Loop: Header=BB13_3 Depth=1
	ds_load_b64 v[4:5], v3 offset:104
	s_wait_dscnt 0x0
	flat_load_u16 v4, v[4:5]
	s_wait_xcnt 0x0
	v_mov_b32_e32 v5, s1
	s_wait_loadcnt_dscnt 0x0
	v_and_b32_e32 v4, 0xffff, v4
	ds_store_b64 v3, v[4:5] offset:104
	s_branch .LBB13_2
.LBB13_5:
	s_or_b32 exec_lo, exec_lo, s2
	s_wait_storecnt_dscnt 0x0
	s_barrier_signal -1
	s_barrier_wait -1
	s_trap 2
	ds_load_b32 v0, v0
	s_wait_dscnt 0x0
	v_cmp_gt_i32_e32 vcc_lo, 1, v0
	s_cbranch_vccnz .LBB13_13
; %bb.6:
	s_mov_b32 s60, 0
	s_get_pc_i64 s[58:59]
	s_add_nc_u64 s[58:59], s[58:59], _ZN12_GLOBAL__N_17runRingI12hip_bfloat1613FuncPreMulSumIS1_E11ProtoSimpleILi1ELi1ELi0ELi4ELi0ELi0EELi0ELi4ELi1EEEviiP15ncclDevWorkColl@rel64+4
	s_branch .LBB13_8
.LBB13_7:                               ;   in Loop: Header=BB13_8 Depth=1
	s_or_b32 exec_lo, exec_lo, s61
	s_trap 2
	ds_load_b32 v0, v0
	s_add_co_i32 s60, s60, 1
	s_wait_dscnt 0x0
	v_cmp_lt_i32_e32 vcc_lo, s60, v0
	s_cbranch_vccz .LBB13_13
.LBB13_8:                               ; =>This Inner Loop Header: Depth=1
	s_trap 2
	ds_load_b32 v0, v0
	s_cmp_eq_u32 s60, 0
	s_cbranch_scc1 .LBB13_11
; %bb.9:                                ;   in Loop: Header=BB13_8 Depth=1
	s_trap 2
	s_wait_dscnt 0x0
	ds_load_b32 v1, v0
	s_wait_dscnt 0x0
	v_xor_b32_e32 v1, v1, v0
	s_delay_alu instid0(VALU_DEP_1) | instskip(NEXT) | instid1(VALU_DEP_1)
	v_and_b32_e32 v1, 0xff0000, v1
	v_cmp_eq_u32_e32 vcc_lo, 0, v1
	s_cbranch_vccnz .LBB13_11
; %bb.10:                               ;   in Loop: Header=BB13_8 Depth=1
	s_barrier_signal -1
	s_barrier_wait -1
	ds_load_b32 v0, v0
.LBB13_11:                              ;   in Loop: Header=BB13_8 Depth=1
	s_wait_dscnt 0x0
	v_lshrrev_b32_e32 v0, 11, v0
	s_mov_b32 s61, exec_lo
	s_delay_alu instid0(VALU_DEP_1) | instskip(NEXT) | instid1(VALU_DEP_1)
	v_and_b32_e32 v1, 0x1fe0, v0
	v_cmpx_lt_u32_e64 v41, v1
	s_cbranch_execz .LBB13_7
; %bb.12:                               ;   in Loop: Header=BB13_8 Depth=1
	s_mov_b64 s[0:1], src_shared_base
	v_dual_mov_b32 v31, v40 :: v_dual_mov_b32 v0, v41
	v_mov_b32_e32 v3, s1
	s_mov_b64 s[8:9], s[56:57]
	s_mov_b32 s12, s47
	s_swap_pc_i64 s[30:31], s[58:59]
	s_branch .LBB13_7
.LBB13_13:
	s_clause 0x2
	scratch_load_b32 v127, off, s33
	scratch_load_b32 v41, off, s33 offset:4
	scratch_load_b32 v40, off, s33 offset:8
	v_readlane_b32 s30, v42, 0
	v_readlane_b32 s31, v42, 1
	s_mov_b32 s32, s33
	s_wait_xcnt 0x0
	s_or_saveexec_b32 s0, -1
	scratch_load_b32 v42, off, s33 offset:12 ; 4-byte Folded Reload
	s_wait_xcnt 0x0
	s_mov_b32 exec_lo, s0
	s_mov_b32 s33, s62
	s_wait_loadcnt 0x0
	s_set_pc_i64 s[30:31]
.Lfunc_end13:
	.size	_Z51ncclDevFunc_Reduce_RING_SIMPLE_PreMulSum_bf16_0_1_4v, .Lfunc_end13-_Z51ncclDevFunc_Reduce_RING_SIMPLE_PreMulSum_bf16_0_1_4v
                                        ; -- End function
	.set .L_Z51ncclDevFunc_Reduce_RING_SIMPLE_PreMulSum_bf16_0_1_4v.num_vgpr, max(128, .L_ZN12_GLOBAL__N_17runRingI12hip_bfloat1613FuncPreMulSumIS1_E11ProtoSimpleILi1ELi1ELi0ELi4ELi0ELi0EELi0ELi4ELi1EEEviiP15ncclDevWorkColl.num_vgpr)
	.set .L_Z51ncclDevFunc_Reduce_RING_SIMPLE_PreMulSum_bf16_0_1_4v.num_agpr, max(0, .L_ZN12_GLOBAL__N_17runRingI12hip_bfloat1613FuncPreMulSumIS1_E11ProtoSimpleILi1ELi1ELi0ELi4ELi0ELi0EELi0ELi4ELi1EEEviiP15ncclDevWorkColl.num_agpr)
	.set .L_Z51ncclDevFunc_Reduce_RING_SIMPLE_PreMulSum_bf16_0_1_4v.numbered_sgpr, max(63, .L_ZN12_GLOBAL__N_17runRingI12hip_bfloat1613FuncPreMulSumIS1_E11ProtoSimpleILi1ELi1ELi0ELi4ELi0ELi0EELi0ELi4ELi1EEEviiP15ncclDevWorkColl.numbered_sgpr)
	.set .L_Z51ncclDevFunc_Reduce_RING_SIMPLE_PreMulSum_bf16_0_1_4v.num_named_barrier, max(0, .L_ZN12_GLOBAL__N_17runRingI12hip_bfloat1613FuncPreMulSumIS1_E11ProtoSimpleILi1ELi1ELi0ELi4ELi0ELi0EELi0ELi4ELi1EEEviiP15ncclDevWorkColl.num_named_barrier)
	.set .L_Z51ncclDevFunc_Reduce_RING_SIMPLE_PreMulSum_bf16_0_1_4v.private_seg_size, 32+max(.L_ZN12_GLOBAL__N_17runRingI12hip_bfloat1613FuncPreMulSumIS1_E11ProtoSimpleILi1ELi1ELi0ELi4ELi0ELi0EELi0ELi4ELi1EEEviiP15ncclDevWorkColl.private_seg_size)
	.set .L_Z51ncclDevFunc_Reduce_RING_SIMPLE_PreMulSum_bf16_0_1_4v.uses_vcc, or(1, .L_ZN12_GLOBAL__N_17runRingI12hip_bfloat1613FuncPreMulSumIS1_E11ProtoSimpleILi1ELi1ELi0ELi4ELi0ELi0EELi0ELi4ELi1EEEviiP15ncclDevWorkColl.uses_vcc)
	.set .L_Z51ncclDevFunc_Reduce_RING_SIMPLE_PreMulSum_bf16_0_1_4v.uses_flat_scratch, or(1, .L_ZN12_GLOBAL__N_17runRingI12hip_bfloat1613FuncPreMulSumIS1_E11ProtoSimpleILi1ELi1ELi0ELi4ELi0ELi0EELi0ELi4ELi1EEEviiP15ncclDevWorkColl.uses_flat_scratch)
	.set .L_Z51ncclDevFunc_Reduce_RING_SIMPLE_PreMulSum_bf16_0_1_4v.has_dyn_sized_stack, or(0, .L_ZN12_GLOBAL__N_17runRingI12hip_bfloat1613FuncPreMulSumIS1_E11ProtoSimpleILi1ELi1ELi0ELi4ELi0ELi0EELi0ELi4ELi1EEEviiP15ncclDevWorkColl.has_dyn_sized_stack)
	.set .L_Z51ncclDevFunc_Reduce_RING_SIMPLE_PreMulSum_bf16_0_1_4v.has_recursion, or(1, .L_ZN12_GLOBAL__N_17runRingI12hip_bfloat1613FuncPreMulSumIS1_E11ProtoSimpleILi1ELi1ELi0ELi4ELi0ELi0EELi0ELi4ELi1EEEviiP15ncclDevWorkColl.has_recursion)
	.set .L_Z51ncclDevFunc_Reduce_RING_SIMPLE_PreMulSum_bf16_0_1_4v.has_indirect_call, or(0, .L_ZN12_GLOBAL__N_17runRingI12hip_bfloat1613FuncPreMulSumIS1_E11ProtoSimpleILi1ELi1ELi0ELi4ELi0ELi0EELi0ELi4ELi1EEEviiP15ncclDevWorkColl.has_indirect_call)
	.section	.AMDGPU.csdata,"",@progbits
; Function info:
; codeLenInByte = 756
; TotalNumSgprs: 65
; NumVgprs: 128
; ScratchSize: 560
; MemoryBound: 0
	.text
	.p2alignl 7, 3214868480
	.fill 96, 4, 3214868480
	.section	.AMDGPU.gpr_maximums,"",@progbits
	.set amdgpu.max_num_vgpr, 128
	.set amdgpu.max_num_agpr, 0
	.set amdgpu.max_num_sgpr, 73
	.text
	.type	__const.__assert_fail.fmt,@object ; @__const.__assert_fail.fmt
	.section	.rodata.str1.16,"aMS",@progbits,1
	.p2align	4, 0x0
__const.__assert_fail.fmt:
	.asciz	"%s:%u: %s: Device-side assertion `%s' failed.\n"
	.size	__const.__assert_fail.fmt, 47

	.type	.str.3,@object                  ; @.str.3
	.section	.rodata.str1.1,"aMS",@progbits,1
.str.3:
	.asciz	"2*(nrecv+nsend) <= nthreads"
	.size	.str.3, 28

	.type	.str.4,@object                  ; @.str.4
.str.4:
	.asciz	"/root/src/amdgpu-assembly/repos/ROCm__rccl/hipify/src/device/prims_simple.h"
	.size	.str.4, 76

	.type	__PRETTY_FUNCTION__._ZN10PrimitivesI12hip_bfloat1613FuncPreMulSumIS0_E12FanSymmetricILi1EELi0E11ProtoSimpleILi1ELi1ELi0ELi1ELi0ELi0EELi0ELb0ELi0ELi0ELi0EEC2EiiPKiS9_PKvPvmhhhP15ncclDevWorkCollP14ncclDevWorkP2pii,@object ; @__PRETTY_FUNCTION__._ZN10PrimitivesI12hip_bfloat1613FuncPreMulSumIS0_E12FanSymmetricILi1EELi0E11ProtoSimpleILi1ELi1ELi0ELi1ELi0ELi0EELi0ELb0ELi0ELi0ELi0EEC2EiiPKiS9_PKvPvmhhhP15ncclDevWorkCollP14ncclDevWorkP2pii
__PRETTY_FUNCTION__._ZN10PrimitivesI12hip_bfloat1613FuncPreMulSumIS0_E12FanSymmetricILi1EELi0E11ProtoSimpleILi1ELi1ELi0ELi1ELi0ELi0EELi0ELb0ELi0ELi0ELi0EEC2EiiPKiS9_PKvPvmhhhP15ncclDevWorkCollP14ncclDevWorkP2pii:
	.asciz	"Primitives<hip_bfloat16, FuncPreMulSum<hip_bfloat16>, FanSymmetric<1>, 0, ProtoSimple<1, 1, 0, 1>, 0>::Primitives(int, int, const int *, const int *, const void *, void *, uint64_t, uint8_t, uint8_t, uint8_t, struct ncclDevWorkColl *, struct ncclDevWorkP2p *, int, int) [T = hip_bfloat16, RedOp = FuncPreMulSum<hip_bfloat16>, Fan = FanSymmetric<1>, Direct = 0, Proto = ProtoSimple<1, 1, 0, 1>, P2p = 0, isNetOffload = false, Metadata = 0, Pipeline = 0, useAcc = 0]"
	.size	__PRETTY_FUNCTION__._ZN10PrimitivesI12hip_bfloat1613FuncPreMulSumIS0_E12FanSymmetricILi1EELi0E11ProtoSimpleILi1ELi1ELi0ELi1ELi0ELi0EELi0ELb0ELi0ELi0ELi0EEC2EiiPKiS9_PKvPvmhhhP15ncclDevWorkCollP14ncclDevWorkP2pii, 465

	.type	__PRETTY_FUNCTION__._ZN10PrimitivesI12hip_bfloat1613FuncPreMulSumIS0_E12FanSymmetricILi1EELi0E11ProtoSimpleILi1ELi1ELi0ELi1ELi0ELi0EELi0ELb0ELi0ELi1ELi0EEC2EiiPKiS9_PKvPvmhhhP15ncclDevWorkCollP14ncclDevWorkP2pii,@object ; @__PRETTY_FUNCTION__._ZN10PrimitivesI12hip_bfloat1613FuncPreMulSumIS0_E12FanSymmetricILi1EELi0E11ProtoSimpleILi1ELi1ELi0ELi1ELi0ELi0EELi0ELb0ELi0ELi1ELi0EEC2EiiPKiS9_PKvPvmhhhP15ncclDevWorkCollP14ncclDevWorkP2pii
__PRETTY_FUNCTION__._ZN10PrimitivesI12hip_bfloat1613FuncPreMulSumIS0_E12FanSymmetricILi1EELi0E11ProtoSimpleILi1ELi1ELi0ELi1ELi0ELi0EELi0ELb0ELi0ELi1ELi0EEC2EiiPKiS9_PKvPvmhhhP15ncclDevWorkCollP14ncclDevWorkP2pii:
	.asciz	"Primitives<hip_bfloat16, FuncPreMulSum<hip_bfloat16>, FanSymmetric<1>, 0, ProtoSimple<1, 1, 0, 1>, 0, false, 0, 1>::Primitives(int, int, const int *, const int *, const void *, void *, uint64_t, uint8_t, uint8_t, uint8_t, struct ncclDevWorkColl *, struct ncclDevWorkP2p *, int, int) [T = hip_bfloat16, RedOp = FuncPreMulSum<hip_bfloat16>, Fan = FanSymmetric<1>, Direct = 0, Proto = ProtoSimple<1, 1, 0, 1>, P2p = 0, isNetOffload = false, Metadata = 0, Pipeline = 1, useAcc = 0]"
	.size	__PRETTY_FUNCTION__._ZN10PrimitivesI12hip_bfloat1613FuncPreMulSumIS0_E12FanSymmetricILi1EELi0E11ProtoSimpleILi1ELi1ELi0ELi1ELi0ELi0EELi0ELb0ELi0ELi1ELi0EEC2EiiPKiS9_PKvPvmhhhP15ncclDevWorkCollP14ncclDevWorkP2pii, 478

	.type	__PRETTY_FUNCTION__._ZN10PrimitivesI12hip_bfloat1613FuncPreMulSumIS0_E12FanSymmetricILi1EELi0E11ProtoSimpleILi1ELi1ELi0ELi2ELi0ELi0EELi0ELb0ELi0ELi0ELi0EEC2EiiPKiS9_PKvPvmhhhP15ncclDevWorkCollP14ncclDevWorkP2pii,@object ; @__PRETTY_FUNCTION__._ZN10PrimitivesI12hip_bfloat1613FuncPreMulSumIS0_E12FanSymmetricILi1EELi0E11ProtoSimpleILi1ELi1ELi0ELi2ELi0ELi0EELi0ELb0ELi0ELi0ELi0EEC2EiiPKiS9_PKvPvmhhhP15ncclDevWorkCollP14ncclDevWorkP2pii
__PRETTY_FUNCTION__._ZN10PrimitivesI12hip_bfloat1613FuncPreMulSumIS0_E12FanSymmetricILi1EELi0E11ProtoSimpleILi1ELi1ELi0ELi2ELi0ELi0EELi0ELb0ELi0ELi0ELi0EEC2EiiPKiS9_PKvPvmhhhP15ncclDevWorkCollP14ncclDevWorkP2pii:
	.asciz	"Primitives<hip_bfloat16, FuncPreMulSum<hip_bfloat16>, FanSymmetric<1>, 0, ProtoSimple<1, 1, 0, 2>, 0>::Primitives(int, int, const int *, const int *, const void *, void *, uint64_t, uint8_t, uint8_t, uint8_t, struct ncclDevWorkColl *, struct ncclDevWorkP2p *, int, int) [T = hip_bfloat16, RedOp = FuncPreMulSum<hip_bfloat16>, Fan = FanSymmetric<1>, Direct = 0, Proto = ProtoSimple<1, 1, 0, 2>, P2p = 0, isNetOffload = false, Metadata = 0, Pipeline = 0, useAcc = 0]"
	.size	__PRETTY_FUNCTION__._ZN10PrimitivesI12hip_bfloat1613FuncPreMulSumIS0_E12FanSymmetricILi1EELi0E11ProtoSimpleILi1ELi1ELi0ELi2ELi0ELi0EELi0ELb0ELi0ELi0ELi0EEC2EiiPKiS9_PKvPvmhhhP15ncclDevWorkCollP14ncclDevWorkP2pii, 465

	.type	__PRETTY_FUNCTION__._ZN10PrimitivesI12hip_bfloat1613FuncPreMulSumIS0_E12FanSymmetricILi1EELi0E11ProtoSimpleILi1ELi1ELi0ELi2ELi0ELi0EELi0ELb0ELi0ELi1ELi0EEC2EiiPKiS9_PKvPvmhhhP15ncclDevWorkCollP14ncclDevWorkP2pii,@object ; @__PRETTY_FUNCTION__._ZN10PrimitivesI12hip_bfloat1613FuncPreMulSumIS0_E12FanSymmetricILi1EELi0E11ProtoSimpleILi1ELi1ELi0ELi2ELi0ELi0EELi0ELb0ELi0ELi1ELi0EEC2EiiPKiS9_PKvPvmhhhP15ncclDevWorkCollP14ncclDevWorkP2pii
__PRETTY_FUNCTION__._ZN10PrimitivesI12hip_bfloat1613FuncPreMulSumIS0_E12FanSymmetricILi1EELi0E11ProtoSimpleILi1ELi1ELi0ELi2ELi0ELi0EELi0ELb0ELi0ELi1ELi0EEC2EiiPKiS9_PKvPvmhhhP15ncclDevWorkCollP14ncclDevWorkP2pii:
	.asciz	"Primitives<hip_bfloat16, FuncPreMulSum<hip_bfloat16>, FanSymmetric<1>, 0, ProtoSimple<1, 1, 0, 2>, 0, false, 0, 1>::Primitives(int, int, const int *, const int *, const void *, void *, uint64_t, uint8_t, uint8_t, uint8_t, struct ncclDevWorkColl *, struct ncclDevWorkP2p *, int, int) [T = hip_bfloat16, RedOp = FuncPreMulSum<hip_bfloat16>, Fan = FanSymmetric<1>, Direct = 0, Proto = ProtoSimple<1, 1, 0, 2>, P2p = 0, isNetOffload = false, Metadata = 0, Pipeline = 1, useAcc = 0]"
	.size	__PRETTY_FUNCTION__._ZN10PrimitivesI12hip_bfloat1613FuncPreMulSumIS0_E12FanSymmetricILi1EELi0E11ProtoSimpleILi1ELi1ELi0ELi2ELi0ELi0EELi0ELb0ELi0ELi1ELi0EEC2EiiPKiS9_PKvPvmhhhP15ncclDevWorkCollP14ncclDevWorkP2pii, 478

	.type	__PRETTY_FUNCTION__._ZN10PrimitivesI12hip_bfloat1613FuncPreMulSumIS0_E12FanSymmetricILi1EELi0E11ProtoSimpleILi1ELi1ELi0ELi4ELi0ELi0EELi0ELb0ELi0ELi0ELi0EEC2EiiPKiS9_PKvPvmhhhP15ncclDevWorkCollP14ncclDevWorkP2pii,@object ; @__PRETTY_FUNCTION__._ZN10PrimitivesI12hip_bfloat1613FuncPreMulSumIS0_E12FanSymmetricILi1EELi0E11ProtoSimpleILi1ELi1ELi0ELi4ELi0ELi0EELi0ELb0ELi0ELi0ELi0EEC2EiiPKiS9_PKvPvmhhhP15ncclDevWorkCollP14ncclDevWorkP2pii
__PRETTY_FUNCTION__._ZN10PrimitivesI12hip_bfloat1613FuncPreMulSumIS0_E12FanSymmetricILi1EELi0E11ProtoSimpleILi1ELi1ELi0ELi4ELi0ELi0EELi0ELb0ELi0ELi0ELi0EEC2EiiPKiS9_PKvPvmhhhP15ncclDevWorkCollP14ncclDevWorkP2pii:
	.asciz	"Primitives<hip_bfloat16, FuncPreMulSum<hip_bfloat16>, FanSymmetric<1>, 0, ProtoSimple<1, 1, 0, 4>, 0>::Primitives(int, int, const int *, const int *, const void *, void *, uint64_t, uint8_t, uint8_t, uint8_t, struct ncclDevWorkColl *, struct ncclDevWorkP2p *, int, int) [T = hip_bfloat16, RedOp = FuncPreMulSum<hip_bfloat16>, Fan = FanSymmetric<1>, Direct = 0, Proto = ProtoSimple<1, 1, 0, 4>, P2p = 0, isNetOffload = false, Metadata = 0, Pipeline = 0, useAcc = 0]"
	.size	__PRETTY_FUNCTION__._ZN10PrimitivesI12hip_bfloat1613FuncPreMulSumIS0_E12FanSymmetricILi1EELi0E11ProtoSimpleILi1ELi1ELi0ELi4ELi0ELi0EELi0ELb0ELi0ELi0ELi0EEC2EiiPKiS9_PKvPvmhhhP15ncclDevWorkCollP14ncclDevWorkP2pii, 465

	.type	__PRETTY_FUNCTION__._ZN10PrimitivesI12hip_bfloat1613FuncPreMulSumIS0_E12FanSymmetricILi1EELi0E11ProtoSimpleILi1ELi1ELi0ELi4ELi0ELi0EELi0ELb0ELi0ELi1ELi0EEC2EiiPKiS9_PKvPvmhhhP15ncclDevWorkCollP14ncclDevWorkP2pii,@object ; @__PRETTY_FUNCTION__._ZN10PrimitivesI12hip_bfloat1613FuncPreMulSumIS0_E12FanSymmetricILi1EELi0E11ProtoSimpleILi1ELi1ELi0ELi4ELi0ELi0EELi0ELb0ELi0ELi1ELi0EEC2EiiPKiS9_PKvPvmhhhP15ncclDevWorkCollP14ncclDevWorkP2pii
__PRETTY_FUNCTION__._ZN10PrimitivesI12hip_bfloat1613FuncPreMulSumIS0_E12FanSymmetricILi1EELi0E11ProtoSimpleILi1ELi1ELi0ELi4ELi0ELi0EELi0ELb0ELi0ELi1ELi0EEC2EiiPKiS9_PKvPvmhhhP15ncclDevWorkCollP14ncclDevWorkP2pii:
	.asciz	"Primitives<hip_bfloat16, FuncPreMulSum<hip_bfloat16>, FanSymmetric<1>, 0, ProtoSimple<1, 1, 0, 4>, 0, false, 0, 1>::Primitives(int, int, const int *, const int *, const void *, void *, uint64_t, uint8_t, uint8_t, uint8_t, struct ncclDevWorkColl *, struct ncclDevWorkP2p *, int, int) [T = hip_bfloat16, RedOp = FuncPreMulSum<hip_bfloat16>, Fan = FanSymmetric<1>, Direct = 0, Proto = ProtoSimple<1, 1, 0, 4>, P2p = 0, isNetOffload = false, Metadata = 0, Pipeline = 1, useAcc = 0]"
	.size	__PRETTY_FUNCTION__._ZN10PrimitivesI12hip_bfloat1613FuncPreMulSumIS0_E12FanSymmetricILi1EELi0E11ProtoSimpleILi1ELi1ELi0ELi4ELi0ELi0EELi0ELb0ELi0ELi1ELi0EEC2EiiPKiS9_PKvPvmhhhP15ncclDevWorkCollP14ncclDevWorkP2pii, 478

	.type	__hip_cuid_e0708677f7c8af32,@object ; @__hip_cuid_e0708677f7c8af32
	.section	.bss,"aw",@nobits
	.globl	__hip_cuid_e0708677f7c8af32
__hip_cuid_e0708677f7c8af32:
	.byte	0                               ; 0x0
	.size	__hip_cuid_e0708677f7c8af32, 1

	.ident	"AMD clang version 22.0.0git (https://github.com/RadeonOpenCompute/llvm-project roc-7.2.4 26084 f58b06dce1f9c15707c5f808fd002e18c2accf7e)"
	.section	".note.GNU-stack","",@progbits
	.addrsig
	.addrsig_sym _Z51ncclDevFunc_Reduce_RING_SIMPLE_PreMulSum_bf16_0_0_1v
	.addrsig_sym _Z51ncclDevFunc_Reduce_RING_SIMPLE_PreMulSum_bf16_0_1_1v
	.addrsig_sym _Z51ncclDevFunc_Reduce_RING_SIMPLE_PreMulSum_bf16_0_0_2v
	.addrsig_sym _Z51ncclDevFunc_Reduce_RING_SIMPLE_PreMulSum_bf16_0_1_2v
	.addrsig_sym _Z51ncclDevFunc_Reduce_RING_SIMPLE_PreMulSum_bf16_0_0_4v
	.addrsig_sym _Z51ncclDevFunc_Reduce_RING_SIMPLE_PreMulSum_bf16_0_1_4v
	.addrsig_sym ncclShmem
	.addrsig_sym __hip_cuid_e0708677f7c8af32
	.amdgpu_metadata
---
amdhsa.kernels:  []
amdhsa.target:   amdgcn-amd-amdhsa--gfx1250
amdhsa.version:
  - 1
  - 2
...

	.end_amdgpu_metadata
